;; amdgpu-corpus repo=ROCm/rocSOLVER kind=compiled arch=gfx942 opt=O3
	.text
	.amdgcn_target "amdgcn-amd-amdhsa--gfx942"
	.amdhsa_code_object_version 6
	.section	.text._ZN9rocsolver6v33100L18trti2_kernel_smallILi1E19rocblas_complex_numIdEPS3_EEv13rocblas_fill_17rocblas_diagonal_T1_iil,"axG",@progbits,_ZN9rocsolver6v33100L18trti2_kernel_smallILi1E19rocblas_complex_numIdEPS3_EEv13rocblas_fill_17rocblas_diagonal_T1_iil,comdat
	.globl	_ZN9rocsolver6v33100L18trti2_kernel_smallILi1E19rocblas_complex_numIdEPS3_EEv13rocblas_fill_17rocblas_diagonal_T1_iil ; -- Begin function _ZN9rocsolver6v33100L18trti2_kernel_smallILi1E19rocblas_complex_numIdEPS3_EEv13rocblas_fill_17rocblas_diagonal_T1_iil
	.p2align	8
	.type	_ZN9rocsolver6v33100L18trti2_kernel_smallILi1E19rocblas_complex_numIdEPS3_EEv13rocblas_fill_17rocblas_diagonal_T1_iil,@function
_ZN9rocsolver6v33100L18trti2_kernel_smallILi1E19rocblas_complex_numIdEPS3_EEv13rocblas_fill_17rocblas_diagonal_T1_iil: ; @_ZN9rocsolver6v33100L18trti2_kernel_smallILi1E19rocblas_complex_numIdEPS3_EEv13rocblas_fill_17rocblas_diagonal_T1_iil
; %bb.0:
	v_cmp_eq_u32_e32 vcc, 0, v0
	s_and_saveexec_b64 s[4:5], vcc
	s_cbranch_execz .LBB0_7
; %bb.1:
	s_load_dword s4, s[0:1], 0x10
	s_load_dwordx2 s[6:7], s[0:1], 0x18
	s_load_dword s10, s[0:1], 0x4
	s_load_dwordx2 s[8:9], s[0:1], 0x8
	s_ashr_i32 s0, s2, 31
	s_waitcnt lgkmcnt(0)
	s_ashr_i32 s5, s4, 31
	s_mul_i32 s1, s2, s7
	s_mul_hi_u32 s3, s2, s6
	s_add_i32 s1, s3, s1
	s_mul_i32 s0, s0, s6
	s_add_i32 s1, s1, s0
	s_mul_i32 s0, s2, s6
	s_lshl_b64 s[0:1], s[0:1], 4
	s_add_u32 s2, s8, s0
	s_addc_u32 s3, s9, s1
	s_lshl_b64 s[0:1], s[4:5], 4
	s_add_u32 s4, s2, s0
	s_addc_u32 s5, s3, s1
	s_load_dwordx4 s[0:3], s[4:5], 0x0
	s_cmpk_eq_i32 s10, 0x84
	s_waitcnt lgkmcnt(0)
	v_mov_b64_e32 v[2:3], s[2:3]
	v_mov_b64_e32 v[0:1], s[0:1]
	s_cbranch_scc1 .LBB0_6
; %bb.2:
	v_cmp_lt_f64_e64 s[8:9], s[0:1], 0
	s_xor_b32 s10, s1, 0x80000000
	s_and_b64 s[8:9], s[8:9], exec
	s_cselect_b32 s9, s10, s1
	s_cselect_b32 s8, s0, s0
	v_cmp_lt_f64_e64 s[10:11], s[2:3], 0
	s_xor_b32 s12, s3, 0x80000000
	s_and_b64 s[10:11], s[10:11], exec
	s_cselect_b32 s10, s12, s3
	s_cselect_b32 s11, s2, s2
	v_mov_b32_e32 v0, s11
	v_mov_b32_e32 v1, s10
	v_cmp_ngt_f64_e32 vcc, s[8:9], v[0:1]
	s_mov_b64 s[6:7], 0
	s_cbranch_vccz .LBB0_4
; %bb.3:
	v_mov_b64_e32 v[0:1], s[0:1]
	v_div_scale_f64 v[2:3], s[8:9], s[2:3], s[2:3], v[0:1]
	v_rcp_f64_e32 v[4:5], v[2:3]
	v_mov_b64_e32 v[6:7], s[2:3]
	v_fma_f64 v[8:9], -v[2:3], v[4:5], 1.0
	v_fmac_f64_e32 v[4:5], v[4:5], v[8:9]
	v_fma_f64 v[8:9], -v[2:3], v[4:5], 1.0
	v_fmac_f64_e32 v[4:5], v[4:5], v[8:9]
	v_div_scale_f64 v[8:9], vcc, s[0:1], v[6:7], s[0:1]
	v_mul_f64 v[10:11], v[8:9], v[4:5]
	v_fma_f64 v[2:3], -v[2:3], v[10:11], v[8:9]
	s_nop 1
	v_div_fmas_f64 v[2:3], v[2:3], v[4:5], v[10:11]
	v_div_fixup_f64 v[0:1], v[2:3], s[2:3], v[0:1]
	v_fma_f64 v[2:3], s[0:1], v[0:1], v[6:7]
	v_div_scale_f64 v[4:5], s[8:9], v[2:3], v[2:3], 1.0
	v_rcp_f64_e32 v[6:7], v[4:5]
	s_nop 0
	v_fma_f64 v[8:9], -v[4:5], v[6:7], 1.0
	v_fmac_f64_e32 v[6:7], v[6:7], v[8:9]
	v_fma_f64 v[8:9], -v[4:5], v[6:7], 1.0
	v_fmac_f64_e32 v[6:7], v[6:7], v[8:9]
	v_div_scale_f64 v[8:9], vcc, 1.0, v[2:3], 1.0
	v_mul_f64 v[10:11], v[8:9], v[6:7]
	v_fma_f64 v[4:5], -v[4:5], v[10:11], v[8:9]
	s_nop 1
	v_div_fmas_f64 v[4:5], v[4:5], v[6:7], v[10:11]
	v_div_fixup_f64 v[2:3], v[4:5], v[2:3], 1.0
	v_mul_f64 v[0:1], v[0:1], v[2:3]
	v_xor_b32_e32 v3, 0x80000000, v3
	s_andn2_b64 vcc, exec, s[6:7]
	s_cbranch_vccz .LBB0_5
	s_branch .LBB0_6
.LBB0_4:
                                        ; implicit-def: $vgpr0_vgpr1
.LBB0_5:
	v_mov_b64_e32 v[0:1], s[2:3]
	v_div_scale_f64 v[2:3], s[6:7], s[0:1], s[0:1], v[0:1]
	v_rcp_f64_e32 v[4:5], v[2:3]
	v_mov_b64_e32 v[6:7], s[0:1]
	v_fma_f64 v[8:9], -v[2:3], v[4:5], 1.0
	v_fmac_f64_e32 v[4:5], v[4:5], v[8:9]
	v_fma_f64 v[8:9], -v[2:3], v[4:5], 1.0
	v_fmac_f64_e32 v[4:5], v[4:5], v[8:9]
	v_div_scale_f64 v[8:9], vcc, s[2:3], v[6:7], s[2:3]
	v_mul_f64 v[10:11], v[8:9], v[4:5]
	v_fma_f64 v[2:3], -v[2:3], v[10:11], v[8:9]
	s_nop 1
	v_div_fmas_f64 v[2:3], v[2:3], v[4:5], v[10:11]
	v_div_fixup_f64 v[2:3], v[2:3], s[0:1], v[0:1]
	v_fma_f64 v[0:1], s[2:3], v[2:3], v[6:7]
	v_div_scale_f64 v[4:5], s[0:1], v[0:1], v[0:1], 1.0
	v_rcp_f64_e32 v[6:7], v[4:5]
	s_nop 0
	v_fma_f64 v[8:9], -v[4:5], v[6:7], 1.0
	v_fmac_f64_e32 v[6:7], v[6:7], v[8:9]
	v_fma_f64 v[8:9], -v[4:5], v[6:7], 1.0
	v_fmac_f64_e32 v[6:7], v[6:7], v[8:9]
	v_div_scale_f64 v[8:9], vcc, 1.0, v[0:1], 1.0
	v_mul_f64 v[10:11], v[8:9], v[6:7]
	v_fma_f64 v[4:5], -v[4:5], v[10:11], v[8:9]
	s_nop 1
	v_div_fmas_f64 v[4:5], v[4:5], v[6:7], v[10:11]
	v_div_fixup_f64 v[0:1], v[4:5], v[0:1], 1.0
	v_mul_f64 v[2:3], v[2:3], -v[0:1]
.LBB0_6:
	v_mov_b32_e32 v4, 0
	global_store_dwordx4 v4, v[0:3], s[4:5]
.LBB0_7:
	s_endpgm
	.section	.rodata,"a",@progbits
	.p2align	6, 0x0
	.amdhsa_kernel _ZN9rocsolver6v33100L18trti2_kernel_smallILi1E19rocblas_complex_numIdEPS3_EEv13rocblas_fill_17rocblas_diagonal_T1_iil
		.amdhsa_group_segment_fixed_size 0
		.amdhsa_private_segment_fixed_size 0
		.amdhsa_kernarg_size 32
		.amdhsa_user_sgpr_count 2
		.amdhsa_user_sgpr_dispatch_ptr 0
		.amdhsa_user_sgpr_queue_ptr 0
		.amdhsa_user_sgpr_kernarg_segment_ptr 1
		.amdhsa_user_sgpr_dispatch_id 0
		.amdhsa_user_sgpr_kernarg_preload_length 0
		.amdhsa_user_sgpr_kernarg_preload_offset 0
		.amdhsa_user_sgpr_private_segment_size 0
		.amdhsa_uses_dynamic_stack 0
		.amdhsa_enable_private_segment 0
		.amdhsa_system_sgpr_workgroup_id_x 1
		.amdhsa_system_sgpr_workgroup_id_y 0
		.amdhsa_system_sgpr_workgroup_id_z 0
		.amdhsa_system_sgpr_workgroup_info 0
		.amdhsa_system_vgpr_workitem_id 0
		.amdhsa_next_free_vgpr 12
		.amdhsa_next_free_sgpr 13
		.amdhsa_accum_offset 12
		.amdhsa_reserve_vcc 1
		.amdhsa_float_round_mode_32 0
		.amdhsa_float_round_mode_16_64 0
		.amdhsa_float_denorm_mode_32 3
		.amdhsa_float_denorm_mode_16_64 3
		.amdhsa_dx10_clamp 1
		.amdhsa_ieee_mode 1
		.amdhsa_fp16_overflow 0
		.amdhsa_tg_split 0
		.amdhsa_exception_fp_ieee_invalid_op 0
		.amdhsa_exception_fp_denorm_src 0
		.amdhsa_exception_fp_ieee_div_zero 0
		.amdhsa_exception_fp_ieee_overflow 0
		.amdhsa_exception_fp_ieee_underflow 0
		.amdhsa_exception_fp_ieee_inexact 0
		.amdhsa_exception_int_div_zero 0
	.end_amdhsa_kernel
	.section	.text._ZN9rocsolver6v33100L18trti2_kernel_smallILi1E19rocblas_complex_numIdEPS3_EEv13rocblas_fill_17rocblas_diagonal_T1_iil,"axG",@progbits,_ZN9rocsolver6v33100L18trti2_kernel_smallILi1E19rocblas_complex_numIdEPS3_EEv13rocblas_fill_17rocblas_diagonal_T1_iil,comdat
.Lfunc_end0:
	.size	_ZN9rocsolver6v33100L18trti2_kernel_smallILi1E19rocblas_complex_numIdEPS3_EEv13rocblas_fill_17rocblas_diagonal_T1_iil, .Lfunc_end0-_ZN9rocsolver6v33100L18trti2_kernel_smallILi1E19rocblas_complex_numIdEPS3_EEv13rocblas_fill_17rocblas_diagonal_T1_iil
                                        ; -- End function
	.section	.AMDGPU.csdata,"",@progbits
; Kernel info:
; codeLenInByte = 620
; NumSgprs: 19
; NumVgprs: 12
; NumAgprs: 0
; TotalNumVgprs: 12
; ScratchSize: 0
; MemoryBound: 0
; FloatMode: 240
; IeeeMode: 1
; LDSByteSize: 0 bytes/workgroup (compile time only)
; SGPRBlocks: 2
; VGPRBlocks: 1
; NumSGPRsForWavesPerEU: 19
; NumVGPRsForWavesPerEU: 12
; AccumOffset: 12
; Occupancy: 8
; WaveLimiterHint : 0
; COMPUTE_PGM_RSRC2:SCRATCH_EN: 0
; COMPUTE_PGM_RSRC2:USER_SGPR: 2
; COMPUTE_PGM_RSRC2:TRAP_HANDLER: 0
; COMPUTE_PGM_RSRC2:TGID_X_EN: 1
; COMPUTE_PGM_RSRC2:TGID_Y_EN: 0
; COMPUTE_PGM_RSRC2:TGID_Z_EN: 0
; COMPUTE_PGM_RSRC2:TIDIG_COMP_CNT: 0
; COMPUTE_PGM_RSRC3_GFX90A:ACCUM_OFFSET: 2
; COMPUTE_PGM_RSRC3_GFX90A:TG_SPLIT: 0
	.section	.text._ZN9rocsolver6v33100L18trti2_kernel_smallILi2E19rocblas_complex_numIdEPS3_EEv13rocblas_fill_17rocblas_diagonal_T1_iil,"axG",@progbits,_ZN9rocsolver6v33100L18trti2_kernel_smallILi2E19rocblas_complex_numIdEPS3_EEv13rocblas_fill_17rocblas_diagonal_T1_iil,comdat
	.globl	_ZN9rocsolver6v33100L18trti2_kernel_smallILi2E19rocblas_complex_numIdEPS3_EEv13rocblas_fill_17rocblas_diagonal_T1_iil ; -- Begin function _ZN9rocsolver6v33100L18trti2_kernel_smallILi2E19rocblas_complex_numIdEPS3_EEv13rocblas_fill_17rocblas_diagonal_T1_iil
	.p2align	8
	.type	_ZN9rocsolver6v33100L18trti2_kernel_smallILi2E19rocblas_complex_numIdEPS3_EEv13rocblas_fill_17rocblas_diagonal_T1_iil,@function
_ZN9rocsolver6v33100L18trti2_kernel_smallILi2E19rocblas_complex_numIdEPS3_EEv13rocblas_fill_17rocblas_diagonal_T1_iil: ; @_ZN9rocsolver6v33100L18trti2_kernel_smallILi2E19rocblas_complex_numIdEPS3_EEv13rocblas_fill_17rocblas_diagonal_T1_iil
; %bb.0:
	v_cmp_gt_u32_e32 vcc, 2, v0
	s_and_saveexec_b64 s[4:5], vcc
	s_cbranch_execz .LBB1_19
; %bb.1:
	s_load_dwordx8 s[4:11], s[0:1], 0x0
	s_ashr_i32 s3, s2, 31
	v_lshlrev_b32_e32 v18, 4, v0
	v_mov_b32_e32 v19, 0
	v_mov_b32_e32 v1, 0
	s_waitcnt lgkmcnt(0)
	s_ashr_i32 s1, s8, 31
	s_mov_b32 s0, s8
	s_mul_i32 s8, s2, s11
	s_mul_hi_u32 s11, s2, s10
	s_add_i32 s8, s11, s8
	s_mul_i32 s3, s3, s10
	s_add_i32 s3, s8, s3
	s_mul_i32 s2, s2, s10
	s_lshl_b64 s[2:3], s[2:3], 4
	s_add_u32 s2, s6, s2
	s_addc_u32 s3, s7, s3
	s_lshl_b64 s[0:1], s[0:1], 4
	s_add_u32 s0, s2, s0
	s_addc_u32 s1, s3, s1
	v_lshl_add_u64 v[14:15], s[0:1], 0, v[18:19]
	s_ashr_i32 s3, s9, 31
	s_mov_b32 s2, s9
	v_lshl_add_u64 v[16:17], s[2:3], 4, v[14:15]
	global_load_dwordx4 v[2:5], v18, s[0:1]
	global_load_dwordx4 v[6:9], v[16:17], off
	s_cmpk_eq_i32 s5, 0x84
	s_cselect_b64 s[0:1], -1, 0
	s_and_b64 vcc, exec, s[0:1]
	s_waitcnt vmcnt(1)
	scratch_store_dwordx4 off, v[2:5], off
	s_waitcnt vmcnt(1)
	scratch_store_dwordx4 off, v[6:9], off offset:16
	s_cbranch_vccnz .LBB1_7
; %bb.2:
	scratch_load_dwordx4 v[2:5], v18, off
                                        ; implicit-def: $vgpr10_vgpr11
	s_waitcnt vmcnt(0)
	v_xor_b32_e32 v7, 0x80000000, v3
	v_cmp_gt_f64_e32 vcc, 0, v[2:3]
	v_xor_b32_e32 v8, 0x80000000, v5
	v_mov_b32_e32 v6, v2
	v_cndmask_b32_e32 v7, v3, v7, vcc
	v_cmp_gt_f64_e32 vcc, 0, v[4:5]
	s_nop 1
	v_cndmask_b32_e32 v9, v5, v8, vcc
	v_mov_b32_e32 v8, v4
	v_cmp_ngt_f64_e32 vcc, v[6:7], v[8:9]
                                        ; implicit-def: $vgpr6_vgpr7
	s_and_saveexec_b64 s[2:3], vcc
	s_xor_b64 s[2:3], exec, s[2:3]
	s_cbranch_execz .LBB1_4
; %bb.3:
	v_div_scale_f64 v[6:7], s[6:7], v[4:5], v[4:5], v[2:3]
	v_rcp_f64_e32 v[8:9], v[6:7]
	v_div_scale_f64 v[10:11], vcc, v[2:3], v[4:5], v[2:3]
	v_fma_f64 v[12:13], -v[6:7], v[8:9], 1.0
	v_fmac_f64_e32 v[8:9], v[8:9], v[12:13]
	v_fma_f64 v[12:13], -v[6:7], v[8:9], 1.0
	v_fmac_f64_e32 v[8:9], v[8:9], v[12:13]
	v_mul_f64 v[12:13], v[10:11], v[8:9]
	v_fma_f64 v[6:7], -v[6:7], v[12:13], v[10:11]
	v_div_fmas_f64 v[6:7], v[6:7], v[8:9], v[12:13]
	v_div_fixup_f64 v[6:7], v[6:7], v[4:5], v[2:3]
	v_fmac_f64_e32 v[4:5], v[2:3], v[6:7]
	v_div_scale_f64 v[2:3], s[6:7], v[4:5], v[4:5], 1.0
	v_rcp_f64_e32 v[8:9], v[2:3]
	s_nop 0
	v_fma_f64 v[10:11], -v[2:3], v[8:9], 1.0
	v_fmac_f64_e32 v[8:9], v[8:9], v[10:11]
	v_fma_f64 v[10:11], -v[2:3], v[8:9], 1.0
	v_fmac_f64_e32 v[8:9], v[8:9], v[10:11]
	v_div_scale_f64 v[10:11], vcc, 1.0, v[4:5], 1.0
	v_mul_f64 v[12:13], v[10:11], v[8:9]
	v_fma_f64 v[2:3], -v[2:3], v[12:13], v[10:11]
	s_nop 1
	v_div_fmas_f64 v[2:3], v[2:3], v[8:9], v[12:13]
	v_div_fixup_f64 v[8:9], v[2:3], v[4:5], 1.0
	v_mul_f64 v[6:7], v[6:7], v[8:9]
	v_xor_b32_e32 v9, 0x80000000, v9
	v_xor_b32_e32 v11, 0x80000000, v7
	v_mov_b32_e32 v10, v6
                                        ; implicit-def: $vgpr2_vgpr3
.LBB1_4:
	s_or_saveexec_b64 s[2:3], s[2:3]
	v_add_u32_e32 v12, 0, v18
	s_xor_b64 exec, exec, s[2:3]
	s_cbranch_execz .LBB1_6
; %bb.5:
	v_div_scale_f64 v[6:7], s[6:7], v[2:3], v[2:3], v[4:5]
	v_rcp_f64_e32 v[8:9], v[6:7]
	v_div_scale_f64 v[10:11], vcc, v[4:5], v[2:3], v[4:5]
	v_fma_f64 v[20:21], -v[6:7], v[8:9], 1.0
	v_fmac_f64_e32 v[8:9], v[8:9], v[20:21]
	v_fma_f64 v[20:21], -v[6:7], v[8:9], 1.0
	v_fmac_f64_e32 v[8:9], v[8:9], v[20:21]
	v_mul_f64 v[20:21], v[10:11], v[8:9]
	v_fma_f64 v[6:7], -v[6:7], v[20:21], v[10:11]
	v_div_fmas_f64 v[6:7], v[6:7], v[8:9], v[20:21]
	v_div_fixup_f64 v[8:9], v[6:7], v[2:3], v[4:5]
	v_fmac_f64_e32 v[2:3], v[4:5], v[8:9]
	v_div_scale_f64 v[4:5], s[6:7], v[2:3], v[2:3], 1.0
	v_rcp_f64_e32 v[6:7], v[4:5]
	s_nop 0
	v_fma_f64 v[10:11], -v[4:5], v[6:7], 1.0
	v_fmac_f64_e32 v[6:7], v[6:7], v[10:11]
	v_fma_f64 v[10:11], -v[4:5], v[6:7], 1.0
	v_fmac_f64_e32 v[6:7], v[6:7], v[10:11]
	v_div_scale_f64 v[10:11], vcc, 1.0, v[2:3], 1.0
	v_mul_f64 v[20:21], v[10:11], v[6:7]
	v_fma_f64 v[4:5], -v[4:5], v[20:21], v[10:11]
	s_nop 1
	v_div_fmas_f64 v[4:5], v[4:5], v[6:7], v[20:21]
	v_div_fixup_f64 v[6:7], v[4:5], v[2:3], 1.0
	v_xor_b32_e32 v11, 0x80000000, v7
	v_mov_b32_e32 v10, v6
	v_mul_f64 v[8:9], v[8:9], -v[6:7]
.LBB1_6:
	s_or_b64 exec, exec, s[2:3]
	scratch_store_dwordx4 v12, v[6:9], off
	s_nop 1
	v_xor_b32_e32 v9, 0x80000000, v9
	s_branch .LBB1_8
.LBB1_7:
	s_nop 0
	v_mov_b64_e32 v[8:9], 0
	v_mov_b64_e32 v[10:11], -1.0
.LBB1_8:
	v_add_u32_e32 v1, 16, v1
	v_mov_b32_e32 v12, v8
	v_mov_b32_e32 v13, v9
	s_cmpk_lg_i32 s4, 0x79
	v_add_u32_e32 v4, 32, v18
	ds_write_b128 v18, v[10:13]
	s_cbranch_scc0 .LBB1_12
; %bb.9:
	scratch_load_dwordx4 v[6:9], off, off
	v_cmp_eq_u32_e32 vcc, 1, v0
	s_mov_b64 s[4:5], 0
	s_mov_b64 s[2:3], 0
                                        ; implicit-def: $vgpr2_vgpr3
                                        ; implicit-def: $vgpr5
	s_waitcnt vmcnt(0)
	ds_write_b128 v4, v[6:9]
	s_waitcnt lgkmcnt(0)
	; wave barrier
	s_waitcnt lgkmcnt(0)
	s_and_saveexec_b64 s[6:7], vcc
	s_xor_b64 s[6:7], exec, s[6:7]
	s_cbranch_execz .LBB1_11
; %bb.10:
	scratch_load_dwordx4 v[6:9], off, off offset:16
	ds_read_b128 v[10:13], v4
	v_mov_b32_e32 v3, 0
	ds_read_b128 v[18:21], v3
	v_mov_b32_e32 v2, 0
	v_or_b32_e32 v5, 8, v2
	s_mov_b64 s[2:3], exec
	s_waitcnt vmcnt(0) lgkmcnt(1)
	v_mul_f64 v[2:3], v[12:13], v[8:9]
	v_mul_f64 v[8:9], v[10:11], v[8:9]
	v_fmac_f64_e32 v[8:9], v[12:13], v[6:7]
	v_fma_f64 v[2:3], v[10:11], v[6:7], -v[2:3]
	v_cndmask_b32_e64 v7, v9, v13, s[0:1]
	v_cndmask_b32_e64 v6, v8, v12, s[0:1]
	;; [unrolled: 1-line block ×4, first 2 shown]
	s_waitcnt lgkmcnt(0)
	v_mul_f64 v[10:11], v[6:7], v[20:21]
	v_mul_f64 v[2:3], v[8:9], v[20:21]
	v_fma_f64 v[8:9], v[8:9], v[18:19], -v[10:11]
	v_fmac_f64_e32 v[2:3], v[6:7], v[18:19]
	scratch_store_dwordx2 off, v[8:9], off
.LBB1_11:
	s_or_b64 exec, exec, s[6:7]
	s_and_b64 vcc, exec, s[4:5]
	s_cbranch_vccnz .LBB1_13
	s_branch .LBB1_16
.LBB1_12:
	s_mov_b64 s[2:3], 0
                                        ; implicit-def: $vgpr2_vgpr3
                                        ; implicit-def: $vgpr5
	s_cbranch_execz .LBB1_16
.LBB1_13:
	scratch_load_dwordx4 v[6:9], v1, off
	v_cmp_eq_u32_e32 vcc, 0, v0
                                        ; implicit-def: $vgpr2_vgpr3
                                        ; implicit-def: $vgpr5
	s_waitcnt vmcnt(0)
	ds_write_b128 v4, v[6:9]
	s_waitcnt lgkmcnt(0)
	; wave barrier
	s_waitcnt lgkmcnt(0)
	s_and_saveexec_b64 s[4:5], vcc
	s_cbranch_execz .LBB1_15
; %bb.14:
	scratch_load_dwordx4 v[6:9], off, off
	ds_read_b128 v[10:13], v4
	v_mov_b32_e32 v2, 0
	ds_read_b128 v[18:21], v2 offset:16
	v_mov_b32_e32 v0, 0
	v_add_u32_e32 v5, 24, v0
	s_or_b64 s[2:3], s[2:3], exec
	s_waitcnt vmcnt(0) lgkmcnt(1)
	v_mul_f64 v[2:3], v[12:13], v[8:9]
	v_mul_f64 v[8:9], v[10:11], v[8:9]
	v_fmac_f64_e32 v[8:9], v[12:13], v[6:7]
	v_fma_f64 v[2:3], v[10:11], v[6:7], -v[2:3]
	v_cndmask_b32_e64 v9, v9, v13, s[0:1]
	v_cndmask_b32_e64 v8, v8, v12, s[0:1]
	;; [unrolled: 1-line block ×4, first 2 shown]
	s_waitcnt lgkmcnt(0)
	v_mul_f64 v[10:11], v[8:9], v[20:21]
	v_mul_f64 v[2:3], v[6:7], v[20:21]
	v_fma_f64 v[6:7], v[6:7], v[18:19], -v[10:11]
	v_fmac_f64_e32 v[2:3], v[8:9], v[18:19]
	scratch_store_dwordx2 off, v[6:7], off offset:16
.LBB1_15:
	s_or_b64 exec, exec, s[4:5]
.LBB1_16:
	s_and_saveexec_b64 s[0:1], s[2:3]
	s_cbranch_execz .LBB1_18
; %bb.17:
	scratch_store_dwordx2 v5, v[2:3], off
.LBB1_18:
	s_or_b64 exec, exec, s[0:1]
	scratch_load_dwordx4 v[2:5], off, off
	scratch_load_dwordx4 v[6:9], v1, off
	s_waitcnt vmcnt(1)
	global_store_dwordx4 v[14:15], v[2:5], off
	s_waitcnt vmcnt(1)
	global_store_dwordx4 v[16:17], v[6:9], off
.LBB1_19:
	s_endpgm
	.section	.rodata,"a",@progbits
	.p2align	6, 0x0
	.amdhsa_kernel _ZN9rocsolver6v33100L18trti2_kernel_smallILi2E19rocblas_complex_numIdEPS3_EEv13rocblas_fill_17rocblas_diagonal_T1_iil
		.amdhsa_group_segment_fixed_size 64
		.amdhsa_private_segment_fixed_size 48
		.amdhsa_kernarg_size 32
		.amdhsa_user_sgpr_count 2
		.amdhsa_user_sgpr_dispatch_ptr 0
		.amdhsa_user_sgpr_queue_ptr 0
		.amdhsa_user_sgpr_kernarg_segment_ptr 1
		.amdhsa_user_sgpr_dispatch_id 0
		.amdhsa_user_sgpr_kernarg_preload_length 0
		.amdhsa_user_sgpr_kernarg_preload_offset 0
		.amdhsa_user_sgpr_private_segment_size 0
		.amdhsa_uses_dynamic_stack 0
		.amdhsa_enable_private_segment 1
		.amdhsa_system_sgpr_workgroup_id_x 1
		.amdhsa_system_sgpr_workgroup_id_y 0
		.amdhsa_system_sgpr_workgroup_id_z 0
		.amdhsa_system_sgpr_workgroup_info 0
		.amdhsa_system_vgpr_workitem_id 0
		.amdhsa_next_free_vgpr 22
		.amdhsa_next_free_sgpr 12
		.amdhsa_accum_offset 24
		.amdhsa_reserve_vcc 1
		.amdhsa_float_round_mode_32 0
		.amdhsa_float_round_mode_16_64 0
		.amdhsa_float_denorm_mode_32 3
		.amdhsa_float_denorm_mode_16_64 3
		.amdhsa_dx10_clamp 1
		.amdhsa_ieee_mode 1
		.amdhsa_fp16_overflow 0
		.amdhsa_tg_split 0
		.amdhsa_exception_fp_ieee_invalid_op 0
		.amdhsa_exception_fp_denorm_src 0
		.amdhsa_exception_fp_ieee_div_zero 0
		.amdhsa_exception_fp_ieee_overflow 0
		.amdhsa_exception_fp_ieee_underflow 0
		.amdhsa_exception_fp_ieee_inexact 0
		.amdhsa_exception_int_div_zero 0
	.end_amdhsa_kernel
	.section	.text._ZN9rocsolver6v33100L18trti2_kernel_smallILi2E19rocblas_complex_numIdEPS3_EEv13rocblas_fill_17rocblas_diagonal_T1_iil,"axG",@progbits,_ZN9rocsolver6v33100L18trti2_kernel_smallILi2E19rocblas_complex_numIdEPS3_EEv13rocblas_fill_17rocblas_diagonal_T1_iil,comdat
.Lfunc_end1:
	.size	_ZN9rocsolver6v33100L18trti2_kernel_smallILi2E19rocblas_complex_numIdEPS3_EEv13rocblas_fill_17rocblas_diagonal_T1_iil, .Lfunc_end1-_ZN9rocsolver6v33100L18trti2_kernel_smallILi2E19rocblas_complex_numIdEPS3_EEv13rocblas_fill_17rocblas_diagonal_T1_iil
                                        ; -- End function
	.section	.AMDGPU.csdata,"",@progbits
; Kernel info:
; codeLenInByte = 1184
; NumSgprs: 18
; NumVgprs: 22
; NumAgprs: 0
; TotalNumVgprs: 22
; ScratchSize: 48
; MemoryBound: 0
; FloatMode: 240
; IeeeMode: 1
; LDSByteSize: 64 bytes/workgroup (compile time only)
; SGPRBlocks: 2
; VGPRBlocks: 2
; NumSGPRsForWavesPerEU: 18
; NumVGPRsForWavesPerEU: 22
; AccumOffset: 24
; Occupancy: 8
; WaveLimiterHint : 0
; COMPUTE_PGM_RSRC2:SCRATCH_EN: 1
; COMPUTE_PGM_RSRC2:USER_SGPR: 2
; COMPUTE_PGM_RSRC2:TRAP_HANDLER: 0
; COMPUTE_PGM_RSRC2:TGID_X_EN: 1
; COMPUTE_PGM_RSRC2:TGID_Y_EN: 0
; COMPUTE_PGM_RSRC2:TGID_Z_EN: 0
; COMPUTE_PGM_RSRC2:TIDIG_COMP_CNT: 0
; COMPUTE_PGM_RSRC3_GFX90A:ACCUM_OFFSET: 5
; COMPUTE_PGM_RSRC3_GFX90A:TG_SPLIT: 0
	.section	.text._ZN9rocsolver6v33100L18trti2_kernel_smallILi3E19rocblas_complex_numIdEPS3_EEv13rocblas_fill_17rocblas_diagonal_T1_iil,"axG",@progbits,_ZN9rocsolver6v33100L18trti2_kernel_smallILi3E19rocblas_complex_numIdEPS3_EEv13rocblas_fill_17rocblas_diagonal_T1_iil,comdat
	.globl	_ZN9rocsolver6v33100L18trti2_kernel_smallILi3E19rocblas_complex_numIdEPS3_EEv13rocblas_fill_17rocblas_diagonal_T1_iil ; -- Begin function _ZN9rocsolver6v33100L18trti2_kernel_smallILi3E19rocblas_complex_numIdEPS3_EEv13rocblas_fill_17rocblas_diagonal_T1_iil
	.p2align	8
	.type	_ZN9rocsolver6v33100L18trti2_kernel_smallILi3E19rocblas_complex_numIdEPS3_EEv13rocblas_fill_17rocblas_diagonal_T1_iil,@function
_ZN9rocsolver6v33100L18trti2_kernel_smallILi3E19rocblas_complex_numIdEPS3_EEv13rocblas_fill_17rocblas_diagonal_T1_iil: ; @_ZN9rocsolver6v33100L18trti2_kernel_smallILi3E19rocblas_complex_numIdEPS3_EEv13rocblas_fill_17rocblas_diagonal_T1_iil
; %bb.0:
	v_cmp_gt_u32_e32 vcc, 3, v0
	s_and_saveexec_b64 s[4:5], vcc
	s_cbranch_execz .LBB2_35
; %bb.1:
	s_load_dwordx8 s[4:11], s[0:1], 0x0
	s_ashr_i32 s3, s2, 31
	v_lshlrev_b32_e32 v20, 4, v0
	v_mov_b32_e32 v21, 0
	v_mov_b32_e32 v1, 0
	s_waitcnt lgkmcnt(0)
	s_ashr_i32 s1, s8, 31
	s_mov_b32 s0, s8
	s_mul_i32 s8, s2, s11
	s_mul_hi_u32 s11, s2, s10
	s_add_i32 s8, s11, s8
	s_mul_i32 s3, s3, s10
	s_add_i32 s3, s8, s3
	s_mul_i32 s2, s2, s10
	s_lshl_b64 s[2:3], s[2:3], 4
	s_add_u32 s2, s6, s2
	s_addc_u32 s3, s7, s3
	s_lshl_b64 s[0:1], s[0:1], 4
	s_add_u32 s0, s2, s0
	s_addc_u32 s1, s3, s1
	v_lshl_add_u64 v[14:15], s[0:1], 0, v[20:21]
	s_ashr_i32 s3, s9, 31
	s_mov_b32 s2, s9
	v_lshl_add_u64 v[16:17], s[2:3], 4, v[14:15]
	s_add_i32 s2, s9, s9
	v_add_u32_e32 v10, s2, v0
	v_ashrrev_i32_e32 v11, 31, v10
	v_lshl_add_u64 v[18:19], v[10:11], 4, s[0:1]
	global_load_dwordx4 v[2:5], v20, s[0:1]
	global_load_dwordx4 v[6:9], v[16:17], off
	global_load_dwordx4 v[10:13], v[18:19], off
	s_cmpk_lg_i32 s5, 0x84
	s_cselect_b64 s[2:3], -1, 0
	s_cmpk_eq_i32 s5, 0x84
	s_waitcnt vmcnt(2)
	scratch_store_dwordx4 off, v[2:5], off
	s_waitcnt vmcnt(2)
	scratch_store_dwordx4 off, v[6:9], off offset:16
	s_waitcnt vmcnt(2)
	scratch_store_dwordx4 off, v[10:13], off offset:32
	s_cbranch_scc1 .LBB2_7
; %bb.2:
	scratch_load_dwordx4 v[2:5], v20, off
                                        ; implicit-def: $vgpr10_vgpr11
	s_waitcnt vmcnt(0)
	v_xor_b32_e32 v7, 0x80000000, v3
	v_cmp_gt_f64_e32 vcc, 0, v[2:3]
	v_xor_b32_e32 v8, 0x80000000, v5
	v_mov_b32_e32 v6, v2
	v_cndmask_b32_e32 v7, v3, v7, vcc
	v_cmp_gt_f64_e32 vcc, 0, v[4:5]
	s_nop 1
	v_cndmask_b32_e32 v9, v5, v8, vcc
	v_mov_b32_e32 v8, v4
	v_cmp_ngt_f64_e32 vcc, v[6:7], v[8:9]
                                        ; implicit-def: $vgpr6_vgpr7
	s_and_saveexec_b64 s[0:1], vcc
	s_xor_b64 s[0:1], exec, s[0:1]
	s_cbranch_execz .LBB2_4
; %bb.3:
	v_div_scale_f64 v[6:7], s[6:7], v[4:5], v[4:5], v[2:3]
	v_rcp_f64_e32 v[8:9], v[6:7]
	v_div_scale_f64 v[10:11], vcc, v[2:3], v[4:5], v[2:3]
	v_fma_f64 v[12:13], -v[6:7], v[8:9], 1.0
	v_fmac_f64_e32 v[8:9], v[8:9], v[12:13]
	v_fma_f64 v[12:13], -v[6:7], v[8:9], 1.0
	v_fmac_f64_e32 v[8:9], v[8:9], v[12:13]
	v_mul_f64 v[12:13], v[10:11], v[8:9]
	v_fma_f64 v[6:7], -v[6:7], v[12:13], v[10:11]
	v_div_fmas_f64 v[6:7], v[6:7], v[8:9], v[12:13]
	v_div_fixup_f64 v[6:7], v[6:7], v[4:5], v[2:3]
	v_fmac_f64_e32 v[4:5], v[2:3], v[6:7]
	v_div_scale_f64 v[2:3], s[6:7], v[4:5], v[4:5], 1.0
	v_rcp_f64_e32 v[8:9], v[2:3]
	s_nop 0
	v_fma_f64 v[10:11], -v[2:3], v[8:9], 1.0
	v_fmac_f64_e32 v[8:9], v[8:9], v[10:11]
	v_fma_f64 v[10:11], -v[2:3], v[8:9], 1.0
	v_fmac_f64_e32 v[8:9], v[8:9], v[10:11]
	v_div_scale_f64 v[10:11], vcc, 1.0, v[4:5], 1.0
	v_mul_f64 v[12:13], v[10:11], v[8:9]
	v_fma_f64 v[2:3], -v[2:3], v[12:13], v[10:11]
	s_nop 1
	v_div_fmas_f64 v[2:3], v[2:3], v[8:9], v[12:13]
	v_div_fixup_f64 v[8:9], v[2:3], v[4:5], 1.0
	v_mul_f64 v[6:7], v[6:7], v[8:9]
	v_xor_b32_e32 v9, 0x80000000, v9
	v_xor_b32_e32 v11, 0x80000000, v7
	v_mov_b32_e32 v10, v6
                                        ; implicit-def: $vgpr2_vgpr3
.LBB2_4:
	s_or_saveexec_b64 s[0:1], s[0:1]
	v_add_u32_e32 v12, 0, v20
	s_xor_b64 exec, exec, s[0:1]
	s_cbranch_execz .LBB2_6
; %bb.5:
	v_div_scale_f64 v[6:7], s[6:7], v[2:3], v[2:3], v[4:5]
	v_rcp_f64_e32 v[8:9], v[6:7]
	v_div_scale_f64 v[10:11], vcc, v[4:5], v[2:3], v[4:5]
	v_fma_f64 v[22:23], -v[6:7], v[8:9], 1.0
	v_fmac_f64_e32 v[8:9], v[8:9], v[22:23]
	v_fma_f64 v[22:23], -v[6:7], v[8:9], 1.0
	v_fmac_f64_e32 v[8:9], v[8:9], v[22:23]
	v_mul_f64 v[22:23], v[10:11], v[8:9]
	v_fma_f64 v[6:7], -v[6:7], v[22:23], v[10:11]
	v_div_fmas_f64 v[6:7], v[6:7], v[8:9], v[22:23]
	v_div_fixup_f64 v[8:9], v[6:7], v[2:3], v[4:5]
	v_fmac_f64_e32 v[2:3], v[4:5], v[8:9]
	v_div_scale_f64 v[4:5], s[6:7], v[2:3], v[2:3], 1.0
	v_rcp_f64_e32 v[6:7], v[4:5]
	s_nop 0
	v_fma_f64 v[10:11], -v[4:5], v[6:7], 1.0
	v_fmac_f64_e32 v[6:7], v[6:7], v[10:11]
	v_fma_f64 v[10:11], -v[4:5], v[6:7], 1.0
	v_fmac_f64_e32 v[6:7], v[6:7], v[10:11]
	v_div_scale_f64 v[10:11], vcc, 1.0, v[2:3], 1.0
	v_mul_f64 v[22:23], v[10:11], v[6:7]
	v_fma_f64 v[4:5], -v[4:5], v[22:23], v[10:11]
	s_nop 1
	v_div_fmas_f64 v[4:5], v[4:5], v[6:7], v[22:23]
	v_div_fixup_f64 v[6:7], v[4:5], v[2:3], 1.0
	v_xor_b32_e32 v11, 0x80000000, v7
	v_mov_b32_e32 v10, v6
	v_mul_f64 v[8:9], v[8:9], -v[6:7]
.LBB2_6:
	s_or_b64 exec, exec, s[0:1]
	scratch_store_dwordx4 v12, v[6:9], off
	s_nop 1
	v_xor_b32_e32 v9, 0x80000000, v9
	s_branch .LBB2_8
.LBB2_7:
	v_mov_b64_e32 v[8:9], 0
	v_mov_b64_e32 v[10:11], -1.0
.LBB2_8:
	v_add_u32_e32 v22, 16, v1
	scratch_load_dwordx4 v[2:5], v22, off
	v_add_u32_e32 v21, 32, v1
	v_mov_b32_e32 v12, v8
	v_mov_b32_e32 v13, v9
	s_cmpk_eq_i32 s4, 0x79
	v_add_u32_e32 v8, 48, v20
	v_add_u32_e32 v9, 0, v20
	ds_write_b128 v20, v[10:13]
	s_waitcnt vmcnt(0)
	ds_write_b128 v20, v[2:5] offset:48
	s_waitcnt lgkmcnt(0)
	s_cbranch_scc1 .LBB2_20
; %bb.9:
	v_cmp_eq_u32_e64 s[0:1], 2, v0
	; wave barrier
	s_and_saveexec_b64 s[4:5], s[0:1]
	s_cbranch_execz .LBB2_13
; %bb.10:
	ds_read_b128 v[2:5], v8
	s_andn2_b64 vcc, exec, s[2:3]
	s_cbranch_vccnz .LBB2_12
; %bb.11:
	scratch_load_dwordx4 v[10:13], v9, off
	s_waitcnt vmcnt(0) lgkmcnt(0)
	v_mul_f64 v[6:7], v[4:5], v[12:13]
	v_mul_f64 v[12:13], v[2:3], v[12:13]
	v_fmac_f64_e32 v[12:13], v[4:5], v[10:11]
	v_fma_f64 v[2:3], v[2:3], v[10:11], -v[6:7]
	v_mov_b64_e32 v[4:5], v[12:13]
.LBB2_12:
	v_mov_b32_e32 v1, 0
	ds_read_b128 v[10:13], v1 offset:16
	s_waitcnt lgkmcnt(0)
	v_mul_f64 v[6:7], v[4:5], v[12:13]
	v_mul_f64 v[26:27], v[2:3], v[12:13]
	v_fma_f64 v[24:25], v[2:3], v[10:11], -v[6:7]
	v_fmac_f64_e32 v[26:27], v[4:5], v[10:11]
	scratch_store_dwordx4 off, v[24:27], off offset:16
.LBB2_13:
	s_or_b64 exec, exec, s[4:5]
	scratch_load_dwordx4 v[2:5], off, off
	v_cmp_ne_u32_e32 vcc, 0, v0
	s_mov_b64 s[6:7], 0
	s_mov_b64 s[4:5], 0
                                        ; implicit-def: $vgpr6_vgpr7
                                        ; implicit-def: $vgpr10
	s_waitcnt vmcnt(0)
	ds_write_b128 v8, v[2:5]
	s_waitcnt lgkmcnt(0)
	; wave barrier
	s_waitcnt lgkmcnt(0)
	s_and_saveexec_b64 s[8:9], vcc
	s_cbranch_execz .LBB2_19
; %bb.14:
	ds_read_b128 v[2:5], v8
	s_andn2_b64 vcc, exec, s[2:3]
	s_cbranch_vccnz .LBB2_16
; %bb.15:
	scratch_load_dwordx4 v[10:13], v9, off
	s_waitcnt vmcnt(0) lgkmcnt(0)
	v_mul_f64 v[6:7], v[4:5], v[12:13]
	v_mul_f64 v[12:13], v[2:3], v[12:13]
	v_fmac_f64_e32 v[12:13], v[4:5], v[10:11]
	v_fma_f64 v[2:3], v[2:3], v[10:11], -v[6:7]
	v_mov_b64_e32 v[4:5], v[12:13]
.LBB2_16:
	s_and_saveexec_b64 s[4:5], s[0:1]
	s_cbranch_execz .LBB2_18
; %bb.17:
	scratch_load_dwordx4 v[10:13], off, off offset:16
	v_mov_b32_e32 v1, 0
	ds_read_b128 v[24:27], v1 offset:64
	s_waitcnt vmcnt(0) lgkmcnt(0)
	v_mul_f64 v[6:7], v[26:27], v[12:13]
	v_mul_f64 v[12:13], v[24:25], v[12:13]
	v_fma_f64 v[6:7], v[24:25], v[10:11], -v[6:7]
	v_fmac_f64_e32 v[12:13], v[26:27], v[10:11]
	v_add_f64 v[2:3], v[2:3], v[6:7]
	v_add_f64 v[4:5], v[4:5], v[12:13]
.LBB2_18:
	s_or_b64 exec, exec, s[4:5]
	v_mov_b32_e32 v1, 0
	ds_read_b128 v[24:27], v1
	v_mov_b32_e32 v1, 0
	s_mov_b64 s[4:5], exec
	v_or_b32_e32 v10, 8, v1
	s_waitcnt lgkmcnt(0)
	v_mul_f64 v[12:13], v[4:5], v[26:27]
	v_mul_f64 v[6:7], v[2:3], v[26:27]
	v_fma_f64 v[2:3], v[2:3], v[24:25], -v[12:13]
	v_fmac_f64_e32 v[6:7], v[4:5], v[24:25]
	scratch_store_dwordx2 off, v[2:3], off
.LBB2_19:
	s_or_b64 exec, exec, s[8:9]
	s_and_b64 vcc, exec, s[6:7]
	s_cbranch_vccnz .LBB2_21
	s_branch .LBB2_32
.LBB2_20:
	s_mov_b64 s[4:5], 0
                                        ; implicit-def: $vgpr6_vgpr7
                                        ; implicit-def: $vgpr10
	s_cbranch_execz .LBB2_32
.LBB2_21:
	v_cndmask_b32_e64 v1, 0, 1, s[2:3]
	v_cmp_eq_u32_e64 s[0:1], 0, v0
	v_cmp_ne_u32_e64 s[2:3], 1, v1
	; wave barrier
	s_and_saveexec_b64 s[6:7], s[0:1]
	s_cbranch_execz .LBB2_25
; %bb.22:
	ds_read_b128 v[2:5], v8
	s_and_b64 vcc, exec, s[2:3]
	s_cbranch_vccnz .LBB2_24
; %bb.23:
	scratch_load_dwordx4 v[10:13], v9, off
	s_waitcnt vmcnt(0) lgkmcnt(0)
	v_mul_f64 v[6:7], v[4:5], v[12:13]
	v_mul_f64 v[12:13], v[2:3], v[12:13]
	v_fmac_f64_e32 v[12:13], v[4:5], v[10:11]
	v_fma_f64 v[2:3], v[2:3], v[10:11], -v[6:7]
	v_mov_b64_e32 v[4:5], v[12:13]
.LBB2_24:
	v_mov_b32_e32 v1, 0
	ds_read_b128 v[10:13], v1 offset:16
	s_waitcnt lgkmcnt(0)
	v_mul_f64 v[6:7], v[4:5], v[12:13]
	v_mul_f64 v[26:27], v[2:3], v[12:13]
	v_fma_f64 v[24:25], v[2:3], v[10:11], -v[6:7]
	v_fmac_f64_e32 v[26:27], v[4:5], v[10:11]
	scratch_store_dwordx4 off, v[24:27], off offset:16
.LBB2_25:
	s_or_b64 exec, exec, s[6:7]
	scratch_load_dwordx4 v[2:5], v21, off
	v_cmp_ne_u32_e32 vcc, 2, v0
                                        ; implicit-def: $vgpr6_vgpr7
                                        ; implicit-def: $vgpr10
	s_waitcnt vmcnt(0)
	ds_write_b128 v8, v[2:5]
	s_waitcnt lgkmcnt(0)
	; wave barrier
	s_waitcnt lgkmcnt(0)
	s_and_saveexec_b64 s[6:7], vcc
	s_cbranch_execz .LBB2_31
; %bb.26:
	ds_read_b128 v[0:3], v8
	s_and_b64 vcc, exec, s[2:3]
	s_cbranch_vccnz .LBB2_28
; %bb.27:
	scratch_load_dwordx4 v[4:7], v9, off
	s_waitcnt vmcnt(0) lgkmcnt(0)
	v_mul_f64 v[10:11], v[2:3], v[6:7]
	v_mul_f64 v[6:7], v[0:1], v[6:7]
	v_fmac_f64_e32 v[6:7], v[2:3], v[4:5]
	v_fma_f64 v[0:1], v[0:1], v[4:5], -v[10:11]
	v_mov_b64_e32 v[2:3], v[6:7]
.LBB2_28:
	s_and_saveexec_b64 s[2:3], s[0:1]
	s_cbranch_execz .LBB2_30
; %bb.29:
	scratch_load_dwordx4 v[4:7], v9, off offset:16
	ds_read_b128 v[8:11], v8 offset:16
	s_waitcnt vmcnt(0) lgkmcnt(0)
	v_mul_f64 v[12:13], v[10:11], v[6:7]
	v_mul_f64 v[6:7], v[8:9], v[6:7]
	v_fma_f64 v[8:9], v[8:9], v[4:5], -v[12:13]
	v_fmac_f64_e32 v[6:7], v[10:11], v[4:5]
	v_add_f64 v[0:1], v[0:1], v[8:9]
	v_add_f64 v[2:3], v[2:3], v[6:7]
.LBB2_30:
	s_or_b64 exec, exec, s[2:3]
	v_mov_b32_e32 v4, 0
	ds_read_b128 v[4:7], v4 offset:32
	v_mov_b32_e32 v8, 0
	v_add_u32_e32 v10, 40, v8
	s_or_b64 s[4:5], s[4:5], exec
	s_waitcnt lgkmcnt(0)
	v_mul_f64 v[8:9], v[2:3], v[6:7]
	v_mul_f64 v[6:7], v[0:1], v[6:7]
	v_fma_f64 v[0:1], v[0:1], v[4:5], -v[8:9]
	v_fmac_f64_e32 v[6:7], v[2:3], v[4:5]
	scratch_store_dwordx2 off, v[0:1], off offset:32
.LBB2_31:
	s_or_b64 exec, exec, s[6:7]
.LBB2_32:
	s_and_saveexec_b64 s[0:1], s[4:5]
	s_cbranch_execz .LBB2_34
; %bb.33:
	scratch_store_dwordx2 v10, v[6:7], off
.LBB2_34:
	s_or_b64 exec, exec, s[0:1]
	scratch_load_dwordx4 v[0:3], off, off
	scratch_load_dwordx4 v[4:7], v22, off
	scratch_load_dwordx4 v[8:11], v21, off
	s_waitcnt vmcnt(2)
	global_store_dwordx4 v[14:15], v[0:3], off
	s_waitcnt vmcnt(2)
	global_store_dwordx4 v[16:17], v[4:7], off
	;; [unrolled: 2-line block ×3, first 2 shown]
.LBB2_35:
	s_endpgm
	.section	.rodata,"a",@progbits
	.p2align	6, 0x0
	.amdhsa_kernel _ZN9rocsolver6v33100L18trti2_kernel_smallILi3E19rocblas_complex_numIdEPS3_EEv13rocblas_fill_17rocblas_diagonal_T1_iil
		.amdhsa_group_segment_fixed_size 96
		.amdhsa_private_segment_fixed_size 64
		.amdhsa_kernarg_size 32
		.amdhsa_user_sgpr_count 2
		.amdhsa_user_sgpr_dispatch_ptr 0
		.amdhsa_user_sgpr_queue_ptr 0
		.amdhsa_user_sgpr_kernarg_segment_ptr 1
		.amdhsa_user_sgpr_dispatch_id 0
		.amdhsa_user_sgpr_kernarg_preload_length 0
		.amdhsa_user_sgpr_kernarg_preload_offset 0
		.amdhsa_user_sgpr_private_segment_size 0
		.amdhsa_uses_dynamic_stack 0
		.amdhsa_enable_private_segment 1
		.amdhsa_system_sgpr_workgroup_id_x 1
		.amdhsa_system_sgpr_workgroup_id_y 0
		.amdhsa_system_sgpr_workgroup_id_z 0
		.amdhsa_system_sgpr_workgroup_info 0
		.amdhsa_system_vgpr_workitem_id 0
		.amdhsa_next_free_vgpr 28
		.amdhsa_next_free_sgpr 12
		.amdhsa_accum_offset 28
		.amdhsa_reserve_vcc 1
		.amdhsa_float_round_mode_32 0
		.amdhsa_float_round_mode_16_64 0
		.amdhsa_float_denorm_mode_32 3
		.amdhsa_float_denorm_mode_16_64 3
		.amdhsa_dx10_clamp 1
		.amdhsa_ieee_mode 1
		.amdhsa_fp16_overflow 0
		.amdhsa_tg_split 0
		.amdhsa_exception_fp_ieee_invalid_op 0
		.amdhsa_exception_fp_denorm_src 0
		.amdhsa_exception_fp_ieee_div_zero 0
		.amdhsa_exception_fp_ieee_overflow 0
		.amdhsa_exception_fp_ieee_underflow 0
		.amdhsa_exception_fp_ieee_inexact 0
		.amdhsa_exception_int_div_zero 0
	.end_amdhsa_kernel
	.section	.text._ZN9rocsolver6v33100L18trti2_kernel_smallILi3E19rocblas_complex_numIdEPS3_EEv13rocblas_fill_17rocblas_diagonal_T1_iil,"axG",@progbits,_ZN9rocsolver6v33100L18trti2_kernel_smallILi3E19rocblas_complex_numIdEPS3_EEv13rocblas_fill_17rocblas_diagonal_T1_iil,comdat
.Lfunc_end2:
	.size	_ZN9rocsolver6v33100L18trti2_kernel_smallILi3E19rocblas_complex_numIdEPS3_EEv13rocblas_fill_17rocblas_diagonal_T1_iil, .Lfunc_end2-_ZN9rocsolver6v33100L18trti2_kernel_smallILi3E19rocblas_complex_numIdEPS3_EEv13rocblas_fill_17rocblas_diagonal_T1_iil
                                        ; -- End function
	.section	.AMDGPU.csdata,"",@progbits
; Kernel info:
; codeLenInByte = 1664
; NumSgprs: 18
; NumVgprs: 28
; NumAgprs: 0
; TotalNumVgprs: 28
; ScratchSize: 64
; MemoryBound: 0
; FloatMode: 240
; IeeeMode: 1
; LDSByteSize: 96 bytes/workgroup (compile time only)
; SGPRBlocks: 2
; VGPRBlocks: 3
; NumSGPRsForWavesPerEU: 18
; NumVGPRsForWavesPerEU: 28
; AccumOffset: 28
; Occupancy: 8
; WaveLimiterHint : 0
; COMPUTE_PGM_RSRC2:SCRATCH_EN: 1
; COMPUTE_PGM_RSRC2:USER_SGPR: 2
; COMPUTE_PGM_RSRC2:TRAP_HANDLER: 0
; COMPUTE_PGM_RSRC2:TGID_X_EN: 1
; COMPUTE_PGM_RSRC2:TGID_Y_EN: 0
; COMPUTE_PGM_RSRC2:TGID_Z_EN: 0
; COMPUTE_PGM_RSRC2:TIDIG_COMP_CNT: 0
; COMPUTE_PGM_RSRC3_GFX90A:ACCUM_OFFSET: 6
; COMPUTE_PGM_RSRC3_GFX90A:TG_SPLIT: 0
	.section	.text._ZN9rocsolver6v33100L18trti2_kernel_smallILi4E19rocblas_complex_numIdEPS3_EEv13rocblas_fill_17rocblas_diagonal_T1_iil,"axG",@progbits,_ZN9rocsolver6v33100L18trti2_kernel_smallILi4E19rocblas_complex_numIdEPS3_EEv13rocblas_fill_17rocblas_diagonal_T1_iil,comdat
	.globl	_ZN9rocsolver6v33100L18trti2_kernel_smallILi4E19rocblas_complex_numIdEPS3_EEv13rocblas_fill_17rocblas_diagonal_T1_iil ; -- Begin function _ZN9rocsolver6v33100L18trti2_kernel_smallILi4E19rocblas_complex_numIdEPS3_EEv13rocblas_fill_17rocblas_diagonal_T1_iil
	.p2align	8
	.type	_ZN9rocsolver6v33100L18trti2_kernel_smallILi4E19rocblas_complex_numIdEPS3_EEv13rocblas_fill_17rocblas_diagonal_T1_iil,@function
_ZN9rocsolver6v33100L18trti2_kernel_smallILi4E19rocblas_complex_numIdEPS3_EEv13rocblas_fill_17rocblas_diagonal_T1_iil: ; @_ZN9rocsolver6v33100L18trti2_kernel_smallILi4E19rocblas_complex_numIdEPS3_EEv13rocblas_fill_17rocblas_diagonal_T1_iil
; %bb.0:
	v_cmp_gt_u32_e32 vcc, 4, v0
	s_and_saveexec_b64 s[4:5], vcc
	s_cbranch_execz .LBB3_51
; %bb.1:
	s_load_dwordx8 s[4:11], s[0:1], 0x0
	s_ashr_i32 s3, s2, 31
	v_lshlrev_b32_e32 v22, 4, v0
	v_mov_b32_e32 v23, 0
	v_mov_b32_e32 v1, 0
	s_waitcnt lgkmcnt(0)
	s_ashr_i32 s1, s8, 31
	s_mov_b32 s0, s8
	s_mul_i32 s8, s2, s11
	s_mul_hi_u32 s11, s2, s10
	s_add_i32 s8, s11, s8
	s_mul_i32 s3, s3, s10
	s_add_i32 s3, s8, s3
	s_mul_i32 s2, s2, s10
	s_lshl_b64 s[2:3], s[2:3], 4
	s_add_u32 s2, s6, s2
	s_addc_u32 s3, s7, s3
	s_lshl_b64 s[0:1], s[0:1], 4
	s_add_u32 s0, s2, s0
	s_addc_u32 s1, s3, s1
	v_lshl_add_u64 v[14:15], s[0:1], 0, v[22:23]
	s_ashr_i32 s3, s9, 31
	s_mov_b32 s2, s9
	v_lshl_add_u64 v[16:17], s[2:3], 4, v[14:15]
	s_add_i32 s2, s9, s9
	v_add_u32_e32 v20, s2, v0
	v_ashrrev_i32_e32 v21, 31, v20
	v_lshl_add_u64 v[18:19], v[20:21], 4, s[0:1]
	v_add_u32_e32 v20, s9, v20
	v_ashrrev_i32_e32 v21, 31, v20
	v_lshl_add_u64 v[20:21], v[20:21], 4, s[0:1]
	global_load_dwordx4 v[2:5], v[16:17], off
	global_load_dwordx4 v[6:9], v[18:19], off
	global_load_dwordx4 v[10:13], v22, s[0:1]
	global_load_dwordx4 v[24:27], v[20:21], off
	s_cmpk_lg_i32 s5, 0x84
	s_cselect_b64 s[6:7], -1, 0
	s_cmpk_eq_i32 s5, 0x84
	s_waitcnt vmcnt(1)
	scratch_store_dwordx4 off, v[10:13], off
	scratch_store_dwordx4 off, v[2:5], off offset:16
	scratch_store_dwordx4 off, v[6:9], off offset:32
	s_waitcnt vmcnt(3)
	scratch_store_dwordx4 off, v[24:27], off offset:48
	s_cbranch_scc1 .LBB3_7
; %bb.2:
	scratch_load_dwordx4 v[2:5], v22, off
                                        ; implicit-def: $vgpr10_vgpr11
	s_waitcnt vmcnt(0)
	v_xor_b32_e32 v7, 0x80000000, v3
	v_cmp_gt_f64_e32 vcc, 0, v[2:3]
	v_xor_b32_e32 v8, 0x80000000, v5
	v_mov_b32_e32 v6, v2
	v_cndmask_b32_e32 v7, v3, v7, vcc
	v_cmp_gt_f64_e32 vcc, 0, v[4:5]
	s_nop 1
	v_cndmask_b32_e32 v9, v5, v8, vcc
	v_mov_b32_e32 v8, v4
	v_cmp_ngt_f64_e32 vcc, v[6:7], v[8:9]
                                        ; implicit-def: $vgpr6_vgpr7
	s_and_saveexec_b64 s[0:1], vcc
	s_xor_b64 s[0:1], exec, s[0:1]
	s_cbranch_execz .LBB3_4
; %bb.3:
	v_div_scale_f64 v[6:7], s[2:3], v[4:5], v[4:5], v[2:3]
	v_rcp_f64_e32 v[8:9], v[6:7]
	v_div_scale_f64 v[10:11], vcc, v[2:3], v[4:5], v[2:3]
	v_fma_f64 v[12:13], -v[6:7], v[8:9], 1.0
	v_fmac_f64_e32 v[8:9], v[8:9], v[12:13]
	v_fma_f64 v[12:13], -v[6:7], v[8:9], 1.0
	v_fmac_f64_e32 v[8:9], v[8:9], v[12:13]
	v_mul_f64 v[12:13], v[10:11], v[8:9]
	v_fma_f64 v[6:7], -v[6:7], v[12:13], v[10:11]
	v_div_fmas_f64 v[6:7], v[6:7], v[8:9], v[12:13]
	v_div_fixup_f64 v[6:7], v[6:7], v[4:5], v[2:3]
	v_fmac_f64_e32 v[4:5], v[2:3], v[6:7]
	v_div_scale_f64 v[2:3], s[2:3], v[4:5], v[4:5], 1.0
	v_rcp_f64_e32 v[8:9], v[2:3]
	s_nop 0
	v_fma_f64 v[10:11], -v[2:3], v[8:9], 1.0
	v_fmac_f64_e32 v[8:9], v[8:9], v[10:11]
	v_fma_f64 v[10:11], -v[2:3], v[8:9], 1.0
	v_fmac_f64_e32 v[8:9], v[8:9], v[10:11]
	v_div_scale_f64 v[10:11], vcc, 1.0, v[4:5], 1.0
	v_mul_f64 v[12:13], v[10:11], v[8:9]
	v_fma_f64 v[2:3], -v[2:3], v[12:13], v[10:11]
	s_nop 1
	v_div_fmas_f64 v[2:3], v[2:3], v[8:9], v[12:13]
	v_div_fixup_f64 v[8:9], v[2:3], v[4:5], 1.0
	v_mul_f64 v[6:7], v[6:7], v[8:9]
	v_xor_b32_e32 v9, 0x80000000, v9
	v_xor_b32_e32 v11, 0x80000000, v7
	v_mov_b32_e32 v10, v6
                                        ; implicit-def: $vgpr2_vgpr3
.LBB3_4:
	s_or_saveexec_b64 s[0:1], s[0:1]
	v_add_u32_e32 v12, 0, v22
	s_xor_b64 exec, exec, s[0:1]
	s_cbranch_execz .LBB3_6
; %bb.5:
	v_div_scale_f64 v[6:7], s[2:3], v[2:3], v[2:3], v[4:5]
	v_rcp_f64_e32 v[8:9], v[6:7]
	v_div_scale_f64 v[10:11], vcc, v[4:5], v[2:3], v[4:5]
	v_fma_f64 v[24:25], -v[6:7], v[8:9], 1.0
	v_fmac_f64_e32 v[8:9], v[8:9], v[24:25]
	v_fma_f64 v[24:25], -v[6:7], v[8:9], 1.0
	v_fmac_f64_e32 v[8:9], v[8:9], v[24:25]
	v_mul_f64 v[24:25], v[10:11], v[8:9]
	v_fma_f64 v[6:7], -v[6:7], v[24:25], v[10:11]
	v_div_fmas_f64 v[6:7], v[6:7], v[8:9], v[24:25]
	v_div_fixup_f64 v[8:9], v[6:7], v[2:3], v[4:5]
	v_fmac_f64_e32 v[2:3], v[4:5], v[8:9]
	v_div_scale_f64 v[4:5], s[2:3], v[2:3], v[2:3], 1.0
	v_rcp_f64_e32 v[6:7], v[4:5]
	s_nop 0
	v_fma_f64 v[10:11], -v[4:5], v[6:7], 1.0
	v_fmac_f64_e32 v[6:7], v[6:7], v[10:11]
	v_fma_f64 v[10:11], -v[4:5], v[6:7], 1.0
	v_fmac_f64_e32 v[6:7], v[6:7], v[10:11]
	v_div_scale_f64 v[10:11], vcc, 1.0, v[2:3], 1.0
	v_mul_f64 v[24:25], v[10:11], v[6:7]
	v_fma_f64 v[4:5], -v[4:5], v[24:25], v[10:11]
	s_nop 1
	v_div_fmas_f64 v[4:5], v[4:5], v[6:7], v[24:25]
	v_div_fixup_f64 v[6:7], v[4:5], v[2:3], 1.0
	v_xor_b32_e32 v11, 0x80000000, v7
	v_mov_b32_e32 v10, v6
	v_mul_f64 v[8:9], v[8:9], -v[6:7]
.LBB3_6:
	s_or_b64 exec, exec, s[0:1]
	scratch_store_dwordx4 v12, v[6:9], off
	s_nop 1
	v_xor_b32_e32 v9, 0x80000000, v9
	s_branch .LBB3_8
.LBB3_7:
	v_mov_b64_e32 v[8:9], 0
	v_mov_b64_e32 v[10:11], -1.0
.LBB3_8:
	v_add_u32_e32 v23, 16, v1
	v_add_u32_e32 v25, 32, v1
	;; [unrolled: 1-line block ×3, first 2 shown]
	v_mov_b32_e32 v12, v8
	v_mov_b32_e32 v13, v9
	s_cmpk_eq_i32 s4, 0x79
	v_add_u32_e32 v8, 64, v22
	v_add_u32_e32 v9, 0, v22
	ds_write_b128 v22, v[10:13]
	s_cbranch_scc1 .LBB3_28
; %bb.9:
	scratch_load_dwordx4 v[2:5], v25, off
	v_cmp_eq_u32_e64 s[2:3], 3, v0
	s_waitcnt vmcnt(0)
	ds_write_b128 v8, v[2:5]
	s_waitcnt lgkmcnt(0)
	; wave barrier
	s_waitcnt lgkmcnt(0)
	s_and_saveexec_b64 s[0:1], s[2:3]
	s_cbranch_execz .LBB3_13
; %bb.10:
	ds_read_b128 v[2:5], v8
	s_andn2_b64 vcc, exec, s[6:7]
	s_cbranch_vccnz .LBB3_12
; %bb.11:
	scratch_load_dwordx4 v[10:13], v9, off
	s_waitcnt vmcnt(0) lgkmcnt(0)
	v_mul_f64 v[6:7], v[4:5], v[12:13]
	v_mul_f64 v[12:13], v[2:3], v[12:13]
	v_fmac_f64_e32 v[12:13], v[4:5], v[10:11]
	v_fma_f64 v[2:3], v[2:3], v[10:11], -v[6:7]
	v_mov_b64_e32 v[4:5], v[12:13]
.LBB3_12:
	v_mov_b32_e32 v1, 0
	ds_read_b128 v[10:13], v1 offset:32
	s_waitcnt lgkmcnt(0)
	v_mul_f64 v[6:7], v[4:5], v[12:13]
	v_mul_f64 v[28:29], v[2:3], v[12:13]
	v_fma_f64 v[26:27], v[2:3], v[10:11], -v[6:7]
	v_fmac_f64_e32 v[28:29], v[4:5], v[10:11]
	scratch_store_dwordx4 off, v[26:29], off offset:32
.LBB3_13:
	s_or_b64 exec, exec, s[0:1]
	scratch_load_dwordx4 v[2:5], v23, off
	v_cmp_lt_u32_e64 s[0:1], 1, v0
	s_waitcnt vmcnt(0)
	ds_write_b128 v8, v[2:5]
	s_waitcnt lgkmcnt(0)
	; wave barrier
	s_waitcnt lgkmcnt(0)
	s_and_saveexec_b64 s[4:5], s[0:1]
	s_cbranch_execz .LBB3_19
; %bb.14:
	ds_read_b128 v[2:5], v8
	s_andn2_b64 vcc, exec, s[6:7]
	s_cbranch_vccnz .LBB3_16
; %bb.15:
	scratch_load_dwordx4 v[10:13], v9, off
	s_waitcnt vmcnt(0) lgkmcnt(0)
	v_mul_f64 v[6:7], v[4:5], v[12:13]
	v_mul_f64 v[12:13], v[2:3], v[12:13]
	v_fmac_f64_e32 v[12:13], v[4:5], v[10:11]
	v_fma_f64 v[2:3], v[2:3], v[10:11], -v[6:7]
	v_mov_b64_e32 v[4:5], v[12:13]
.LBB3_16:
	s_and_saveexec_b64 s[8:9], s[2:3]
	s_cbranch_execz .LBB3_18
; %bb.17:
	scratch_load_dwordx4 v[10:13], off, off offset:32
	v_mov_b32_e32 v1, 0
	ds_read_b128 v[26:29], v1 offset:96
	s_waitcnt vmcnt(0) lgkmcnt(0)
	v_mul_f64 v[6:7], v[26:27], v[12:13]
	v_mul_f64 v[12:13], v[28:29], v[12:13]
	v_fmac_f64_e32 v[6:7], v[28:29], v[10:11]
	v_fma_f64 v[10:11], v[26:27], v[10:11], -v[12:13]
	v_add_f64 v[4:5], v[4:5], v[6:7]
	v_add_f64 v[2:3], v[2:3], v[10:11]
.LBB3_18:
	s_or_b64 exec, exec, s[8:9]
	v_mov_b32_e32 v1, 0
	ds_read_b128 v[10:13], v1 offset:16
	s_waitcnt lgkmcnt(0)
	v_mul_f64 v[6:7], v[4:5], v[12:13]
	v_mul_f64 v[28:29], v[2:3], v[12:13]
	v_fma_f64 v[26:27], v[2:3], v[10:11], -v[6:7]
	v_fmac_f64_e32 v[28:29], v[4:5], v[10:11]
	scratch_store_dwordx4 off, v[26:29], off offset:16
.LBB3_19:
	s_or_b64 exec, exec, s[4:5]
	scratch_load_dwordx4 v[2:5], off, off
	v_cmp_ne_u32_e32 vcc, 0, v0
	s_mov_b64 s[2:3], 0
	s_mov_b64 s[8:9], 0
                                        ; implicit-def: $vgpr6_vgpr7
                                        ; implicit-def: $vgpr10
	s_waitcnt vmcnt(0)
	ds_write_b128 v8, v[2:5]
	s_waitcnt lgkmcnt(0)
	; wave barrier
	s_waitcnt lgkmcnt(0)
	s_and_saveexec_b64 s[4:5], vcc
	s_cbranch_execz .LBB3_27
; %bb.20:
	ds_read_b128 v[2:5], v8
	s_andn2_b64 vcc, exec, s[6:7]
	s_cbranch_vccnz .LBB3_22
; %bb.21:
	scratch_load_dwordx4 v[10:13], v9, off
	s_waitcnt vmcnt(0) lgkmcnt(0)
	v_mul_f64 v[6:7], v[4:5], v[12:13]
	v_mul_f64 v[12:13], v[2:3], v[12:13]
	v_fmac_f64_e32 v[12:13], v[4:5], v[10:11]
	v_fma_f64 v[2:3], v[2:3], v[10:11], -v[6:7]
	v_mov_b64_e32 v[4:5], v[12:13]
.LBB3_22:
	s_and_saveexec_b64 s[8:9], s[0:1]
	s_cbranch_execz .LBB3_26
; %bb.23:
	v_mov_b32_e32 v6, 0
	v_add_u32_e32 v1, -1, v0
	v_add_u32_e32 v6, 24, v6
	s_movk_i32 s10, 0x50
	s_mov_b64 s[0:1], 0
.LBB3_24:                               ; =>This Inner Loop Header: Depth=1
	v_add_u32_e32 v7, -8, v6
	scratch_load_dwordx4 v[10:13], v7, off
	v_mov_b32_e32 v7, s10
	ds_read_b128 v[26:29], v7
	v_add_u32_e32 v1, -1, v1
	s_add_i32 s10, s10, 16
	v_cmp_eq_u32_e32 vcc, 0, v1
	v_add_u32_e32 v6, 16, v6
	s_or_b64 s[0:1], vcc, s[0:1]
	s_waitcnt vmcnt(0) lgkmcnt(0)
	v_mul_f64 v[30:31], v[28:29], v[12:13]
	v_mul_f64 v[12:13], v[26:27], v[12:13]
	v_fma_f64 v[26:27], v[26:27], v[10:11], -v[30:31]
	v_fmac_f64_e32 v[12:13], v[28:29], v[10:11]
	v_add_f64 v[2:3], v[2:3], v[26:27]
	v_add_f64 v[4:5], v[4:5], v[12:13]
	s_andn2_b64 exec, exec, s[0:1]
	s_cbranch_execnz .LBB3_24
; %bb.25:
	s_or_b64 exec, exec, s[0:1]
.LBB3_26:
	s_or_b64 exec, exec, s[8:9]
	v_mov_b32_e32 v1, 0
	ds_read_b128 v[26:29], v1
	v_mov_b32_e32 v1, 0
	s_mov_b64 s[8:9], exec
	v_or_b32_e32 v10, 8, v1
	s_waitcnt lgkmcnt(0)
	v_mul_f64 v[12:13], v[4:5], v[28:29]
	v_mul_f64 v[6:7], v[2:3], v[28:29]
	v_fma_f64 v[2:3], v[2:3], v[26:27], -v[12:13]
	v_fmac_f64_e32 v[6:7], v[4:5], v[26:27]
	scratch_store_dwordx2 off, v[2:3], off
.LBB3_27:
	s_or_b64 exec, exec, s[4:5]
	s_and_b64 vcc, exec, s[2:3]
	s_cbranch_vccnz .LBB3_29
	s_branch .LBB3_48
.LBB3_28:
	s_mov_b64 s[8:9], 0
                                        ; implicit-def: $vgpr6_vgpr7
                                        ; implicit-def: $vgpr10
	s_cbranch_execz .LBB3_48
.LBB3_29:
	scratch_load_dwordx4 v[2:5], v23, off
	v_cndmask_b32_e64 v1, 0, 1, s[6:7]
	v_cmp_eq_u32_e64 s[0:1], 0, v0
	v_cmp_ne_u32_e64 s[2:3], 1, v1
	s_waitcnt vmcnt(0)
	ds_write_b128 v8, v[2:5]
	s_waitcnt lgkmcnt(0)
	; wave barrier
	s_waitcnt lgkmcnt(0)
	s_and_saveexec_b64 s[4:5], s[0:1]
	s_cbranch_execz .LBB3_33
; %bb.30:
	ds_read_b128 v[2:5], v8
	s_and_b64 vcc, exec, s[2:3]
	s_cbranch_vccnz .LBB3_32
; %bb.31:
	scratch_load_dwordx4 v[10:13], v9, off
	s_waitcnt vmcnt(0) lgkmcnt(0)
	v_mul_f64 v[6:7], v[4:5], v[12:13]
	v_mul_f64 v[12:13], v[2:3], v[12:13]
	v_fmac_f64_e32 v[12:13], v[4:5], v[10:11]
	v_fma_f64 v[2:3], v[2:3], v[10:11], -v[6:7]
	v_mov_b64_e32 v[4:5], v[12:13]
.LBB3_32:
	v_mov_b32_e32 v1, 0
	ds_read_b128 v[10:13], v1 offset:16
	s_waitcnt lgkmcnt(0)
	v_mul_f64 v[6:7], v[4:5], v[12:13]
	v_mul_f64 v[28:29], v[2:3], v[12:13]
	v_fma_f64 v[26:27], v[2:3], v[10:11], -v[6:7]
	v_fmac_f64_e32 v[28:29], v[4:5], v[10:11]
	scratch_store_dwordx4 off, v[26:29], off offset:16
.LBB3_33:
	s_or_b64 exec, exec, s[4:5]
	scratch_load_dwordx4 v[2:5], v25, off
	v_cmp_gt_u32_e64 s[4:5], 2, v0
	s_waitcnt vmcnt(0)
	ds_write_b128 v8, v[2:5]
	s_waitcnt lgkmcnt(0)
	; wave barrier
	s_waitcnt lgkmcnt(0)
	s_and_saveexec_b64 s[6:7], s[4:5]
	s_cbranch_execz .LBB3_39
; %bb.34:
	ds_read_b128 v[2:5], v8
	s_and_b64 vcc, exec, s[2:3]
	s_cbranch_vccnz .LBB3_36
; %bb.35:
	scratch_load_dwordx4 v[10:13], v9, off
	s_waitcnt vmcnt(0) lgkmcnt(0)
	v_mul_f64 v[6:7], v[4:5], v[12:13]
	v_mul_f64 v[12:13], v[2:3], v[12:13]
	v_fmac_f64_e32 v[12:13], v[4:5], v[10:11]
	v_fma_f64 v[2:3], v[2:3], v[10:11], -v[6:7]
	v_mov_b64_e32 v[4:5], v[12:13]
.LBB3_36:
	s_and_saveexec_b64 s[10:11], s[0:1]
	s_cbranch_execz .LBB3_38
; %bb.37:
	scratch_load_dwordx4 v[10:13], v9, off offset:16
	ds_read_b128 v[26:29], v8 offset:16
	s_waitcnt vmcnt(0) lgkmcnt(0)
	v_mul_f64 v[6:7], v[28:29], v[12:13]
	v_mul_f64 v[12:13], v[26:27], v[12:13]
	v_fma_f64 v[6:7], v[26:27], v[10:11], -v[6:7]
	v_fmac_f64_e32 v[12:13], v[28:29], v[10:11]
	v_add_f64 v[2:3], v[2:3], v[6:7]
	v_add_f64 v[4:5], v[4:5], v[12:13]
.LBB3_38:
	s_or_b64 exec, exec, s[10:11]
	v_mov_b32_e32 v1, 0
	ds_read_b128 v[10:13], v1 offset:32
	s_waitcnt lgkmcnt(0)
	v_mul_f64 v[6:7], v[4:5], v[12:13]
	v_mul_f64 v[28:29], v[2:3], v[12:13]
	v_fma_f64 v[26:27], v[2:3], v[10:11], -v[6:7]
	v_fmac_f64_e32 v[28:29], v[4:5], v[10:11]
	scratch_store_dwordx4 off, v[26:29], off offset:32
.LBB3_39:
	s_or_b64 exec, exec, s[6:7]
	scratch_load_dwordx4 v[2:5], v24, off
	v_cmp_ne_u32_e32 vcc, 3, v0
                                        ; implicit-def: $vgpr6_vgpr7
                                        ; implicit-def: $vgpr10
	s_waitcnt vmcnt(0)
	ds_write_b128 v8, v[2:5]
	s_waitcnt lgkmcnt(0)
	; wave barrier
	s_waitcnt lgkmcnt(0)
	s_and_saveexec_b64 s[6:7], vcc
	s_cbranch_execz .LBB3_47
; %bb.40:
	ds_read_b128 v[0:3], v8
	s_and_b64 vcc, exec, s[2:3]
	s_cbranch_vccnz .LBB3_42
; %bb.41:
	scratch_load_dwordx4 v[4:7], v9, off
	s_waitcnt vmcnt(0) lgkmcnt(0)
	v_mul_f64 v[10:11], v[2:3], v[6:7]
	v_mul_f64 v[6:7], v[0:1], v[6:7]
	v_fmac_f64_e32 v[6:7], v[2:3], v[4:5]
	v_fma_f64 v[0:1], v[0:1], v[4:5], -v[10:11]
	v_mov_b64_e32 v[2:3], v[6:7]
.LBB3_42:
	s_and_saveexec_b64 s[2:3], s[4:5]
	s_cbranch_execz .LBB3_46
; %bb.43:
	scratch_load_dwordx4 v[4:7], v9, off offset:16
	ds_read_b128 v[8:11], v8 offset:16
	s_waitcnt vmcnt(0) lgkmcnt(0)
	v_mul_f64 v[12:13], v[10:11], v[6:7]
	v_mul_f64 v[6:7], v[8:9], v[6:7]
	v_fma_f64 v[8:9], v[8:9], v[4:5], -v[12:13]
	v_fmac_f64_e32 v[6:7], v[10:11], v[4:5]
	v_add_f64 v[0:1], v[0:1], v[8:9]
	v_add_f64 v[2:3], v[2:3], v[6:7]
	s_and_saveexec_b64 s[4:5], s[0:1]
	s_cbranch_execz .LBB3_45
; %bb.44:
	scratch_load_dwordx4 v[4:7], off, off offset:32
	v_mov_b32_e32 v8, 0
	ds_read_b128 v[8:11], v8 offset:96
	s_waitcnt vmcnt(0) lgkmcnt(0)
	v_mul_f64 v[12:13], v[8:9], v[6:7]
	v_mul_f64 v[6:7], v[10:11], v[6:7]
	v_fmac_f64_e32 v[12:13], v[10:11], v[4:5]
	v_fma_f64 v[4:5], v[8:9], v[4:5], -v[6:7]
	v_add_f64 v[2:3], v[2:3], v[12:13]
	v_add_f64 v[0:1], v[0:1], v[4:5]
.LBB3_45:
	s_or_b64 exec, exec, s[4:5]
.LBB3_46:
	s_or_b64 exec, exec, s[2:3]
	v_mov_b32_e32 v4, 0
	ds_read_b128 v[4:7], v4 offset:48
	v_mov_b32_e32 v8, 0
	v_add_u32_e32 v10, 56, v8
	s_or_b64 s[8:9], s[8:9], exec
	s_waitcnt lgkmcnt(0)
	v_mul_f64 v[8:9], v[2:3], v[6:7]
	v_mul_f64 v[6:7], v[0:1], v[6:7]
	v_fma_f64 v[0:1], v[0:1], v[4:5], -v[8:9]
	v_fmac_f64_e32 v[6:7], v[2:3], v[4:5]
	scratch_store_dwordx2 off, v[0:1], off offset:48
.LBB3_47:
	s_or_b64 exec, exec, s[6:7]
.LBB3_48:
	s_and_saveexec_b64 s[0:1], s[8:9]
	s_cbranch_execz .LBB3_50
; %bb.49:
	scratch_store_dwordx2 v10, v[6:7], off
.LBB3_50:
	s_or_b64 exec, exec, s[0:1]
	scratch_load_dwordx4 v[0:3], off, off
	scratch_load_dwordx4 v[4:7], v23, off
	scratch_load_dwordx4 v[8:11], v25, off
	;; [unrolled: 1-line block ×3, first 2 shown]
	s_waitcnt vmcnt(3)
	global_store_dwordx4 v[14:15], v[0:3], off
	s_waitcnt vmcnt(3)
	global_store_dwordx4 v[16:17], v[4:7], off
	s_waitcnt vmcnt(3)
	global_store_dwordx4 v[18:19], v[8:11], off
	s_waitcnt vmcnt(3)
	global_store_dwordx4 v[20:21], v[26:29], off
.LBB3_51:
	s_endpgm
	.section	.rodata,"a",@progbits
	.p2align	6, 0x0
	.amdhsa_kernel _ZN9rocsolver6v33100L18trti2_kernel_smallILi4E19rocblas_complex_numIdEPS3_EEv13rocblas_fill_17rocblas_diagonal_T1_iil
		.amdhsa_group_segment_fixed_size 128
		.amdhsa_private_segment_fixed_size 80
		.amdhsa_kernarg_size 32
		.amdhsa_user_sgpr_count 2
		.amdhsa_user_sgpr_dispatch_ptr 0
		.amdhsa_user_sgpr_queue_ptr 0
		.amdhsa_user_sgpr_kernarg_segment_ptr 1
		.amdhsa_user_sgpr_dispatch_id 0
		.amdhsa_user_sgpr_kernarg_preload_length 0
		.amdhsa_user_sgpr_kernarg_preload_offset 0
		.amdhsa_user_sgpr_private_segment_size 0
		.amdhsa_uses_dynamic_stack 0
		.amdhsa_enable_private_segment 1
		.amdhsa_system_sgpr_workgroup_id_x 1
		.amdhsa_system_sgpr_workgroup_id_y 0
		.amdhsa_system_sgpr_workgroup_id_z 0
		.amdhsa_system_sgpr_workgroup_info 0
		.amdhsa_system_vgpr_workitem_id 0
		.amdhsa_next_free_vgpr 32
		.amdhsa_next_free_sgpr 12
		.amdhsa_accum_offset 32
		.amdhsa_reserve_vcc 1
		.amdhsa_float_round_mode_32 0
		.amdhsa_float_round_mode_16_64 0
		.amdhsa_float_denorm_mode_32 3
		.amdhsa_float_denorm_mode_16_64 3
		.amdhsa_dx10_clamp 1
		.amdhsa_ieee_mode 1
		.amdhsa_fp16_overflow 0
		.amdhsa_tg_split 0
		.amdhsa_exception_fp_ieee_invalid_op 0
		.amdhsa_exception_fp_denorm_src 0
		.amdhsa_exception_fp_ieee_div_zero 0
		.amdhsa_exception_fp_ieee_overflow 0
		.amdhsa_exception_fp_ieee_underflow 0
		.amdhsa_exception_fp_ieee_inexact 0
		.amdhsa_exception_int_div_zero 0
	.end_amdhsa_kernel
	.section	.text._ZN9rocsolver6v33100L18trti2_kernel_smallILi4E19rocblas_complex_numIdEPS3_EEv13rocblas_fill_17rocblas_diagonal_T1_iil,"axG",@progbits,_ZN9rocsolver6v33100L18trti2_kernel_smallILi4E19rocblas_complex_numIdEPS3_EEv13rocblas_fill_17rocblas_diagonal_T1_iil,comdat
.Lfunc_end3:
	.size	_ZN9rocsolver6v33100L18trti2_kernel_smallILi4E19rocblas_complex_numIdEPS3_EEv13rocblas_fill_17rocblas_diagonal_T1_iil, .Lfunc_end3-_ZN9rocsolver6v33100L18trti2_kernel_smallILi4E19rocblas_complex_numIdEPS3_EEv13rocblas_fill_17rocblas_diagonal_T1_iil
                                        ; -- End function
	.section	.AMDGPU.csdata,"",@progbits
; Kernel info:
; codeLenInByte = 2360
; NumSgprs: 18
; NumVgprs: 32
; NumAgprs: 0
; TotalNumVgprs: 32
; ScratchSize: 80
; MemoryBound: 0
; FloatMode: 240
; IeeeMode: 1
; LDSByteSize: 128 bytes/workgroup (compile time only)
; SGPRBlocks: 2
; VGPRBlocks: 3
; NumSGPRsForWavesPerEU: 18
; NumVGPRsForWavesPerEU: 32
; AccumOffset: 32
; Occupancy: 8
; WaveLimiterHint : 0
; COMPUTE_PGM_RSRC2:SCRATCH_EN: 1
; COMPUTE_PGM_RSRC2:USER_SGPR: 2
; COMPUTE_PGM_RSRC2:TRAP_HANDLER: 0
; COMPUTE_PGM_RSRC2:TGID_X_EN: 1
; COMPUTE_PGM_RSRC2:TGID_Y_EN: 0
; COMPUTE_PGM_RSRC2:TGID_Z_EN: 0
; COMPUTE_PGM_RSRC2:TIDIG_COMP_CNT: 0
; COMPUTE_PGM_RSRC3_GFX90A:ACCUM_OFFSET: 7
; COMPUTE_PGM_RSRC3_GFX90A:TG_SPLIT: 0
	.section	.text._ZN9rocsolver6v33100L18trti2_kernel_smallILi5E19rocblas_complex_numIdEPS3_EEv13rocblas_fill_17rocblas_diagonal_T1_iil,"axG",@progbits,_ZN9rocsolver6v33100L18trti2_kernel_smallILi5E19rocblas_complex_numIdEPS3_EEv13rocblas_fill_17rocblas_diagonal_T1_iil,comdat
	.globl	_ZN9rocsolver6v33100L18trti2_kernel_smallILi5E19rocblas_complex_numIdEPS3_EEv13rocblas_fill_17rocblas_diagonal_T1_iil ; -- Begin function _ZN9rocsolver6v33100L18trti2_kernel_smallILi5E19rocblas_complex_numIdEPS3_EEv13rocblas_fill_17rocblas_diagonal_T1_iil
	.p2align	8
	.type	_ZN9rocsolver6v33100L18trti2_kernel_smallILi5E19rocblas_complex_numIdEPS3_EEv13rocblas_fill_17rocblas_diagonal_T1_iil,@function
_ZN9rocsolver6v33100L18trti2_kernel_smallILi5E19rocblas_complex_numIdEPS3_EEv13rocblas_fill_17rocblas_diagonal_T1_iil: ; @_ZN9rocsolver6v33100L18trti2_kernel_smallILi5E19rocblas_complex_numIdEPS3_EEv13rocblas_fill_17rocblas_diagonal_T1_iil
; %bb.0:
	v_cmp_gt_u32_e32 vcc, 5, v0
	s_and_saveexec_b64 s[4:5], vcc
	s_cbranch_execz .LBB4_67
; %bb.1:
	s_load_dwordx8 s[4:11], s[0:1], 0x0
	s_ashr_i32 s3, s2, 31
	v_lshlrev_b32_e32 v24, 4, v0
	v_mov_b32_e32 v25, 0
	v_mov_b32_e32 v12, 0
	s_waitcnt lgkmcnt(0)
	s_ashr_i32 s1, s8, 31
	s_mov_b32 s0, s8
	s_mul_i32 s8, s2, s11
	s_mul_hi_u32 s11, s2, s10
	s_add_i32 s8, s11, s8
	s_mul_i32 s3, s3, s10
	s_add_i32 s3, s8, s3
	s_mul_i32 s2, s2, s10
	s_lshl_b64 s[2:3], s[2:3], 4
	s_add_u32 s2, s6, s2
	s_addc_u32 s3, s7, s3
	s_lshl_b64 s[0:1], s[0:1], 4
	s_add_u32 s0, s2, s0
	s_addc_u32 s1, s3, s1
	v_lshl_add_u64 v[14:15], s[0:1], 0, v[24:25]
	s_ashr_i32 s3, s9, 31
	s_mov_b32 s2, s9
	v_lshl_add_u64 v[16:17], s[2:3], 4, v[14:15]
	s_add_i32 s2, s9, s9
	v_add_u32_e32 v10, s2, v0
	v_ashrrev_i32_e32 v11, 31, v10
	v_lshl_add_u64 v[18:19], v[10:11], 4, s[0:1]
	v_add_u32_e32 v10, s9, v10
	v_ashrrev_i32_e32 v11, 31, v10
	v_lshl_add_u64 v[20:21], v[10:11], 4, s[0:1]
	;; [unrolled: 3-line block ×3, first 2 shown]
	global_load_dwordx4 v[2:5], v24, s[0:1]
	global_load_dwordx4 v[6:9], v[16:17], off
	global_load_dwordx4 v[26:29], v[18:19], off
	;; [unrolled: 1-line block ×4, first 2 shown]
	s_cmpk_lg_i32 s5, 0x84
	s_cselect_b64 s[6:7], -1, 0
	s_cmpk_eq_i32 s5, 0x84
	s_waitcnt vmcnt(4)
	scratch_store_dwordx4 off, v[2:5], off
	s_waitcnt vmcnt(4)
	scratch_store_dwordx4 off, v[6:9], off offset:16
	s_waitcnt vmcnt(4)
	scratch_store_dwordx4 off, v[26:29], off offset:32
	s_waitcnt vmcnt(4)
	scratch_store_dwordx4 off, v[30:33], off offset:48
	s_waitcnt vmcnt(4)
	scratch_store_dwordx4 off, v[34:37], off offset:64
	s_cbranch_scc1 .LBB4_7
; %bb.2:
	scratch_load_dwordx4 v[2:5], v24, off
                                        ; implicit-def: $vgpr10_vgpr11
	s_waitcnt vmcnt(0)
	v_xor_b32_e32 v1, 0x80000000, v3
	v_cmp_gt_f64_e32 vcc, 0, v[2:3]
	v_xor_b32_e32 v8, 0x80000000, v5
	v_mov_b32_e32 v6, v2
	v_cndmask_b32_e32 v7, v3, v1, vcc
	v_cmp_gt_f64_e32 vcc, 0, v[4:5]
	s_nop 1
	v_cndmask_b32_e32 v9, v5, v8, vcc
	v_mov_b32_e32 v8, v4
	v_cmp_ngt_f64_e32 vcc, v[6:7], v[8:9]
                                        ; implicit-def: $vgpr6_vgpr7
	s_and_saveexec_b64 s[0:1], vcc
	s_xor_b64 s[0:1], exec, s[0:1]
	s_cbranch_execz .LBB4_4
; %bb.3:
	v_div_scale_f64 v[6:7], s[2:3], v[4:5], v[4:5], v[2:3]
	v_rcp_f64_e32 v[8:9], v[6:7]
	v_div_scale_f64 v[10:11], vcc, v[2:3], v[4:5], v[2:3]
	v_fma_f64 v[26:27], -v[6:7], v[8:9], 1.0
	v_fmac_f64_e32 v[8:9], v[8:9], v[26:27]
	v_fma_f64 v[26:27], -v[6:7], v[8:9], 1.0
	v_fmac_f64_e32 v[8:9], v[8:9], v[26:27]
	v_mul_f64 v[26:27], v[10:11], v[8:9]
	v_fma_f64 v[6:7], -v[6:7], v[26:27], v[10:11]
	v_div_fmas_f64 v[6:7], v[6:7], v[8:9], v[26:27]
	v_div_fixup_f64 v[6:7], v[6:7], v[4:5], v[2:3]
	v_fmac_f64_e32 v[4:5], v[2:3], v[6:7]
	v_div_scale_f64 v[2:3], s[2:3], v[4:5], v[4:5], 1.0
	v_rcp_f64_e32 v[8:9], v[2:3]
	s_nop 0
	v_fma_f64 v[10:11], -v[2:3], v[8:9], 1.0
	v_fmac_f64_e32 v[8:9], v[8:9], v[10:11]
	v_fma_f64 v[10:11], -v[2:3], v[8:9], 1.0
	v_fmac_f64_e32 v[8:9], v[8:9], v[10:11]
	v_div_scale_f64 v[10:11], vcc, 1.0, v[4:5], 1.0
	v_mul_f64 v[26:27], v[10:11], v[8:9]
	v_fma_f64 v[2:3], -v[2:3], v[26:27], v[10:11]
	s_nop 1
	v_div_fmas_f64 v[2:3], v[2:3], v[8:9], v[26:27]
	v_div_fixup_f64 v[8:9], v[2:3], v[4:5], 1.0
	v_mul_f64 v[6:7], v[6:7], v[8:9]
	v_xor_b32_e32 v9, 0x80000000, v9
	v_xor_b32_e32 v11, 0x80000000, v7
	v_mov_b32_e32 v10, v6
                                        ; implicit-def: $vgpr2_vgpr3
.LBB4_4:
	s_or_saveexec_b64 s[0:1], s[0:1]
	v_add_u32_e32 v1, 0, v24
	s_xor_b64 exec, exec, s[0:1]
	s_cbranch_execz .LBB4_6
; %bb.5:
	v_div_scale_f64 v[6:7], s[2:3], v[2:3], v[2:3], v[4:5]
	v_rcp_f64_e32 v[8:9], v[6:7]
	v_div_scale_f64 v[10:11], vcc, v[4:5], v[2:3], v[4:5]
	v_fma_f64 v[26:27], -v[6:7], v[8:9], 1.0
	v_fmac_f64_e32 v[8:9], v[8:9], v[26:27]
	v_fma_f64 v[26:27], -v[6:7], v[8:9], 1.0
	v_fmac_f64_e32 v[8:9], v[8:9], v[26:27]
	v_mul_f64 v[26:27], v[10:11], v[8:9]
	v_fma_f64 v[6:7], -v[6:7], v[26:27], v[10:11]
	v_div_fmas_f64 v[6:7], v[6:7], v[8:9], v[26:27]
	v_div_fixup_f64 v[8:9], v[6:7], v[2:3], v[4:5]
	v_fmac_f64_e32 v[2:3], v[4:5], v[8:9]
	v_div_scale_f64 v[4:5], s[2:3], v[2:3], v[2:3], 1.0
	v_rcp_f64_e32 v[6:7], v[4:5]
	s_nop 0
	v_fma_f64 v[10:11], -v[4:5], v[6:7], 1.0
	v_fmac_f64_e32 v[6:7], v[6:7], v[10:11]
	v_fma_f64 v[10:11], -v[4:5], v[6:7], 1.0
	v_fmac_f64_e32 v[6:7], v[6:7], v[10:11]
	v_div_scale_f64 v[10:11], vcc, 1.0, v[2:3], 1.0
	v_mul_f64 v[26:27], v[10:11], v[6:7]
	v_fma_f64 v[4:5], -v[4:5], v[26:27], v[10:11]
	s_nop 1
	v_div_fmas_f64 v[4:5], v[4:5], v[6:7], v[26:27]
	v_div_fixup_f64 v[6:7], v[4:5], v[2:3], 1.0
	v_xor_b32_e32 v11, 0x80000000, v7
	v_mov_b32_e32 v10, v6
	v_mul_f64 v[8:9], v[8:9], -v[6:7]
.LBB4_6:
	s_or_b64 exec, exec, s[0:1]
	scratch_store_dwordx4 v1, v[6:9], off
	s_nop 1
	v_xor_b32_e32 v9, 0x80000000, v9
	s_branch .LBB4_8
.LBB4_7:
	v_mov_b64_e32 v[8:9], 0
	v_mov_b64_e32 v[10:11], -1.0
.LBB4_8:
	v_add_u32_e32 v26, 16, v12
	v_add_u32_e32 v1, 32, v12
	;; [unrolled: 1-line block ×4, first 2 shown]
	v_mov_b32_e32 v12, v8
	v_mov_b32_e32 v13, v9
	s_cmpk_eq_i32 s4, 0x79
	v_add_u32_e32 v9, 0x50, v24
	v_add_u32_e32 v8, 0, v24
	ds_write_b128 v24, v[10:13]
	s_cbranch_scc1 .LBB4_36
; %bb.9:
	scratch_load_dwordx4 v[2:5], v27, off
	v_cmp_eq_u32_e64 s[0:1], 4, v0
	s_waitcnt vmcnt(0)
	ds_write_b128 v9, v[2:5]
	s_waitcnt lgkmcnt(0)
	; wave barrier
	s_waitcnt lgkmcnt(0)
	s_and_saveexec_b64 s[2:3], s[0:1]
	s_cbranch_execz .LBB4_13
; %bb.10:
	ds_read_b128 v[2:5], v9
	s_andn2_b64 vcc, exec, s[6:7]
	s_cbranch_vccnz .LBB4_12
; %bb.11:
	scratch_load_dwordx4 v[10:13], v8, off
	s_waitcnt vmcnt(0) lgkmcnt(0)
	v_mul_f64 v[6:7], v[4:5], v[12:13]
	v_mul_f64 v[12:13], v[2:3], v[12:13]
	v_fmac_f64_e32 v[12:13], v[4:5], v[10:11]
	v_fma_f64 v[2:3], v[2:3], v[10:11], -v[6:7]
	v_mov_b64_e32 v[4:5], v[12:13]
.LBB4_12:
	v_mov_b32_e32 v6, 0
	ds_read_b128 v[10:13], v6 offset:48
	s_waitcnt lgkmcnt(0)
	v_mul_f64 v[6:7], v[4:5], v[12:13]
	v_mul_f64 v[30:31], v[2:3], v[12:13]
	v_fma_f64 v[28:29], v[2:3], v[10:11], -v[6:7]
	v_fmac_f64_e32 v[30:31], v[4:5], v[10:11]
	scratch_store_dwordx4 off, v[28:31], off offset:48
.LBB4_13:
	s_or_b64 exec, exec, s[2:3]
	scratch_load_dwordx4 v[2:5], v1, off
	v_cmp_lt_u32_e64 s[2:3], 2, v0
	s_waitcnt vmcnt(0)
	ds_write_b128 v9, v[2:5]
	s_waitcnt lgkmcnt(0)
	; wave barrier
	s_waitcnt lgkmcnt(0)
	s_and_saveexec_b64 s[4:5], s[2:3]
	s_cbranch_execz .LBB4_19
; %bb.14:
	ds_read_b128 v[2:5], v9
	s_andn2_b64 vcc, exec, s[6:7]
	s_cbranch_vccnz .LBB4_16
; %bb.15:
	scratch_load_dwordx4 v[10:13], v8, off
	s_waitcnt vmcnt(0) lgkmcnt(0)
	v_mul_f64 v[6:7], v[4:5], v[12:13]
	v_mul_f64 v[12:13], v[2:3], v[12:13]
	v_fmac_f64_e32 v[12:13], v[4:5], v[10:11]
	v_fma_f64 v[2:3], v[2:3], v[10:11], -v[6:7]
	v_mov_b64_e32 v[4:5], v[12:13]
.LBB4_16:
	s_and_saveexec_b64 s[8:9], s[0:1]
	s_cbranch_execz .LBB4_18
; %bb.17:
	scratch_load_dwordx4 v[10:13], off, off offset:48
	v_mov_b32_e32 v6, 0
	ds_read_b128 v[28:31], v6 offset:128
	s_waitcnt vmcnt(0) lgkmcnt(0)
	v_mul_f64 v[6:7], v[28:29], v[12:13]
	v_mul_f64 v[12:13], v[30:31], v[12:13]
	v_fmac_f64_e32 v[6:7], v[30:31], v[10:11]
	v_fma_f64 v[10:11], v[28:29], v[10:11], -v[12:13]
	v_add_f64 v[4:5], v[4:5], v[6:7]
	v_add_f64 v[2:3], v[2:3], v[10:11]
.LBB4_18:
	s_or_b64 exec, exec, s[8:9]
	v_mov_b32_e32 v6, 0
	ds_read_b128 v[10:13], v6 offset:32
	s_waitcnt lgkmcnt(0)
	v_mul_f64 v[6:7], v[4:5], v[12:13]
	v_mul_f64 v[30:31], v[2:3], v[12:13]
	v_fma_f64 v[28:29], v[2:3], v[10:11], -v[6:7]
	v_fmac_f64_e32 v[30:31], v[4:5], v[10:11]
	scratch_store_dwordx4 off, v[28:31], off offset:32
.LBB4_19:
	s_or_b64 exec, exec, s[4:5]
	scratch_load_dwordx4 v[2:5], v26, off
	v_cmp_lt_u32_e64 s[0:1], 1, v0
	s_waitcnt vmcnt(0)
	ds_write_b128 v9, v[2:5]
	s_waitcnt lgkmcnt(0)
	; wave barrier
	s_waitcnt lgkmcnt(0)
	s_and_saveexec_b64 s[4:5], s[0:1]
	s_cbranch_execz .LBB4_27
; %bb.20:
	ds_read_b128 v[2:5], v9
	s_andn2_b64 vcc, exec, s[6:7]
	s_cbranch_vccnz .LBB4_22
; %bb.21:
	scratch_load_dwordx4 v[10:13], v8, off
	s_waitcnt vmcnt(0) lgkmcnt(0)
	v_mul_f64 v[6:7], v[4:5], v[12:13]
	v_mul_f64 v[12:13], v[2:3], v[12:13]
	v_fmac_f64_e32 v[12:13], v[4:5], v[10:11]
	v_fma_f64 v[2:3], v[2:3], v[10:11], -v[6:7]
	v_mov_b64_e32 v[4:5], v[12:13]
.LBB4_22:
	s_and_saveexec_b64 s[8:9], s[2:3]
	s_cbranch_execz .LBB4_26
; %bb.23:
	v_mov_b32_e32 v7, 0
	v_add_u32_e32 v6, -2, v0
	v_add_u32_e32 v7, 40, v7
	s_movk_i32 s10, 0x70
	s_mov_b64 s[2:3], 0
.LBB4_24:                               ; =>This Inner Loop Header: Depth=1
	v_add_u32_e32 v10, -8, v7
	scratch_load_dwordx4 v[10:13], v10, off
	v_mov_b32_e32 v28, s10
	ds_read_b128 v[28:31], v28
	v_add_u32_e32 v6, -1, v6
	s_add_i32 s10, s10, 16
	v_cmp_eq_u32_e32 vcc, 0, v6
	v_add_u32_e32 v7, 16, v7
	s_or_b64 s[2:3], vcc, s[2:3]
	s_waitcnt vmcnt(0) lgkmcnt(0)
	v_mul_f64 v[32:33], v[30:31], v[12:13]
	v_mul_f64 v[12:13], v[28:29], v[12:13]
	v_fma_f64 v[28:29], v[28:29], v[10:11], -v[32:33]
	v_fmac_f64_e32 v[12:13], v[30:31], v[10:11]
	v_add_f64 v[2:3], v[2:3], v[28:29]
	v_add_f64 v[4:5], v[4:5], v[12:13]
	s_andn2_b64 exec, exec, s[2:3]
	s_cbranch_execnz .LBB4_24
; %bb.25:
	s_or_b64 exec, exec, s[2:3]
.LBB4_26:
	s_or_b64 exec, exec, s[8:9]
	v_mov_b32_e32 v6, 0
	ds_read_b128 v[10:13], v6 offset:16
	s_waitcnt lgkmcnt(0)
	v_mul_f64 v[6:7], v[4:5], v[12:13]
	v_mul_f64 v[30:31], v[2:3], v[12:13]
	v_fma_f64 v[28:29], v[2:3], v[10:11], -v[6:7]
	v_fmac_f64_e32 v[30:31], v[4:5], v[10:11]
	scratch_store_dwordx4 off, v[28:31], off offset:16
.LBB4_27:
	s_or_b64 exec, exec, s[4:5]
	scratch_load_dwordx4 v[2:5], off, off
	v_cmp_ne_u32_e32 vcc, 0, v0
	s_mov_b64 s[2:3], 0
	s_mov_b64 s[8:9], 0
                                        ; implicit-def: $vgpr6_vgpr7
                                        ; implicit-def: $vgpr10
	s_waitcnt vmcnt(0)
	ds_write_b128 v9, v[2:5]
	s_waitcnt lgkmcnt(0)
	; wave barrier
	s_waitcnt lgkmcnt(0)
	s_and_saveexec_b64 s[4:5], vcc
	s_cbranch_execz .LBB4_35
; %bb.28:
	ds_read_b128 v[2:5], v9
	s_andn2_b64 vcc, exec, s[6:7]
	s_cbranch_vccnz .LBB4_30
; %bb.29:
	scratch_load_dwordx4 v[10:13], v8, off
	s_waitcnt vmcnt(0) lgkmcnt(0)
	v_mul_f64 v[6:7], v[4:5], v[12:13]
	v_mul_f64 v[12:13], v[2:3], v[12:13]
	v_fmac_f64_e32 v[12:13], v[4:5], v[10:11]
	v_fma_f64 v[2:3], v[2:3], v[10:11], -v[6:7]
	v_mov_b64_e32 v[4:5], v[12:13]
.LBB4_30:
	s_and_saveexec_b64 s[8:9], s[0:1]
	s_cbranch_execz .LBB4_34
; %bb.31:
	v_mov_b32_e32 v7, 0
	v_add_u32_e32 v6, -1, v0
	v_add_u32_e32 v7, 24, v7
	s_movk_i32 s10, 0x60
	s_mov_b64 s[0:1], 0
.LBB4_32:                               ; =>This Inner Loop Header: Depth=1
	v_add_u32_e32 v10, -8, v7
	scratch_load_dwordx4 v[10:13], v10, off
	v_mov_b32_e32 v28, s10
	ds_read_b128 v[28:31], v28
	v_add_u32_e32 v6, -1, v6
	s_add_i32 s10, s10, 16
	v_cmp_eq_u32_e32 vcc, 0, v6
	v_add_u32_e32 v7, 16, v7
	s_or_b64 s[0:1], vcc, s[0:1]
	s_waitcnt vmcnt(0) lgkmcnt(0)
	v_mul_f64 v[32:33], v[30:31], v[12:13]
	v_mul_f64 v[12:13], v[28:29], v[12:13]
	v_fma_f64 v[28:29], v[28:29], v[10:11], -v[32:33]
	v_fmac_f64_e32 v[12:13], v[30:31], v[10:11]
	v_add_f64 v[2:3], v[2:3], v[28:29]
	v_add_f64 v[4:5], v[4:5], v[12:13]
	s_andn2_b64 exec, exec, s[0:1]
	s_cbranch_execnz .LBB4_32
; %bb.33:
	s_or_b64 exec, exec, s[0:1]
.LBB4_34:
	s_or_b64 exec, exec, s[8:9]
	v_mov_b32_e32 v6, 0
	ds_read_b128 v[28:31], v6
	v_mov_b32_e32 v6, 0
	v_or_b32_e32 v10, 8, v6
	s_mov_b64 s[8:9], exec
	s_waitcnt lgkmcnt(0)
	v_mul_f64 v[12:13], v[4:5], v[30:31]
	v_mul_f64 v[6:7], v[2:3], v[30:31]
	v_fma_f64 v[2:3], v[2:3], v[28:29], -v[12:13]
	v_fmac_f64_e32 v[6:7], v[4:5], v[28:29]
	scratch_store_dwordx2 off, v[2:3], off
.LBB4_35:
	s_or_b64 exec, exec, s[4:5]
	s_and_b64 vcc, exec, s[2:3]
	s_cbranch_vccnz .LBB4_37
	s_branch .LBB4_64
.LBB4_36:
	s_mov_b64 s[8:9], 0
                                        ; implicit-def: $vgpr6_vgpr7
                                        ; implicit-def: $vgpr10
	s_cbranch_execz .LBB4_64
.LBB4_37:
	scratch_load_dwordx4 v[2:5], v26, off
	v_cndmask_b32_e64 v6, 0, 1, s[6:7]
	v_cmp_eq_u32_e64 s[2:3], 0, v0
	v_cmp_ne_u32_e64 s[0:1], 1, v6
	s_waitcnt vmcnt(0)
	ds_write_b128 v9, v[2:5]
	s_waitcnt lgkmcnt(0)
	; wave barrier
	s_waitcnt lgkmcnt(0)
	s_and_saveexec_b64 s[4:5], s[2:3]
	s_cbranch_execz .LBB4_41
; %bb.38:
	ds_read_b128 v[2:5], v9
	s_and_b64 vcc, exec, s[0:1]
	s_cbranch_vccnz .LBB4_40
; %bb.39:
	scratch_load_dwordx4 v[10:13], v8, off
	s_waitcnt vmcnt(0) lgkmcnt(0)
	v_mul_f64 v[6:7], v[4:5], v[12:13]
	v_mul_f64 v[12:13], v[2:3], v[12:13]
	v_fmac_f64_e32 v[12:13], v[4:5], v[10:11]
	v_fma_f64 v[2:3], v[2:3], v[10:11], -v[6:7]
	v_mov_b64_e32 v[4:5], v[12:13]
.LBB4_40:
	v_mov_b32_e32 v6, 0
	ds_read_b128 v[10:13], v6 offset:16
	s_waitcnt lgkmcnt(0)
	v_mul_f64 v[6:7], v[4:5], v[12:13]
	v_mul_f64 v[30:31], v[2:3], v[12:13]
	v_fma_f64 v[28:29], v[2:3], v[10:11], -v[6:7]
	v_fmac_f64_e32 v[30:31], v[4:5], v[10:11]
	scratch_store_dwordx4 off, v[28:31], off offset:16
.LBB4_41:
	s_or_b64 exec, exec, s[4:5]
	scratch_load_dwordx4 v[2:5], v1, off
	v_cmp_gt_u32_e32 vcc, 2, v0
	s_waitcnt vmcnt(0)
	ds_write_b128 v9, v[2:5]
	s_waitcnt lgkmcnt(0)
	; wave barrier
	s_waitcnt lgkmcnt(0)
	s_and_saveexec_b64 s[4:5], vcc
	s_cbranch_execz .LBB4_47
; %bb.42:
	ds_read_b128 v[2:5], v9
	s_and_b64 vcc, exec, s[0:1]
	s_cbranch_vccnz .LBB4_44
; %bb.43:
	scratch_load_dwordx4 v[10:13], v8, off
	s_waitcnt vmcnt(0) lgkmcnt(0)
	v_mul_f64 v[6:7], v[4:5], v[12:13]
	v_mul_f64 v[12:13], v[2:3], v[12:13]
	v_fmac_f64_e32 v[12:13], v[4:5], v[10:11]
	v_fma_f64 v[2:3], v[2:3], v[10:11], -v[6:7]
	v_mov_b64_e32 v[4:5], v[12:13]
.LBB4_44:
	s_and_saveexec_b64 s[6:7], s[2:3]
	s_cbranch_execz .LBB4_46
; %bb.45:
	scratch_load_dwordx4 v[10:13], v8, off offset:16
	ds_read_b128 v[28:31], v9 offset:16
	s_waitcnt vmcnt(0) lgkmcnt(0)
	v_mul_f64 v[6:7], v[30:31], v[12:13]
	v_mul_f64 v[12:13], v[28:29], v[12:13]
	v_fma_f64 v[6:7], v[28:29], v[10:11], -v[6:7]
	v_fmac_f64_e32 v[12:13], v[30:31], v[10:11]
	v_add_f64 v[2:3], v[2:3], v[6:7]
	v_add_f64 v[4:5], v[4:5], v[12:13]
.LBB4_46:
	s_or_b64 exec, exec, s[6:7]
	v_mov_b32_e32 v6, 0
	ds_read_b128 v[10:13], v6 offset:32
	s_waitcnt lgkmcnt(0)
	v_mul_f64 v[6:7], v[4:5], v[12:13]
	v_mul_f64 v[30:31], v[2:3], v[12:13]
	v_fma_f64 v[28:29], v[2:3], v[10:11], -v[6:7]
	v_fmac_f64_e32 v[30:31], v[4:5], v[10:11]
	scratch_store_dwordx4 off, v[28:31], off offset:32
.LBB4_47:
	s_or_b64 exec, exec, s[4:5]
	scratch_load_dwordx4 v[2:5], v27, off
	v_cmp_gt_u32_e64 s[4:5], 3, v0
	s_waitcnt vmcnt(0)
	ds_write_b128 v9, v[2:5]
	s_waitcnt lgkmcnt(0)
	; wave barrier
	s_waitcnt lgkmcnt(0)
	s_and_saveexec_b64 s[6:7], s[4:5]
	s_cbranch_execz .LBB4_55
; %bb.48:
	ds_read_b128 v[2:5], v9
	s_and_b64 vcc, exec, s[0:1]
	s_cbranch_vccnz .LBB4_50
; %bb.49:
	scratch_load_dwordx4 v[10:13], v8, off
	s_waitcnt vmcnt(0) lgkmcnt(0)
	v_mul_f64 v[6:7], v[4:5], v[12:13]
	v_mul_f64 v[12:13], v[2:3], v[12:13]
	v_fmac_f64_e32 v[12:13], v[4:5], v[10:11]
	v_fma_f64 v[2:3], v[2:3], v[10:11], -v[6:7]
	v_mov_b64_e32 v[4:5], v[12:13]
.LBB4_50:
	v_cmp_ne_u32_e32 vcc, 2, v0
	s_and_saveexec_b64 s[10:11], vcc
	s_cbranch_execz .LBB4_54
; %bb.51:
	scratch_load_dwordx4 v[10:13], v8, off offset:16
	ds_read_b128 v[28:31], v9 offset:16
	s_waitcnt vmcnt(0) lgkmcnt(0)
	v_mul_f64 v[6:7], v[30:31], v[12:13]
	v_mul_f64 v[12:13], v[28:29], v[12:13]
	v_fma_f64 v[6:7], v[28:29], v[10:11], -v[6:7]
	v_fmac_f64_e32 v[12:13], v[30:31], v[10:11]
	v_add_f64 v[2:3], v[2:3], v[6:7]
	v_add_f64 v[4:5], v[4:5], v[12:13]
	s_and_saveexec_b64 s[12:13], s[2:3]
	s_cbranch_execz .LBB4_53
; %bb.52:
	scratch_load_dwordx4 v[10:13], off, off offset:32
	v_mov_b32_e32 v6, 0
	ds_read_b128 v[28:31], v6 offset:112
	s_waitcnt vmcnt(0) lgkmcnt(0)
	v_mul_f64 v[6:7], v[28:29], v[12:13]
	v_mul_f64 v[12:13], v[30:31], v[12:13]
	v_fmac_f64_e32 v[6:7], v[30:31], v[10:11]
	v_fma_f64 v[10:11], v[28:29], v[10:11], -v[12:13]
	v_add_f64 v[4:5], v[4:5], v[6:7]
	v_add_f64 v[2:3], v[2:3], v[10:11]
.LBB4_53:
	s_or_b64 exec, exec, s[12:13]
.LBB4_54:
	s_or_b64 exec, exec, s[10:11]
	v_mov_b32_e32 v6, 0
	ds_read_b128 v[10:13], v6 offset:48
	s_waitcnt lgkmcnt(0)
	v_mul_f64 v[6:7], v[4:5], v[12:13]
	v_mul_f64 v[30:31], v[2:3], v[12:13]
	v_fma_f64 v[28:29], v[2:3], v[10:11], -v[6:7]
	v_fmac_f64_e32 v[30:31], v[4:5], v[10:11]
	scratch_store_dwordx4 off, v[28:31], off offset:48
.LBB4_55:
	s_or_b64 exec, exec, s[6:7]
	scratch_load_dwordx4 v[2:5], v25, off
	v_cmp_ne_u32_e32 vcc, 4, v0
                                        ; implicit-def: $vgpr6_vgpr7
                                        ; implicit-def: $vgpr10
	s_waitcnt vmcnt(0)
	ds_write_b128 v9, v[2:5]
	s_waitcnt lgkmcnt(0)
	; wave barrier
	s_waitcnt lgkmcnt(0)
	s_and_saveexec_b64 s[2:3], vcc
	s_cbranch_execz .LBB4_63
; %bb.56:
	ds_read_b128 v[2:5], v9
	s_and_b64 vcc, exec, s[0:1]
	s_cbranch_vccnz .LBB4_58
; %bb.57:
	scratch_load_dwordx4 v[6:9], v8, off
	s_waitcnt vmcnt(0) lgkmcnt(0)
	v_mul_f64 v[10:11], v[4:5], v[8:9]
	v_mul_f64 v[8:9], v[2:3], v[8:9]
	v_fmac_f64_e32 v[8:9], v[4:5], v[6:7]
	v_fma_f64 v[2:3], v[2:3], v[6:7], -v[10:11]
	v_mov_b64_e32 v[4:5], v[8:9]
.LBB4_58:
	s_and_saveexec_b64 s[0:1], s[4:5]
	s_cbranch_execz .LBB4_62
; %bb.59:
	v_mov_b32_e32 v7, 0
	v_add_u32_e32 v6, 0x60, v24
	v_add3_u32 v7, v24, v7, 24
	s_mov_b64 s[4:5], 0
.LBB4_60:                               ; =>This Inner Loop Header: Depth=1
	v_add_u32_e32 v8, -8, v7
	scratch_load_dwordx4 v[8:11], v8, off
	ds_read_b128 v[28:31], v6
	v_add_u32_e32 v0, 1, v0
	v_cmp_lt_u32_e32 vcc, 2, v0
	v_add_u32_e32 v6, 16, v6
	v_add_u32_e32 v7, 16, v7
	s_or_b64 s[4:5], vcc, s[4:5]
	s_waitcnt vmcnt(0) lgkmcnt(0)
	v_mul_f64 v[12:13], v[30:31], v[10:11]
	v_mul_f64 v[10:11], v[28:29], v[10:11]
	v_fma_f64 v[12:13], v[28:29], v[8:9], -v[12:13]
	v_fmac_f64_e32 v[10:11], v[30:31], v[8:9]
	v_add_f64 v[2:3], v[2:3], v[12:13]
	v_add_f64 v[4:5], v[4:5], v[10:11]
	s_andn2_b64 exec, exec, s[4:5]
	s_cbranch_execnz .LBB4_60
; %bb.61:
	s_or_b64 exec, exec, s[4:5]
.LBB4_62:
	s_or_b64 exec, exec, s[0:1]
	v_mov_b32_e32 v0, 0
	ds_read_b128 v[28:31], v0 offset:64
	v_mov_b32_e32 v0, 0
	v_add_u32_e32 v10, 0x48, v0
	s_or_b64 s[8:9], s[8:9], exec
	s_waitcnt lgkmcnt(0)
	v_mul_f64 v[8:9], v[4:5], v[30:31]
	v_mul_f64 v[6:7], v[2:3], v[30:31]
	v_fma_f64 v[2:3], v[2:3], v[28:29], -v[8:9]
	v_fmac_f64_e32 v[6:7], v[4:5], v[28:29]
	scratch_store_dwordx2 off, v[2:3], off offset:64
.LBB4_63:
	s_or_b64 exec, exec, s[2:3]
.LBB4_64:
	s_and_saveexec_b64 s[0:1], s[8:9]
	s_cbranch_execz .LBB4_66
; %bb.65:
	scratch_store_dwordx2 v10, v[6:7], off
.LBB4_66:
	s_or_b64 exec, exec, s[0:1]
	scratch_load_dwordx4 v[2:5], off, off
	scratch_load_dwordx4 v[6:9], v26, off
	scratch_load_dwordx4 v[10:13], v1, off
	;; [unrolled: 1-line block ×4, first 2 shown]
	s_waitcnt vmcnt(4)
	global_store_dwordx4 v[14:15], v[2:5], off
	s_waitcnt vmcnt(4)
	global_store_dwordx4 v[16:17], v[6:9], off
	s_waitcnt vmcnt(4)
	global_store_dwordx4 v[18:19], v[10:13], off
	s_waitcnt vmcnt(4)
	global_store_dwordx4 v[20:21], v[28:31], off
	s_waitcnt vmcnt(4)
	global_store_dwordx4 v[22:23], v[32:35], off
.LBB4_67:
	s_endpgm
	.section	.rodata,"a",@progbits
	.p2align	6, 0x0
	.amdhsa_kernel _ZN9rocsolver6v33100L18trti2_kernel_smallILi5E19rocblas_complex_numIdEPS3_EEv13rocblas_fill_17rocblas_diagonal_T1_iil
		.amdhsa_group_segment_fixed_size 160
		.amdhsa_private_segment_fixed_size 96
		.amdhsa_kernarg_size 32
		.amdhsa_user_sgpr_count 2
		.amdhsa_user_sgpr_dispatch_ptr 0
		.amdhsa_user_sgpr_queue_ptr 0
		.amdhsa_user_sgpr_kernarg_segment_ptr 1
		.amdhsa_user_sgpr_dispatch_id 0
		.amdhsa_user_sgpr_kernarg_preload_length 0
		.amdhsa_user_sgpr_kernarg_preload_offset 0
		.amdhsa_user_sgpr_private_segment_size 0
		.amdhsa_uses_dynamic_stack 0
		.amdhsa_enable_private_segment 1
		.amdhsa_system_sgpr_workgroup_id_x 1
		.amdhsa_system_sgpr_workgroup_id_y 0
		.amdhsa_system_sgpr_workgroup_id_z 0
		.amdhsa_system_sgpr_workgroup_info 0
		.amdhsa_system_vgpr_workitem_id 0
		.amdhsa_next_free_vgpr 38
		.amdhsa_next_free_sgpr 14
		.amdhsa_accum_offset 40
		.amdhsa_reserve_vcc 1
		.amdhsa_float_round_mode_32 0
		.amdhsa_float_round_mode_16_64 0
		.amdhsa_float_denorm_mode_32 3
		.amdhsa_float_denorm_mode_16_64 3
		.amdhsa_dx10_clamp 1
		.amdhsa_ieee_mode 1
		.amdhsa_fp16_overflow 0
		.amdhsa_tg_split 0
		.amdhsa_exception_fp_ieee_invalid_op 0
		.amdhsa_exception_fp_denorm_src 0
		.amdhsa_exception_fp_ieee_div_zero 0
		.amdhsa_exception_fp_ieee_overflow 0
		.amdhsa_exception_fp_ieee_underflow 0
		.amdhsa_exception_fp_ieee_inexact 0
		.amdhsa_exception_int_div_zero 0
	.end_amdhsa_kernel
	.section	.text._ZN9rocsolver6v33100L18trti2_kernel_smallILi5E19rocblas_complex_numIdEPS3_EEv13rocblas_fill_17rocblas_diagonal_T1_iil,"axG",@progbits,_ZN9rocsolver6v33100L18trti2_kernel_smallILi5E19rocblas_complex_numIdEPS3_EEv13rocblas_fill_17rocblas_diagonal_T1_iil,comdat
.Lfunc_end4:
	.size	_ZN9rocsolver6v33100L18trti2_kernel_smallILi5E19rocblas_complex_numIdEPS3_EEv13rocblas_fill_17rocblas_diagonal_T1_iil, .Lfunc_end4-_ZN9rocsolver6v33100L18trti2_kernel_smallILi5E19rocblas_complex_numIdEPS3_EEv13rocblas_fill_17rocblas_diagonal_T1_iil
                                        ; -- End function
	.section	.AMDGPU.csdata,"",@progbits
; Kernel info:
; codeLenInByte = 3028
; NumSgprs: 20
; NumVgprs: 38
; NumAgprs: 0
; TotalNumVgprs: 38
; ScratchSize: 96
; MemoryBound: 0
; FloatMode: 240
; IeeeMode: 1
; LDSByteSize: 160 bytes/workgroup (compile time only)
; SGPRBlocks: 2
; VGPRBlocks: 4
; NumSGPRsForWavesPerEU: 20
; NumVGPRsForWavesPerEU: 38
; AccumOffset: 40
; Occupancy: 8
; WaveLimiterHint : 0
; COMPUTE_PGM_RSRC2:SCRATCH_EN: 1
; COMPUTE_PGM_RSRC2:USER_SGPR: 2
; COMPUTE_PGM_RSRC2:TRAP_HANDLER: 0
; COMPUTE_PGM_RSRC2:TGID_X_EN: 1
; COMPUTE_PGM_RSRC2:TGID_Y_EN: 0
; COMPUTE_PGM_RSRC2:TGID_Z_EN: 0
; COMPUTE_PGM_RSRC2:TIDIG_COMP_CNT: 0
; COMPUTE_PGM_RSRC3_GFX90A:ACCUM_OFFSET: 9
; COMPUTE_PGM_RSRC3_GFX90A:TG_SPLIT: 0
	.section	.text._ZN9rocsolver6v33100L18trti2_kernel_smallILi6E19rocblas_complex_numIdEPS3_EEv13rocblas_fill_17rocblas_diagonal_T1_iil,"axG",@progbits,_ZN9rocsolver6v33100L18trti2_kernel_smallILi6E19rocblas_complex_numIdEPS3_EEv13rocblas_fill_17rocblas_diagonal_T1_iil,comdat
	.globl	_ZN9rocsolver6v33100L18trti2_kernel_smallILi6E19rocblas_complex_numIdEPS3_EEv13rocblas_fill_17rocblas_diagonal_T1_iil ; -- Begin function _ZN9rocsolver6v33100L18trti2_kernel_smallILi6E19rocblas_complex_numIdEPS3_EEv13rocblas_fill_17rocblas_diagonal_T1_iil
	.p2align	8
	.type	_ZN9rocsolver6v33100L18trti2_kernel_smallILi6E19rocblas_complex_numIdEPS3_EEv13rocblas_fill_17rocblas_diagonal_T1_iil,@function
_ZN9rocsolver6v33100L18trti2_kernel_smallILi6E19rocblas_complex_numIdEPS3_EEv13rocblas_fill_17rocblas_diagonal_T1_iil: ; @_ZN9rocsolver6v33100L18trti2_kernel_smallILi6E19rocblas_complex_numIdEPS3_EEv13rocblas_fill_17rocblas_diagonal_T1_iil
; %bb.0:
	v_cmp_gt_u32_e32 vcc, 6, v0
	s_and_saveexec_b64 s[4:5], vcc
	s_cbranch_execz .LBB5_83
; %bb.1:
	s_load_dwordx8 s[4:11], s[0:1], 0x0
	s_ashr_i32 s3, s2, 31
	v_lshlrev_b32_e32 v26, 4, v0
	v_mov_b32_e32 v27, 0
	v_mov_b32_e32 v12, 0
	s_waitcnt lgkmcnt(0)
	s_ashr_i32 s1, s8, 31
	s_mov_b32 s0, s8
	s_mul_i32 s8, s2, s11
	s_mul_hi_u32 s11, s2, s10
	s_add_i32 s8, s11, s8
	s_mul_i32 s3, s3, s10
	s_add_i32 s3, s8, s3
	s_mul_i32 s2, s2, s10
	s_lshl_b64 s[2:3], s[2:3], 4
	s_add_u32 s2, s6, s2
	s_addc_u32 s3, s7, s3
	s_lshl_b64 s[0:1], s[0:1], 4
	s_add_u32 s0, s2, s0
	s_addc_u32 s1, s3, s1
	v_lshl_add_u64 v[14:15], s[0:1], 0, v[26:27]
	s_ashr_i32 s3, s9, 31
	s_mov_b32 s2, s9
	v_lshl_add_u64 v[16:17], s[2:3], 4, v[14:15]
	s_add_i32 s2, s9, s9
	v_add_u32_e32 v10, s2, v0
	v_ashrrev_i32_e32 v11, 31, v10
	v_lshl_add_u64 v[18:19], v[10:11], 4, s[0:1]
	v_add_u32_e32 v10, s9, v10
	v_ashrrev_i32_e32 v11, 31, v10
	v_lshl_add_u64 v[20:21], v[10:11], 4, s[0:1]
	;; [unrolled: 3-line block ×4, first 2 shown]
	global_load_dwordx4 v[2:5], v26, s[0:1]
	global_load_dwordx4 v[6:9], v[16:17], off
	global_load_dwordx4 v[28:31], v[18:19], off
	;; [unrolled: 1-line block ×5, first 2 shown]
	s_cmpk_lg_i32 s5, 0x84
	s_cselect_b64 s[6:7], -1, 0
	s_cmpk_eq_i32 s5, 0x84
	s_waitcnt vmcnt(5)
	scratch_store_dwordx4 off, v[2:5], off
	s_waitcnt vmcnt(5)
	scratch_store_dwordx4 off, v[6:9], off offset:16
	s_waitcnt vmcnt(5)
	scratch_store_dwordx4 off, v[28:31], off offset:32
	s_waitcnt vmcnt(5)
	scratch_store_dwordx4 off, v[32:35], off offset:48
	s_waitcnt vmcnt(5)
	scratch_store_dwordx4 off, v[36:39], off offset:64
	s_waitcnt vmcnt(5)
	scratch_store_dwordx4 off, v[40:43], off offset:80
	s_cbranch_scc1 .LBB5_7
; %bb.2:
	scratch_load_dwordx4 v[2:5], v26, off
                                        ; implicit-def: $vgpr10_vgpr11
	s_waitcnt vmcnt(0)
	v_xor_b32_e32 v1, 0x80000000, v3
	v_cmp_gt_f64_e32 vcc, 0, v[2:3]
	v_xor_b32_e32 v8, 0x80000000, v5
	v_mov_b32_e32 v6, v2
	v_cndmask_b32_e32 v7, v3, v1, vcc
	v_cmp_gt_f64_e32 vcc, 0, v[4:5]
	s_nop 1
	v_cndmask_b32_e32 v9, v5, v8, vcc
	v_mov_b32_e32 v8, v4
	v_cmp_ngt_f64_e32 vcc, v[6:7], v[8:9]
                                        ; implicit-def: $vgpr6_vgpr7
	s_and_saveexec_b64 s[0:1], vcc
	s_xor_b64 s[0:1], exec, s[0:1]
	s_cbranch_execz .LBB5_4
; %bb.3:
	v_div_scale_f64 v[6:7], s[2:3], v[4:5], v[4:5], v[2:3]
	v_rcp_f64_e32 v[8:9], v[6:7]
	v_div_scale_f64 v[10:11], vcc, v[2:3], v[4:5], v[2:3]
	v_fma_f64 v[28:29], -v[6:7], v[8:9], 1.0
	v_fmac_f64_e32 v[8:9], v[8:9], v[28:29]
	v_fma_f64 v[28:29], -v[6:7], v[8:9], 1.0
	v_fmac_f64_e32 v[8:9], v[8:9], v[28:29]
	v_mul_f64 v[28:29], v[10:11], v[8:9]
	v_fma_f64 v[6:7], -v[6:7], v[28:29], v[10:11]
	v_div_fmas_f64 v[6:7], v[6:7], v[8:9], v[28:29]
	v_div_fixup_f64 v[6:7], v[6:7], v[4:5], v[2:3]
	v_fmac_f64_e32 v[4:5], v[2:3], v[6:7]
	v_div_scale_f64 v[2:3], s[2:3], v[4:5], v[4:5], 1.0
	v_rcp_f64_e32 v[8:9], v[2:3]
	s_nop 0
	v_fma_f64 v[10:11], -v[2:3], v[8:9], 1.0
	v_fmac_f64_e32 v[8:9], v[8:9], v[10:11]
	v_fma_f64 v[10:11], -v[2:3], v[8:9], 1.0
	v_fmac_f64_e32 v[8:9], v[8:9], v[10:11]
	v_div_scale_f64 v[10:11], vcc, 1.0, v[4:5], 1.0
	v_mul_f64 v[28:29], v[10:11], v[8:9]
	v_fma_f64 v[2:3], -v[2:3], v[28:29], v[10:11]
	s_nop 1
	v_div_fmas_f64 v[2:3], v[2:3], v[8:9], v[28:29]
	v_div_fixup_f64 v[8:9], v[2:3], v[4:5], 1.0
	v_mul_f64 v[6:7], v[6:7], v[8:9]
	v_xor_b32_e32 v9, 0x80000000, v9
	v_xor_b32_e32 v11, 0x80000000, v7
	v_mov_b32_e32 v10, v6
                                        ; implicit-def: $vgpr2_vgpr3
.LBB5_4:
	s_or_saveexec_b64 s[0:1], s[0:1]
	v_add_u32_e32 v1, 0, v26
	s_xor_b64 exec, exec, s[0:1]
	s_cbranch_execz .LBB5_6
; %bb.5:
	v_div_scale_f64 v[6:7], s[2:3], v[2:3], v[2:3], v[4:5]
	v_rcp_f64_e32 v[8:9], v[6:7]
	v_div_scale_f64 v[10:11], vcc, v[4:5], v[2:3], v[4:5]
	v_fma_f64 v[28:29], -v[6:7], v[8:9], 1.0
	v_fmac_f64_e32 v[8:9], v[8:9], v[28:29]
	v_fma_f64 v[28:29], -v[6:7], v[8:9], 1.0
	v_fmac_f64_e32 v[8:9], v[8:9], v[28:29]
	v_mul_f64 v[28:29], v[10:11], v[8:9]
	v_fma_f64 v[6:7], -v[6:7], v[28:29], v[10:11]
	v_div_fmas_f64 v[6:7], v[6:7], v[8:9], v[28:29]
	v_div_fixup_f64 v[8:9], v[6:7], v[2:3], v[4:5]
	v_fmac_f64_e32 v[2:3], v[4:5], v[8:9]
	v_div_scale_f64 v[4:5], s[2:3], v[2:3], v[2:3], 1.0
	v_rcp_f64_e32 v[6:7], v[4:5]
	s_nop 0
	v_fma_f64 v[10:11], -v[4:5], v[6:7], 1.0
	v_fmac_f64_e32 v[6:7], v[6:7], v[10:11]
	v_fma_f64 v[10:11], -v[4:5], v[6:7], 1.0
	v_fmac_f64_e32 v[6:7], v[6:7], v[10:11]
	v_div_scale_f64 v[10:11], vcc, 1.0, v[2:3], 1.0
	v_mul_f64 v[28:29], v[10:11], v[6:7]
	v_fma_f64 v[4:5], -v[4:5], v[28:29], v[10:11]
	s_nop 1
	v_div_fmas_f64 v[4:5], v[4:5], v[6:7], v[28:29]
	v_div_fixup_f64 v[6:7], v[4:5], v[2:3], 1.0
	v_xor_b32_e32 v11, 0x80000000, v7
	v_mov_b32_e32 v10, v6
	v_mul_f64 v[8:9], v[8:9], -v[6:7]
.LBB5_6:
	s_or_b64 exec, exec, s[0:1]
	scratch_store_dwordx4 v1, v[6:9], off
	s_nop 1
	v_xor_b32_e32 v9, 0x80000000, v9
	s_branch .LBB5_8
.LBB5_7:
	v_mov_b64_e32 v[8:9], 0
	v_mov_b64_e32 v[10:11], -1.0
.LBB5_8:
	v_add_u32_e32 v1, 16, v12
	v_add_u32_e32 v27, 32, v12
	v_add_u32_e32 v29, 48, v12
	v_add_u32_e32 v28, 64, v12
	v_add_u32_e32 v30, 0x50, v12
	v_mov_b32_e32 v12, v8
	v_mov_b32_e32 v13, v9
	s_cmpk_eq_i32 s4, 0x79
	v_add_u32_e32 v9, 0x60, v26
	v_add_u32_e32 v8, 0, v26
	ds_write_b128 v26, v[10:13]
	s_cbranch_scc1 .LBB5_44
; %bb.9:
	scratch_load_dwordx4 v[2:5], v28, off
	v_cmp_eq_u32_e64 s[2:3], 5, v0
	s_waitcnt vmcnt(0)
	ds_write_b128 v9, v[2:5]
	s_waitcnt lgkmcnt(0)
	; wave barrier
	s_waitcnt lgkmcnt(0)
	s_and_saveexec_b64 s[0:1], s[2:3]
	s_cbranch_execz .LBB5_13
; %bb.10:
	ds_read_b128 v[2:5], v9
	s_andn2_b64 vcc, exec, s[6:7]
	s_cbranch_vccnz .LBB5_12
; %bb.11:
	scratch_load_dwordx4 v[10:13], v8, off
	s_waitcnt vmcnt(0) lgkmcnt(0)
	v_mul_f64 v[6:7], v[4:5], v[12:13]
	v_mul_f64 v[12:13], v[2:3], v[12:13]
	v_fmac_f64_e32 v[12:13], v[4:5], v[10:11]
	v_fma_f64 v[2:3], v[2:3], v[10:11], -v[6:7]
	v_mov_b64_e32 v[4:5], v[12:13]
.LBB5_12:
	v_mov_b32_e32 v6, 0
	ds_read_b128 v[10:13], v6 offset:64
	s_waitcnt lgkmcnt(0)
	v_mul_f64 v[6:7], v[4:5], v[12:13]
	v_mul_f64 v[34:35], v[2:3], v[12:13]
	v_fma_f64 v[32:33], v[2:3], v[10:11], -v[6:7]
	v_fmac_f64_e32 v[34:35], v[4:5], v[10:11]
	scratch_store_dwordx4 off, v[32:35], off offset:64
.LBB5_13:
	s_or_b64 exec, exec, s[0:1]
	scratch_load_dwordx4 v[2:5], v29, off
	v_cmp_lt_u32_e64 s[0:1], 3, v0
	s_waitcnt vmcnt(0)
	ds_write_b128 v9, v[2:5]
	s_waitcnt lgkmcnt(0)
	; wave barrier
	s_waitcnt lgkmcnt(0)
	s_and_saveexec_b64 s[4:5], s[0:1]
	s_cbranch_execz .LBB5_19
; %bb.14:
	ds_read_b128 v[2:5], v9
	s_andn2_b64 vcc, exec, s[6:7]
	s_cbranch_vccnz .LBB5_16
; %bb.15:
	scratch_load_dwordx4 v[10:13], v8, off
	s_waitcnt vmcnt(0) lgkmcnt(0)
	v_mul_f64 v[6:7], v[4:5], v[12:13]
	v_mul_f64 v[12:13], v[2:3], v[12:13]
	v_fmac_f64_e32 v[12:13], v[4:5], v[10:11]
	v_fma_f64 v[2:3], v[2:3], v[10:11], -v[6:7]
	v_mov_b64_e32 v[4:5], v[12:13]
.LBB5_16:
	s_and_saveexec_b64 s[8:9], s[2:3]
	s_cbranch_execz .LBB5_18
; %bb.17:
	scratch_load_dwordx4 v[10:13], off, off offset:64
	v_mov_b32_e32 v6, 0
	ds_read_b128 v[32:35], v6 offset:160
	s_waitcnt vmcnt(0) lgkmcnt(0)
	v_mul_f64 v[6:7], v[32:33], v[12:13]
	v_mul_f64 v[12:13], v[34:35], v[12:13]
	v_fmac_f64_e32 v[6:7], v[34:35], v[10:11]
	v_fma_f64 v[10:11], v[32:33], v[10:11], -v[12:13]
	v_add_f64 v[4:5], v[4:5], v[6:7]
	v_add_f64 v[2:3], v[2:3], v[10:11]
.LBB5_18:
	s_or_b64 exec, exec, s[8:9]
	v_mov_b32_e32 v6, 0
	ds_read_b128 v[10:13], v6 offset:48
	s_waitcnt lgkmcnt(0)
	v_mul_f64 v[6:7], v[4:5], v[12:13]
	v_mul_f64 v[34:35], v[2:3], v[12:13]
	v_fma_f64 v[32:33], v[2:3], v[10:11], -v[6:7]
	v_fmac_f64_e32 v[34:35], v[4:5], v[10:11]
	scratch_store_dwordx4 off, v[32:35], off offset:48
.LBB5_19:
	s_or_b64 exec, exec, s[4:5]
	scratch_load_dwordx4 v[2:5], v27, off
	v_cmp_lt_u32_e64 s[2:3], 2, v0
	s_waitcnt vmcnt(0)
	ds_write_b128 v9, v[2:5]
	s_waitcnt lgkmcnt(0)
	; wave barrier
	s_waitcnt lgkmcnt(0)
	s_and_saveexec_b64 s[4:5], s[2:3]
	s_cbranch_execz .LBB5_27
; %bb.20:
	ds_read_b128 v[2:5], v9
	s_andn2_b64 vcc, exec, s[6:7]
	s_cbranch_vccnz .LBB5_22
; %bb.21:
	scratch_load_dwordx4 v[10:13], v8, off
	s_waitcnt vmcnt(0) lgkmcnt(0)
	v_mul_f64 v[6:7], v[4:5], v[12:13]
	v_mul_f64 v[12:13], v[2:3], v[12:13]
	v_fmac_f64_e32 v[12:13], v[4:5], v[10:11]
	v_fma_f64 v[2:3], v[2:3], v[10:11], -v[6:7]
	v_mov_b64_e32 v[4:5], v[12:13]
.LBB5_22:
	s_and_saveexec_b64 s[8:9], s[0:1]
	s_cbranch_execz .LBB5_26
; %bb.23:
	v_mov_b32_e32 v7, 0
	v_add_u32_e32 v6, -3, v0
	v_add_u32_e32 v7, 56, v7
	s_movk_i32 s10, 0x90
	s_mov_b64 s[0:1], 0
.LBB5_24:                               ; =>This Inner Loop Header: Depth=1
	v_add_u32_e32 v10, -8, v7
	scratch_load_dwordx4 v[10:13], v10, off
	v_mov_b32_e32 v31, s10
	ds_read_b128 v[32:35], v31
	v_add_u32_e32 v6, -1, v6
	s_add_i32 s10, s10, 16
	v_cmp_eq_u32_e32 vcc, 0, v6
	v_add_u32_e32 v7, 16, v7
	s_or_b64 s[0:1], vcc, s[0:1]
	s_waitcnt vmcnt(0) lgkmcnt(0)
	v_mul_f64 v[36:37], v[34:35], v[12:13]
	v_mul_f64 v[12:13], v[32:33], v[12:13]
	v_fma_f64 v[32:33], v[32:33], v[10:11], -v[36:37]
	v_fmac_f64_e32 v[12:13], v[34:35], v[10:11]
	v_add_f64 v[2:3], v[2:3], v[32:33]
	v_add_f64 v[4:5], v[4:5], v[12:13]
	s_andn2_b64 exec, exec, s[0:1]
	s_cbranch_execnz .LBB5_24
; %bb.25:
	s_or_b64 exec, exec, s[0:1]
.LBB5_26:
	s_or_b64 exec, exec, s[8:9]
	v_mov_b32_e32 v6, 0
	ds_read_b128 v[10:13], v6 offset:32
	s_waitcnt lgkmcnt(0)
	v_mul_f64 v[6:7], v[4:5], v[12:13]
	v_mul_f64 v[34:35], v[2:3], v[12:13]
	v_fma_f64 v[32:33], v[2:3], v[10:11], -v[6:7]
	v_fmac_f64_e32 v[34:35], v[4:5], v[10:11]
	scratch_store_dwordx4 off, v[32:35], off offset:32
.LBB5_27:
	s_or_b64 exec, exec, s[4:5]
	scratch_load_dwordx4 v[2:5], v1, off
	v_cmp_lt_u32_e64 s[0:1], 1, v0
	s_waitcnt vmcnt(0)
	ds_write_b128 v9, v[2:5]
	s_waitcnt lgkmcnt(0)
	; wave barrier
	s_waitcnt lgkmcnt(0)
	s_and_saveexec_b64 s[4:5], s[0:1]
	s_cbranch_execz .LBB5_35
; %bb.28:
	ds_read_b128 v[2:5], v9
	s_andn2_b64 vcc, exec, s[6:7]
	s_cbranch_vccnz .LBB5_30
; %bb.29:
	scratch_load_dwordx4 v[10:13], v8, off
	s_waitcnt vmcnt(0) lgkmcnt(0)
	v_mul_f64 v[6:7], v[4:5], v[12:13]
	v_mul_f64 v[12:13], v[2:3], v[12:13]
	v_fmac_f64_e32 v[12:13], v[4:5], v[10:11]
	v_fma_f64 v[2:3], v[2:3], v[10:11], -v[6:7]
	v_mov_b64_e32 v[4:5], v[12:13]
.LBB5_30:
	s_and_saveexec_b64 s[8:9], s[2:3]
	s_cbranch_execz .LBB5_34
; %bb.31:
	v_mov_b32_e32 v7, 0
	v_add_u32_e32 v6, -2, v0
	v_add_u32_e32 v7, 40, v7
	s_movk_i32 s10, 0x80
	s_mov_b64 s[2:3], 0
.LBB5_32:                               ; =>This Inner Loop Header: Depth=1
	v_add_u32_e32 v10, -8, v7
	scratch_load_dwordx4 v[10:13], v10, off
	v_mov_b32_e32 v31, s10
	ds_read_b128 v[32:35], v31
	v_add_u32_e32 v6, -1, v6
	s_add_i32 s10, s10, 16
	v_cmp_eq_u32_e32 vcc, 0, v6
	v_add_u32_e32 v7, 16, v7
	s_or_b64 s[2:3], vcc, s[2:3]
	s_waitcnt vmcnt(0) lgkmcnt(0)
	v_mul_f64 v[36:37], v[34:35], v[12:13]
	v_mul_f64 v[12:13], v[32:33], v[12:13]
	v_fma_f64 v[32:33], v[32:33], v[10:11], -v[36:37]
	v_fmac_f64_e32 v[12:13], v[34:35], v[10:11]
	v_add_f64 v[2:3], v[2:3], v[32:33]
	v_add_f64 v[4:5], v[4:5], v[12:13]
	s_andn2_b64 exec, exec, s[2:3]
	s_cbranch_execnz .LBB5_32
; %bb.33:
	s_or_b64 exec, exec, s[2:3]
.LBB5_34:
	s_or_b64 exec, exec, s[8:9]
	v_mov_b32_e32 v6, 0
	ds_read_b128 v[10:13], v6 offset:16
	s_waitcnt lgkmcnt(0)
	v_mul_f64 v[6:7], v[4:5], v[12:13]
	v_mul_f64 v[34:35], v[2:3], v[12:13]
	v_fma_f64 v[32:33], v[2:3], v[10:11], -v[6:7]
	v_fmac_f64_e32 v[34:35], v[4:5], v[10:11]
	scratch_store_dwordx4 off, v[32:35], off offset:16
.LBB5_35:
	s_or_b64 exec, exec, s[4:5]
	scratch_load_dwordx4 v[2:5], off, off
	v_cmp_ne_u32_e32 vcc, 0, v0
	s_mov_b64 s[2:3], 0
	s_mov_b64 s[4:5], 0
                                        ; implicit-def: $vgpr6_vgpr7
                                        ; implicit-def: $vgpr10
	s_waitcnt vmcnt(0)
	ds_write_b128 v9, v[2:5]
	s_waitcnt lgkmcnt(0)
	; wave barrier
	s_waitcnt lgkmcnt(0)
	s_and_saveexec_b64 s[8:9], vcc
	s_cbranch_execz .LBB5_43
; %bb.36:
	ds_read_b128 v[2:5], v9
	s_andn2_b64 vcc, exec, s[6:7]
	s_cbranch_vccnz .LBB5_38
; %bb.37:
	scratch_load_dwordx4 v[10:13], v8, off
	s_waitcnt vmcnt(0) lgkmcnt(0)
	v_mul_f64 v[6:7], v[4:5], v[12:13]
	v_mul_f64 v[12:13], v[2:3], v[12:13]
	v_fmac_f64_e32 v[12:13], v[4:5], v[10:11]
	v_fma_f64 v[2:3], v[2:3], v[10:11], -v[6:7]
	v_mov_b64_e32 v[4:5], v[12:13]
.LBB5_38:
	s_and_saveexec_b64 s[4:5], s[0:1]
	s_cbranch_execz .LBB5_42
; %bb.39:
	v_mov_b32_e32 v7, 0
	v_add_u32_e32 v6, -1, v0
	v_add_u32_e32 v7, 24, v7
	s_movk_i32 s10, 0x70
	s_mov_b64 s[0:1], 0
.LBB5_40:                               ; =>This Inner Loop Header: Depth=1
	v_add_u32_e32 v10, -8, v7
	scratch_load_dwordx4 v[10:13], v10, off
	v_mov_b32_e32 v31, s10
	ds_read_b128 v[32:35], v31
	v_add_u32_e32 v6, -1, v6
	s_add_i32 s10, s10, 16
	v_cmp_eq_u32_e32 vcc, 0, v6
	v_add_u32_e32 v7, 16, v7
	s_or_b64 s[0:1], vcc, s[0:1]
	s_waitcnt vmcnt(0) lgkmcnt(0)
	v_mul_f64 v[36:37], v[34:35], v[12:13]
	v_mul_f64 v[12:13], v[32:33], v[12:13]
	v_fma_f64 v[32:33], v[32:33], v[10:11], -v[36:37]
	v_fmac_f64_e32 v[12:13], v[34:35], v[10:11]
	v_add_f64 v[2:3], v[2:3], v[32:33]
	v_add_f64 v[4:5], v[4:5], v[12:13]
	s_andn2_b64 exec, exec, s[0:1]
	s_cbranch_execnz .LBB5_40
; %bb.41:
	s_or_b64 exec, exec, s[0:1]
.LBB5_42:
	s_or_b64 exec, exec, s[4:5]
	v_mov_b32_e32 v6, 0
	ds_read_b128 v[32:35], v6
	v_mov_b32_e32 v6, 0
	v_or_b32_e32 v10, 8, v6
	s_mov_b64 s[4:5], exec
	s_waitcnt lgkmcnt(0)
	v_mul_f64 v[12:13], v[4:5], v[34:35]
	v_mul_f64 v[6:7], v[2:3], v[34:35]
	v_fma_f64 v[2:3], v[2:3], v[32:33], -v[12:13]
	v_fmac_f64_e32 v[6:7], v[4:5], v[32:33]
	scratch_store_dwordx2 off, v[2:3], off
.LBB5_43:
	s_or_b64 exec, exec, s[8:9]
	s_and_b64 vcc, exec, s[2:3]
	s_cbranch_vccnz .LBB5_45
	s_branch .LBB5_80
.LBB5_44:
	s_mov_b64 s[4:5], 0
                                        ; implicit-def: $vgpr6_vgpr7
                                        ; implicit-def: $vgpr10
	s_cbranch_execz .LBB5_80
.LBB5_45:
	scratch_load_dwordx4 v[2:5], v1, off
	v_cndmask_b32_e64 v6, 0, 1, s[6:7]
	v_cmp_eq_u32_e64 s[2:3], 0, v0
	v_cmp_ne_u32_e64 s[0:1], 1, v6
	s_waitcnt vmcnt(0)
	ds_write_b128 v9, v[2:5]
	s_waitcnt lgkmcnt(0)
	; wave barrier
	s_waitcnt lgkmcnt(0)
	s_and_saveexec_b64 s[6:7], s[2:3]
	s_cbranch_execz .LBB5_49
; %bb.46:
	ds_read_b128 v[2:5], v9
	s_and_b64 vcc, exec, s[0:1]
	s_cbranch_vccnz .LBB5_48
; %bb.47:
	scratch_load_dwordx4 v[10:13], v8, off
	s_waitcnt vmcnt(0) lgkmcnt(0)
	v_mul_f64 v[6:7], v[4:5], v[12:13]
	v_mul_f64 v[12:13], v[2:3], v[12:13]
	v_fmac_f64_e32 v[12:13], v[4:5], v[10:11]
	v_fma_f64 v[2:3], v[2:3], v[10:11], -v[6:7]
	v_mov_b64_e32 v[4:5], v[12:13]
.LBB5_48:
	v_mov_b32_e32 v6, 0
	ds_read_b128 v[10:13], v6 offset:16
	s_waitcnt lgkmcnt(0)
	v_mul_f64 v[6:7], v[4:5], v[12:13]
	v_mul_f64 v[34:35], v[2:3], v[12:13]
	v_fma_f64 v[32:33], v[2:3], v[10:11], -v[6:7]
	v_fmac_f64_e32 v[34:35], v[4:5], v[10:11]
	scratch_store_dwordx4 off, v[32:35], off offset:16
.LBB5_49:
	s_or_b64 exec, exec, s[6:7]
	scratch_load_dwordx4 v[2:5], v27, off
	v_cmp_gt_u32_e32 vcc, 2, v0
	s_waitcnt vmcnt(0)
	ds_write_b128 v9, v[2:5]
	s_waitcnt lgkmcnt(0)
	; wave barrier
	s_waitcnt lgkmcnt(0)
	s_and_saveexec_b64 s[6:7], vcc
	s_cbranch_execz .LBB5_55
; %bb.50:
	ds_read_b128 v[2:5], v9
	s_and_b64 vcc, exec, s[0:1]
	s_cbranch_vccnz .LBB5_52
; %bb.51:
	scratch_load_dwordx4 v[10:13], v8, off
	s_waitcnt vmcnt(0) lgkmcnt(0)
	v_mul_f64 v[6:7], v[4:5], v[12:13]
	v_mul_f64 v[12:13], v[2:3], v[12:13]
	v_fmac_f64_e32 v[12:13], v[4:5], v[10:11]
	v_fma_f64 v[2:3], v[2:3], v[10:11], -v[6:7]
	v_mov_b64_e32 v[4:5], v[12:13]
.LBB5_52:
	s_and_saveexec_b64 s[8:9], s[2:3]
	s_cbranch_execz .LBB5_54
; %bb.53:
	scratch_load_dwordx4 v[10:13], v8, off offset:16
	ds_read_b128 v[32:35], v9 offset:16
	s_waitcnt vmcnt(0) lgkmcnt(0)
	v_mul_f64 v[6:7], v[34:35], v[12:13]
	v_mul_f64 v[12:13], v[32:33], v[12:13]
	v_fma_f64 v[6:7], v[32:33], v[10:11], -v[6:7]
	v_fmac_f64_e32 v[12:13], v[34:35], v[10:11]
	v_add_f64 v[2:3], v[2:3], v[6:7]
	v_add_f64 v[4:5], v[4:5], v[12:13]
.LBB5_54:
	s_or_b64 exec, exec, s[8:9]
	v_mov_b32_e32 v6, 0
	ds_read_b128 v[10:13], v6 offset:32
	s_waitcnt lgkmcnt(0)
	v_mul_f64 v[6:7], v[4:5], v[12:13]
	v_mul_f64 v[34:35], v[2:3], v[12:13]
	v_fma_f64 v[32:33], v[2:3], v[10:11], -v[6:7]
	v_fmac_f64_e32 v[34:35], v[4:5], v[10:11]
	scratch_store_dwordx4 off, v[32:35], off offset:32
.LBB5_55:
	s_or_b64 exec, exec, s[6:7]
	scratch_load_dwordx4 v[2:5], v29, off
	v_cmp_gt_u32_e32 vcc, 3, v0
	s_waitcnt vmcnt(0)
	ds_write_b128 v9, v[2:5]
	s_waitcnt lgkmcnt(0)
	; wave barrier
	s_waitcnt lgkmcnt(0)
	s_and_saveexec_b64 s[6:7], vcc
	s_cbranch_execz .LBB5_63
; %bb.56:
	ds_read_b128 v[2:5], v9
	s_and_b64 vcc, exec, s[0:1]
	s_cbranch_vccnz .LBB5_58
; %bb.57:
	scratch_load_dwordx4 v[10:13], v8, off
	s_waitcnt vmcnt(0) lgkmcnt(0)
	v_mul_f64 v[6:7], v[4:5], v[12:13]
	v_mul_f64 v[12:13], v[2:3], v[12:13]
	v_fmac_f64_e32 v[12:13], v[4:5], v[10:11]
	v_fma_f64 v[2:3], v[2:3], v[10:11], -v[6:7]
	v_mov_b64_e32 v[4:5], v[12:13]
.LBB5_58:
	v_cmp_ne_u32_e32 vcc, 2, v0
	s_and_saveexec_b64 s[8:9], vcc
	s_cbranch_execz .LBB5_62
; %bb.59:
	scratch_load_dwordx4 v[10:13], v8, off offset:16
	ds_read_b128 v[32:35], v9 offset:16
	s_waitcnt vmcnt(0) lgkmcnt(0)
	v_mul_f64 v[6:7], v[34:35], v[12:13]
	v_mul_f64 v[12:13], v[32:33], v[12:13]
	v_fma_f64 v[6:7], v[32:33], v[10:11], -v[6:7]
	v_fmac_f64_e32 v[12:13], v[34:35], v[10:11]
	v_add_f64 v[2:3], v[2:3], v[6:7]
	v_add_f64 v[4:5], v[4:5], v[12:13]
	s_and_saveexec_b64 s[10:11], s[2:3]
	s_cbranch_execz .LBB5_61
; %bb.60:
	scratch_load_dwordx4 v[10:13], off, off offset:32
	v_mov_b32_e32 v6, 0
	ds_read_b128 v[32:35], v6 offset:128
	s_waitcnt vmcnt(0) lgkmcnt(0)
	v_mul_f64 v[6:7], v[32:33], v[12:13]
	v_mul_f64 v[12:13], v[34:35], v[12:13]
	v_fmac_f64_e32 v[6:7], v[34:35], v[10:11]
	v_fma_f64 v[10:11], v[32:33], v[10:11], -v[12:13]
	v_add_f64 v[4:5], v[4:5], v[6:7]
	v_add_f64 v[2:3], v[2:3], v[10:11]
.LBB5_61:
	s_or_b64 exec, exec, s[10:11]
.LBB5_62:
	s_or_b64 exec, exec, s[8:9]
	v_mov_b32_e32 v6, 0
	ds_read_b128 v[10:13], v6 offset:48
	s_waitcnt lgkmcnt(0)
	v_mul_f64 v[6:7], v[4:5], v[12:13]
	v_mul_f64 v[34:35], v[2:3], v[12:13]
	v_fma_f64 v[32:33], v[2:3], v[10:11], -v[6:7]
	v_fmac_f64_e32 v[34:35], v[4:5], v[10:11]
	scratch_store_dwordx4 off, v[32:35], off offset:48
.LBB5_63:
	s_or_b64 exec, exec, s[6:7]
	scratch_load_dwordx4 v[2:5], v28, off
	v_cmp_gt_u32_e64 s[2:3], 4, v0
	s_waitcnt vmcnt(0)
	ds_write_b128 v9, v[2:5]
	s_waitcnt lgkmcnt(0)
	; wave barrier
	s_waitcnt lgkmcnt(0)
	s_and_saveexec_b64 s[6:7], s[2:3]
	s_cbranch_execz .LBB5_71
; %bb.64:
	ds_read_b128 v[2:5], v9
	s_and_b64 vcc, exec, s[0:1]
	s_cbranch_vccnz .LBB5_66
; %bb.65:
	scratch_load_dwordx4 v[10:13], v8, off
	s_waitcnt vmcnt(0) lgkmcnt(0)
	v_mul_f64 v[6:7], v[4:5], v[12:13]
	v_mul_f64 v[12:13], v[2:3], v[12:13]
	v_fmac_f64_e32 v[12:13], v[4:5], v[10:11]
	v_fma_f64 v[2:3], v[2:3], v[10:11], -v[6:7]
	v_mov_b64_e32 v[4:5], v[12:13]
.LBB5_66:
	v_cmp_ne_u32_e32 vcc, 3, v0
	s_and_saveexec_b64 s[8:9], vcc
	s_cbranch_execz .LBB5_70
; %bb.67:
	v_mov_b32_e32 v7, 0
	v_add_u32_e32 v6, 0x70, v26
	v_add3_u32 v7, v26, v7, 24
	s_mov_b64 s[10:11], 0
	v_mov_b32_e32 v10, v0
.LBB5_68:                               ; =>This Inner Loop Header: Depth=1
	v_add_u32_e32 v11, -8, v7
	scratch_load_dwordx4 v[32:35], v11, off
	ds_read_b128 v[36:39], v6
	v_add_u32_e32 v10, 1, v10
	v_cmp_lt_u32_e32 vcc, 2, v10
	v_add_u32_e32 v6, 16, v6
	v_add_u32_e32 v7, 16, v7
	s_or_b64 s[10:11], vcc, s[10:11]
	s_waitcnt vmcnt(0) lgkmcnt(0)
	v_mul_f64 v[12:13], v[38:39], v[34:35]
	v_mul_f64 v[34:35], v[36:37], v[34:35]
	v_fma_f64 v[12:13], v[36:37], v[32:33], -v[12:13]
	v_fmac_f64_e32 v[34:35], v[38:39], v[32:33]
	v_add_f64 v[2:3], v[2:3], v[12:13]
	v_add_f64 v[4:5], v[4:5], v[34:35]
	s_andn2_b64 exec, exec, s[10:11]
	s_cbranch_execnz .LBB5_68
; %bb.69:
	s_or_b64 exec, exec, s[10:11]
.LBB5_70:
	s_or_b64 exec, exec, s[8:9]
	v_mov_b32_e32 v6, 0
	ds_read_b128 v[10:13], v6 offset:64
	s_waitcnt lgkmcnt(0)
	v_mul_f64 v[6:7], v[4:5], v[12:13]
	v_mul_f64 v[34:35], v[2:3], v[12:13]
	v_fma_f64 v[32:33], v[2:3], v[10:11], -v[6:7]
	v_fmac_f64_e32 v[34:35], v[4:5], v[10:11]
	scratch_store_dwordx4 off, v[32:35], off offset:64
.LBB5_71:
	s_or_b64 exec, exec, s[6:7]
	scratch_load_dwordx4 v[2:5], v30, off
	v_cmp_ne_u32_e32 vcc, 5, v0
                                        ; implicit-def: $vgpr6_vgpr7
                                        ; implicit-def: $vgpr10
	s_waitcnt vmcnt(0)
	ds_write_b128 v9, v[2:5]
	s_waitcnt lgkmcnt(0)
	; wave barrier
	s_waitcnt lgkmcnt(0)
	s_and_saveexec_b64 s[6:7], vcc
	s_cbranch_execz .LBB5_79
; %bb.72:
	ds_read_b128 v[2:5], v9
	s_and_b64 vcc, exec, s[0:1]
	s_cbranch_vccnz .LBB5_74
; %bb.73:
	scratch_load_dwordx4 v[6:9], v8, off
	s_waitcnt vmcnt(0) lgkmcnt(0)
	v_mul_f64 v[10:11], v[4:5], v[8:9]
	v_mul_f64 v[8:9], v[2:3], v[8:9]
	v_fmac_f64_e32 v[8:9], v[4:5], v[6:7]
	v_fma_f64 v[2:3], v[2:3], v[6:7], -v[10:11]
	v_mov_b64_e32 v[4:5], v[8:9]
.LBB5_74:
	s_and_saveexec_b64 s[0:1], s[2:3]
	s_cbranch_execz .LBB5_78
; %bb.75:
	v_mov_b32_e32 v7, 0
	v_add_u32_e32 v6, 0x70, v26
	v_add3_u32 v7, v26, v7, 24
	s_mov_b64 s[2:3], 0
.LBB5_76:                               ; =>This Inner Loop Header: Depth=1
	v_add_u32_e32 v8, -8, v7
	scratch_load_dwordx4 v[8:11], v8, off
	ds_read_b128 v[32:35], v6
	v_add_u32_e32 v0, 1, v0
	v_cmp_lt_u32_e32 vcc, 3, v0
	v_add_u32_e32 v6, 16, v6
	v_add_u32_e32 v7, 16, v7
	s_or_b64 s[2:3], vcc, s[2:3]
	s_waitcnt vmcnt(0) lgkmcnt(0)
	v_mul_f64 v[12:13], v[34:35], v[10:11]
	v_mul_f64 v[10:11], v[32:33], v[10:11]
	v_fma_f64 v[12:13], v[32:33], v[8:9], -v[12:13]
	v_fmac_f64_e32 v[10:11], v[34:35], v[8:9]
	v_add_f64 v[2:3], v[2:3], v[12:13]
	v_add_f64 v[4:5], v[4:5], v[10:11]
	s_andn2_b64 exec, exec, s[2:3]
	s_cbranch_execnz .LBB5_76
; %bb.77:
	s_or_b64 exec, exec, s[2:3]
.LBB5_78:
	s_or_b64 exec, exec, s[0:1]
	v_mov_b32_e32 v0, 0
	ds_read_b128 v[32:35], v0 offset:80
	v_mov_b32_e32 v0, 0
	v_add_u32_e32 v10, 0x58, v0
	s_or_b64 s[4:5], s[4:5], exec
	s_waitcnt lgkmcnt(0)
	v_mul_f64 v[8:9], v[4:5], v[34:35]
	v_mul_f64 v[6:7], v[2:3], v[34:35]
	v_fma_f64 v[2:3], v[2:3], v[32:33], -v[8:9]
	v_fmac_f64_e32 v[6:7], v[4:5], v[32:33]
	scratch_store_dwordx2 off, v[2:3], off offset:80
.LBB5_79:
	s_or_b64 exec, exec, s[6:7]
.LBB5_80:
	s_and_saveexec_b64 s[0:1], s[4:5]
	s_cbranch_execz .LBB5_82
; %bb.81:
	scratch_store_dwordx2 v10, v[6:7], off
.LBB5_82:
	s_or_b64 exec, exec, s[0:1]
	scratch_load_dwordx4 v[2:5], off, off
	scratch_load_dwordx4 v[6:9], v1, off
	scratch_load_dwordx4 v[10:13], v27, off
	;; [unrolled: 1-line block ×5, first 2 shown]
	s_waitcnt vmcnt(5)
	global_store_dwordx4 v[14:15], v[2:5], off
	s_waitcnt vmcnt(5)
	global_store_dwordx4 v[16:17], v[6:9], off
	;; [unrolled: 2-line block ×6, first 2 shown]
.LBB5_83:
	s_endpgm
	.section	.rodata,"a",@progbits
	.p2align	6, 0x0
	.amdhsa_kernel _ZN9rocsolver6v33100L18trti2_kernel_smallILi6E19rocblas_complex_numIdEPS3_EEv13rocblas_fill_17rocblas_diagonal_T1_iil
		.amdhsa_group_segment_fixed_size 192
		.amdhsa_private_segment_fixed_size 112
		.amdhsa_kernarg_size 32
		.amdhsa_user_sgpr_count 2
		.amdhsa_user_sgpr_dispatch_ptr 0
		.amdhsa_user_sgpr_queue_ptr 0
		.amdhsa_user_sgpr_kernarg_segment_ptr 1
		.amdhsa_user_sgpr_dispatch_id 0
		.amdhsa_user_sgpr_kernarg_preload_length 0
		.amdhsa_user_sgpr_kernarg_preload_offset 0
		.amdhsa_user_sgpr_private_segment_size 0
		.amdhsa_uses_dynamic_stack 0
		.amdhsa_enable_private_segment 1
		.amdhsa_system_sgpr_workgroup_id_x 1
		.amdhsa_system_sgpr_workgroup_id_y 0
		.amdhsa_system_sgpr_workgroup_id_z 0
		.amdhsa_system_sgpr_workgroup_info 0
		.amdhsa_system_vgpr_workitem_id 0
		.amdhsa_next_free_vgpr 44
		.amdhsa_next_free_sgpr 12
		.amdhsa_accum_offset 44
		.amdhsa_reserve_vcc 1
		.amdhsa_float_round_mode_32 0
		.amdhsa_float_round_mode_16_64 0
		.amdhsa_float_denorm_mode_32 3
		.amdhsa_float_denorm_mode_16_64 3
		.amdhsa_dx10_clamp 1
		.amdhsa_ieee_mode 1
		.amdhsa_fp16_overflow 0
		.amdhsa_tg_split 0
		.amdhsa_exception_fp_ieee_invalid_op 0
		.amdhsa_exception_fp_denorm_src 0
		.amdhsa_exception_fp_ieee_div_zero 0
		.amdhsa_exception_fp_ieee_overflow 0
		.amdhsa_exception_fp_ieee_underflow 0
		.amdhsa_exception_fp_ieee_inexact 0
		.amdhsa_exception_int_div_zero 0
	.end_amdhsa_kernel
	.section	.text._ZN9rocsolver6v33100L18trti2_kernel_smallILi6E19rocblas_complex_numIdEPS3_EEv13rocblas_fill_17rocblas_diagonal_T1_iil,"axG",@progbits,_ZN9rocsolver6v33100L18trti2_kernel_smallILi6E19rocblas_complex_numIdEPS3_EEv13rocblas_fill_17rocblas_diagonal_T1_iil,comdat
.Lfunc_end5:
	.size	_ZN9rocsolver6v33100L18trti2_kernel_smallILi6E19rocblas_complex_numIdEPS3_EEv13rocblas_fill_17rocblas_diagonal_T1_iil, .Lfunc_end5-_ZN9rocsolver6v33100L18trti2_kernel_smallILi6E19rocblas_complex_numIdEPS3_EEv13rocblas_fill_17rocblas_diagonal_T1_iil
                                        ; -- End function
	.section	.AMDGPU.csdata,"",@progbits
; Kernel info:
; codeLenInByte = 3688
; NumSgprs: 18
; NumVgprs: 44
; NumAgprs: 0
; TotalNumVgprs: 44
; ScratchSize: 112
; MemoryBound: 0
; FloatMode: 240
; IeeeMode: 1
; LDSByteSize: 192 bytes/workgroup (compile time only)
; SGPRBlocks: 2
; VGPRBlocks: 5
; NumSGPRsForWavesPerEU: 18
; NumVGPRsForWavesPerEU: 44
; AccumOffset: 44
; Occupancy: 8
; WaveLimiterHint : 0
; COMPUTE_PGM_RSRC2:SCRATCH_EN: 1
; COMPUTE_PGM_RSRC2:USER_SGPR: 2
; COMPUTE_PGM_RSRC2:TRAP_HANDLER: 0
; COMPUTE_PGM_RSRC2:TGID_X_EN: 1
; COMPUTE_PGM_RSRC2:TGID_Y_EN: 0
; COMPUTE_PGM_RSRC2:TGID_Z_EN: 0
; COMPUTE_PGM_RSRC2:TIDIG_COMP_CNT: 0
; COMPUTE_PGM_RSRC3_GFX90A:ACCUM_OFFSET: 10
; COMPUTE_PGM_RSRC3_GFX90A:TG_SPLIT: 0
	.section	.text._ZN9rocsolver6v33100L18trti2_kernel_smallILi7E19rocblas_complex_numIdEPS3_EEv13rocblas_fill_17rocblas_diagonal_T1_iil,"axG",@progbits,_ZN9rocsolver6v33100L18trti2_kernel_smallILi7E19rocblas_complex_numIdEPS3_EEv13rocblas_fill_17rocblas_diagonal_T1_iil,comdat
	.globl	_ZN9rocsolver6v33100L18trti2_kernel_smallILi7E19rocblas_complex_numIdEPS3_EEv13rocblas_fill_17rocblas_diagonal_T1_iil ; -- Begin function _ZN9rocsolver6v33100L18trti2_kernel_smallILi7E19rocblas_complex_numIdEPS3_EEv13rocblas_fill_17rocblas_diagonal_T1_iil
	.p2align	8
	.type	_ZN9rocsolver6v33100L18trti2_kernel_smallILi7E19rocblas_complex_numIdEPS3_EEv13rocblas_fill_17rocblas_diagonal_T1_iil,@function
_ZN9rocsolver6v33100L18trti2_kernel_smallILi7E19rocblas_complex_numIdEPS3_EEv13rocblas_fill_17rocblas_diagonal_T1_iil: ; @_ZN9rocsolver6v33100L18trti2_kernel_smallILi7E19rocblas_complex_numIdEPS3_EEv13rocblas_fill_17rocblas_diagonal_T1_iil
; %bb.0:
	v_cmp_gt_u32_e32 vcc, 7, v0
	s_and_saveexec_b64 s[4:5], vcc
	s_cbranch_execz .LBB6_99
; %bb.1:
	s_load_dwordx8 s[4:11], s[0:1], 0x0
	s_ashr_i32 s3, s2, 31
	v_lshlrev_b32_e32 v28, 4, v0
	v_mov_b32_e32 v29, 0
	v_mov_b32_e32 v12, 0
	s_waitcnt lgkmcnt(0)
	s_ashr_i32 s1, s8, 31
	s_mov_b32 s0, s8
	s_mul_i32 s8, s2, s11
	s_mul_hi_u32 s11, s2, s10
	s_add_i32 s8, s11, s8
	s_mul_i32 s3, s3, s10
	s_add_i32 s3, s8, s3
	s_mul_i32 s2, s2, s10
	s_lshl_b64 s[2:3], s[2:3], 4
	s_add_u32 s2, s6, s2
	s_addc_u32 s3, s7, s3
	s_lshl_b64 s[0:1], s[0:1], 4
	s_add_u32 s0, s2, s0
	s_addc_u32 s1, s3, s1
	v_lshl_add_u64 v[14:15], s[0:1], 0, v[28:29]
	s_ashr_i32 s3, s9, 31
	s_mov_b32 s2, s9
	v_lshl_add_u64 v[16:17], s[2:3], 4, v[14:15]
	s_add_i32 s2, s9, s9
	v_add_u32_e32 v10, s2, v0
	v_ashrrev_i32_e32 v11, 31, v10
	v_lshl_add_u64 v[18:19], v[10:11], 4, s[0:1]
	v_add_u32_e32 v10, s9, v10
	v_ashrrev_i32_e32 v11, 31, v10
	v_lshl_add_u64 v[20:21], v[10:11], 4, s[0:1]
	;; [unrolled: 3-line block ×5, first 2 shown]
	global_load_dwordx4 v[2:5], v28, s[0:1]
	global_load_dwordx4 v[6:9], v[16:17], off
	global_load_dwordx4 v[30:33], v[18:19], off
	global_load_dwordx4 v[34:37], v[20:21], off
	global_load_dwordx4 v[38:41], v[22:23], off
	global_load_dwordx4 v[42:45], v[24:25], off
	global_load_dwordx4 v[46:49], v[26:27], off
	s_cmpk_lg_i32 s5, 0x84
	s_cselect_b64 s[6:7], -1, 0
	s_cmpk_eq_i32 s5, 0x84
	s_waitcnt vmcnt(6)
	scratch_store_dwordx4 off, v[2:5], off
	s_waitcnt vmcnt(6)
	scratch_store_dwordx4 off, v[6:9], off offset:16
	s_waitcnt vmcnt(6)
	scratch_store_dwordx4 off, v[30:33], off offset:32
	;; [unrolled: 2-line block ×6, first 2 shown]
	s_cbranch_scc1 .LBB6_7
; %bb.2:
	scratch_load_dwordx4 v[2:5], v28, off
                                        ; implicit-def: $vgpr10_vgpr11
	s_waitcnt vmcnt(0)
	v_xor_b32_e32 v1, 0x80000000, v3
	v_cmp_gt_f64_e32 vcc, 0, v[2:3]
	v_xor_b32_e32 v8, 0x80000000, v5
	v_mov_b32_e32 v6, v2
	v_cndmask_b32_e32 v7, v3, v1, vcc
	v_cmp_gt_f64_e32 vcc, 0, v[4:5]
	s_nop 1
	v_cndmask_b32_e32 v9, v5, v8, vcc
	v_mov_b32_e32 v8, v4
	v_cmp_ngt_f64_e32 vcc, v[6:7], v[8:9]
                                        ; implicit-def: $vgpr6_vgpr7
	s_and_saveexec_b64 s[0:1], vcc
	s_xor_b64 s[0:1], exec, s[0:1]
	s_cbranch_execz .LBB6_4
; %bb.3:
	v_div_scale_f64 v[6:7], s[2:3], v[4:5], v[4:5], v[2:3]
	v_rcp_f64_e32 v[8:9], v[6:7]
	v_div_scale_f64 v[10:11], vcc, v[2:3], v[4:5], v[2:3]
	v_fma_f64 v[30:31], -v[6:7], v[8:9], 1.0
	v_fmac_f64_e32 v[8:9], v[8:9], v[30:31]
	v_fma_f64 v[30:31], -v[6:7], v[8:9], 1.0
	v_fmac_f64_e32 v[8:9], v[8:9], v[30:31]
	v_mul_f64 v[30:31], v[10:11], v[8:9]
	v_fma_f64 v[6:7], -v[6:7], v[30:31], v[10:11]
	v_div_fmas_f64 v[6:7], v[6:7], v[8:9], v[30:31]
	v_div_fixup_f64 v[6:7], v[6:7], v[4:5], v[2:3]
	v_fmac_f64_e32 v[4:5], v[2:3], v[6:7]
	v_div_scale_f64 v[2:3], s[2:3], v[4:5], v[4:5], 1.0
	v_rcp_f64_e32 v[8:9], v[2:3]
	s_nop 0
	v_fma_f64 v[10:11], -v[2:3], v[8:9], 1.0
	v_fmac_f64_e32 v[8:9], v[8:9], v[10:11]
	v_fma_f64 v[10:11], -v[2:3], v[8:9], 1.0
	v_fmac_f64_e32 v[8:9], v[8:9], v[10:11]
	v_div_scale_f64 v[10:11], vcc, 1.0, v[4:5], 1.0
	v_mul_f64 v[30:31], v[10:11], v[8:9]
	v_fma_f64 v[2:3], -v[2:3], v[30:31], v[10:11]
	s_nop 1
	v_div_fmas_f64 v[2:3], v[2:3], v[8:9], v[30:31]
	v_div_fixup_f64 v[8:9], v[2:3], v[4:5], 1.0
	v_mul_f64 v[6:7], v[6:7], v[8:9]
	v_xor_b32_e32 v9, 0x80000000, v9
	v_xor_b32_e32 v11, 0x80000000, v7
	v_mov_b32_e32 v10, v6
                                        ; implicit-def: $vgpr2_vgpr3
.LBB6_4:
	s_or_saveexec_b64 s[0:1], s[0:1]
	v_add_u32_e32 v1, 0, v28
	s_xor_b64 exec, exec, s[0:1]
	s_cbranch_execz .LBB6_6
; %bb.5:
	v_div_scale_f64 v[6:7], s[2:3], v[2:3], v[2:3], v[4:5]
	v_rcp_f64_e32 v[8:9], v[6:7]
	v_div_scale_f64 v[10:11], vcc, v[4:5], v[2:3], v[4:5]
	v_fma_f64 v[30:31], -v[6:7], v[8:9], 1.0
	v_fmac_f64_e32 v[8:9], v[8:9], v[30:31]
	v_fma_f64 v[30:31], -v[6:7], v[8:9], 1.0
	v_fmac_f64_e32 v[8:9], v[8:9], v[30:31]
	v_mul_f64 v[30:31], v[10:11], v[8:9]
	v_fma_f64 v[6:7], -v[6:7], v[30:31], v[10:11]
	v_div_fmas_f64 v[6:7], v[6:7], v[8:9], v[30:31]
	v_div_fixup_f64 v[8:9], v[6:7], v[2:3], v[4:5]
	v_fmac_f64_e32 v[2:3], v[4:5], v[8:9]
	v_div_scale_f64 v[4:5], s[2:3], v[2:3], v[2:3], 1.0
	v_rcp_f64_e32 v[6:7], v[4:5]
	s_nop 0
	v_fma_f64 v[10:11], -v[4:5], v[6:7], 1.0
	v_fmac_f64_e32 v[6:7], v[6:7], v[10:11]
	v_fma_f64 v[10:11], -v[4:5], v[6:7], 1.0
	v_fmac_f64_e32 v[6:7], v[6:7], v[10:11]
	v_div_scale_f64 v[10:11], vcc, 1.0, v[2:3], 1.0
	v_mul_f64 v[30:31], v[10:11], v[6:7]
	v_fma_f64 v[4:5], -v[4:5], v[30:31], v[10:11]
	s_nop 1
	v_div_fmas_f64 v[4:5], v[4:5], v[6:7], v[30:31]
	v_div_fixup_f64 v[6:7], v[4:5], v[2:3], 1.0
	v_xor_b32_e32 v11, 0x80000000, v7
	v_mov_b32_e32 v10, v6
	v_mul_f64 v[8:9], v[8:9], -v[6:7]
.LBB6_6:
	s_or_b64 exec, exec, s[0:1]
	scratch_store_dwordx4 v1, v[6:9], off
	s_nop 1
	v_xor_b32_e32 v9, 0x80000000, v9
	s_branch .LBB6_8
.LBB6_7:
	v_mov_b64_e32 v[8:9], 0
	v_mov_b64_e32 v[10:11], -1.0
.LBB6_8:
	v_add_u32_e32 v1, 16, v12
	v_add_u32_e32 v30, 32, v12
	;; [unrolled: 1-line block ×6, first 2 shown]
	v_mov_b32_e32 v12, v8
	v_mov_b32_e32 v13, v9
	s_cmpk_eq_i32 s4, 0x79
	v_add_u32_e32 v9, 0x70, v28
	v_add_u32_e32 v8, 0, v28
	ds_write_b128 v28, v[10:13]
	s_cbranch_scc1 .LBB6_52
; %bb.9:
	scratch_load_dwordx4 v[2:5], v33, off
	v_cmp_eq_u32_e64 s[0:1], 6, v0
	s_waitcnt vmcnt(0)
	ds_write_b128 v9, v[2:5]
	s_waitcnt lgkmcnt(0)
	; wave barrier
	s_waitcnt lgkmcnt(0)
	s_and_saveexec_b64 s[2:3], s[0:1]
	s_cbranch_execz .LBB6_13
; %bb.10:
	ds_read_b128 v[2:5], v9
	s_andn2_b64 vcc, exec, s[6:7]
	s_cbranch_vccnz .LBB6_12
; %bb.11:
	scratch_load_dwordx4 v[10:13], v8, off
	s_waitcnt vmcnt(0) lgkmcnt(0)
	v_mul_f64 v[6:7], v[4:5], v[12:13]
	v_mul_f64 v[12:13], v[2:3], v[12:13]
	v_fmac_f64_e32 v[12:13], v[4:5], v[10:11]
	v_fma_f64 v[2:3], v[2:3], v[10:11], -v[6:7]
	v_mov_b64_e32 v[4:5], v[12:13]
.LBB6_12:
	v_mov_b32_e32 v6, 0
	ds_read_b128 v[10:13], v6 offset:80
	s_waitcnt lgkmcnt(0)
	v_mul_f64 v[6:7], v[4:5], v[12:13]
	v_mul_f64 v[36:37], v[2:3], v[12:13]
	v_fma_f64 v[34:35], v[2:3], v[10:11], -v[6:7]
	v_fmac_f64_e32 v[36:37], v[4:5], v[10:11]
	scratch_store_dwordx4 off, v[34:37], off offset:80
.LBB6_13:
	s_or_b64 exec, exec, s[2:3]
	scratch_load_dwordx4 v[2:5], v31, off
	v_cmp_lt_u32_e64 s[2:3], 4, v0
	s_waitcnt vmcnt(0)
	ds_write_b128 v9, v[2:5]
	s_waitcnt lgkmcnt(0)
	; wave barrier
	s_waitcnt lgkmcnt(0)
	s_and_saveexec_b64 s[4:5], s[2:3]
	s_cbranch_execz .LBB6_19
; %bb.14:
	ds_read_b128 v[2:5], v9
	s_andn2_b64 vcc, exec, s[6:7]
	s_cbranch_vccnz .LBB6_16
; %bb.15:
	scratch_load_dwordx4 v[10:13], v8, off
	s_waitcnt vmcnt(0) lgkmcnt(0)
	v_mul_f64 v[6:7], v[4:5], v[12:13]
	v_mul_f64 v[12:13], v[2:3], v[12:13]
	v_fmac_f64_e32 v[12:13], v[4:5], v[10:11]
	v_fma_f64 v[2:3], v[2:3], v[10:11], -v[6:7]
	v_mov_b64_e32 v[4:5], v[12:13]
.LBB6_16:
	s_and_saveexec_b64 s[8:9], s[0:1]
	s_cbranch_execz .LBB6_18
; %bb.17:
	scratch_load_dwordx4 v[10:13], off, off offset:80
	v_mov_b32_e32 v6, 0
	ds_read_b128 v[34:37], v6 offset:192
	s_waitcnt vmcnt(0) lgkmcnt(0)
	v_mul_f64 v[6:7], v[34:35], v[12:13]
	v_mul_f64 v[12:13], v[36:37], v[12:13]
	v_fmac_f64_e32 v[6:7], v[36:37], v[10:11]
	v_fma_f64 v[10:11], v[34:35], v[10:11], -v[12:13]
	v_add_f64 v[4:5], v[4:5], v[6:7]
	v_add_f64 v[2:3], v[2:3], v[10:11]
.LBB6_18:
	s_or_b64 exec, exec, s[8:9]
	v_mov_b32_e32 v6, 0
	ds_read_b128 v[10:13], v6 offset:64
	s_waitcnt lgkmcnt(0)
	v_mul_f64 v[6:7], v[4:5], v[12:13]
	v_mul_f64 v[36:37], v[2:3], v[12:13]
	v_fma_f64 v[34:35], v[2:3], v[10:11], -v[6:7]
	v_fmac_f64_e32 v[36:37], v[4:5], v[10:11]
	scratch_store_dwordx4 off, v[34:37], off offset:64
.LBB6_19:
	s_or_b64 exec, exec, s[4:5]
	scratch_load_dwordx4 v[2:5], v29, off
	v_cmp_lt_u32_e64 s[0:1], 3, v0
	s_waitcnt vmcnt(0)
	ds_write_b128 v9, v[2:5]
	s_waitcnt lgkmcnt(0)
	; wave barrier
	s_waitcnt lgkmcnt(0)
	s_and_saveexec_b64 s[4:5], s[0:1]
	s_cbranch_execz .LBB6_27
; %bb.20:
	ds_read_b128 v[2:5], v9
	s_andn2_b64 vcc, exec, s[6:7]
	s_cbranch_vccnz .LBB6_22
; %bb.21:
	scratch_load_dwordx4 v[10:13], v8, off
	s_waitcnt vmcnt(0) lgkmcnt(0)
	v_mul_f64 v[6:7], v[4:5], v[12:13]
	v_mul_f64 v[12:13], v[2:3], v[12:13]
	v_fmac_f64_e32 v[12:13], v[4:5], v[10:11]
	v_fma_f64 v[2:3], v[2:3], v[10:11], -v[6:7]
	v_mov_b64_e32 v[4:5], v[12:13]
.LBB6_22:
	s_and_saveexec_b64 s[8:9], s[2:3]
	s_cbranch_execz .LBB6_26
; %bb.23:
	v_mov_b32_e32 v7, 0
	v_add_u32_e32 v6, -4, v0
	v_add_u32_e32 v7, 0x48, v7
	s_movk_i32 s10, 0xb0
	s_mov_b64 s[2:3], 0
.LBB6_24:                               ; =>This Inner Loop Header: Depth=1
	v_add_u32_e32 v10, -8, v7
	scratch_load_dwordx4 v[10:13], v10, off
	v_mov_b32_e32 v34, s10
	ds_read_b128 v[34:37], v34
	v_add_u32_e32 v6, -1, v6
	s_add_i32 s10, s10, 16
	v_cmp_eq_u32_e32 vcc, 0, v6
	v_add_u32_e32 v7, 16, v7
	s_or_b64 s[2:3], vcc, s[2:3]
	s_waitcnt vmcnt(0) lgkmcnt(0)
	v_mul_f64 v[38:39], v[36:37], v[12:13]
	v_mul_f64 v[12:13], v[34:35], v[12:13]
	v_fma_f64 v[34:35], v[34:35], v[10:11], -v[38:39]
	v_fmac_f64_e32 v[12:13], v[36:37], v[10:11]
	v_add_f64 v[2:3], v[2:3], v[34:35]
	v_add_f64 v[4:5], v[4:5], v[12:13]
	s_andn2_b64 exec, exec, s[2:3]
	s_cbranch_execnz .LBB6_24
; %bb.25:
	s_or_b64 exec, exec, s[2:3]
.LBB6_26:
	s_or_b64 exec, exec, s[8:9]
	v_mov_b32_e32 v6, 0
	ds_read_b128 v[10:13], v6 offset:48
	s_waitcnt lgkmcnt(0)
	v_mul_f64 v[6:7], v[4:5], v[12:13]
	v_mul_f64 v[36:37], v[2:3], v[12:13]
	v_fma_f64 v[34:35], v[2:3], v[10:11], -v[6:7]
	v_fmac_f64_e32 v[36:37], v[4:5], v[10:11]
	scratch_store_dwordx4 off, v[34:37], off offset:48
.LBB6_27:
	s_or_b64 exec, exec, s[4:5]
	scratch_load_dwordx4 v[2:5], v30, off
	v_cmp_lt_u32_e64 s[2:3], 2, v0
	s_waitcnt vmcnt(0)
	ds_write_b128 v9, v[2:5]
	s_waitcnt lgkmcnt(0)
	; wave barrier
	s_waitcnt lgkmcnt(0)
	s_and_saveexec_b64 s[4:5], s[2:3]
	s_cbranch_execz .LBB6_35
; %bb.28:
	ds_read_b128 v[2:5], v9
	s_andn2_b64 vcc, exec, s[6:7]
	s_cbranch_vccnz .LBB6_30
; %bb.29:
	scratch_load_dwordx4 v[10:13], v8, off
	s_waitcnt vmcnt(0) lgkmcnt(0)
	v_mul_f64 v[6:7], v[4:5], v[12:13]
	v_mul_f64 v[12:13], v[2:3], v[12:13]
	v_fmac_f64_e32 v[12:13], v[4:5], v[10:11]
	v_fma_f64 v[2:3], v[2:3], v[10:11], -v[6:7]
	v_mov_b64_e32 v[4:5], v[12:13]
.LBB6_30:
	s_and_saveexec_b64 s[8:9], s[0:1]
	s_cbranch_execz .LBB6_34
; %bb.31:
	v_mov_b32_e32 v7, 0
	v_add_u32_e32 v6, -3, v0
	v_add_u32_e32 v7, 56, v7
	s_movk_i32 s10, 0xa0
	s_mov_b64 s[0:1], 0
.LBB6_32:                               ; =>This Inner Loop Header: Depth=1
	v_add_u32_e32 v10, -8, v7
	scratch_load_dwordx4 v[10:13], v10, off
	v_mov_b32_e32 v34, s10
	ds_read_b128 v[34:37], v34
	v_add_u32_e32 v6, -1, v6
	s_add_i32 s10, s10, 16
	v_cmp_eq_u32_e32 vcc, 0, v6
	v_add_u32_e32 v7, 16, v7
	s_or_b64 s[0:1], vcc, s[0:1]
	s_waitcnt vmcnt(0) lgkmcnt(0)
	v_mul_f64 v[38:39], v[36:37], v[12:13]
	v_mul_f64 v[12:13], v[34:35], v[12:13]
	v_fma_f64 v[34:35], v[34:35], v[10:11], -v[38:39]
	v_fmac_f64_e32 v[12:13], v[36:37], v[10:11]
	v_add_f64 v[2:3], v[2:3], v[34:35]
	v_add_f64 v[4:5], v[4:5], v[12:13]
	s_andn2_b64 exec, exec, s[0:1]
	s_cbranch_execnz .LBB6_32
; %bb.33:
	s_or_b64 exec, exec, s[0:1]
.LBB6_34:
	s_or_b64 exec, exec, s[8:9]
	v_mov_b32_e32 v6, 0
	ds_read_b128 v[10:13], v6 offset:32
	s_waitcnt lgkmcnt(0)
	v_mul_f64 v[6:7], v[4:5], v[12:13]
	v_mul_f64 v[36:37], v[2:3], v[12:13]
	v_fma_f64 v[34:35], v[2:3], v[10:11], -v[6:7]
	v_fmac_f64_e32 v[36:37], v[4:5], v[10:11]
	scratch_store_dwordx4 off, v[34:37], off offset:32
.LBB6_35:
	;; [unrolled: 63-line block ×3, first 2 shown]
	s_or_b64 exec, exec, s[4:5]
	scratch_load_dwordx4 v[2:5], off, off
	v_cmp_ne_u32_e32 vcc, 0, v0
	s_mov_b64 s[2:3], 0
	s_mov_b64 s[4:5], 0
                                        ; implicit-def: $vgpr6_vgpr7
                                        ; implicit-def: $vgpr10
	s_waitcnt vmcnt(0)
	ds_write_b128 v9, v[2:5]
	s_waitcnt lgkmcnt(0)
	; wave barrier
	s_waitcnt lgkmcnt(0)
	s_and_saveexec_b64 s[8:9], vcc
	s_cbranch_execz .LBB6_51
; %bb.44:
	ds_read_b128 v[2:5], v9
	s_andn2_b64 vcc, exec, s[6:7]
	s_cbranch_vccnz .LBB6_46
; %bb.45:
	scratch_load_dwordx4 v[10:13], v8, off
	s_waitcnt vmcnt(0) lgkmcnt(0)
	v_mul_f64 v[6:7], v[4:5], v[12:13]
	v_mul_f64 v[12:13], v[2:3], v[12:13]
	v_fmac_f64_e32 v[12:13], v[4:5], v[10:11]
	v_fma_f64 v[2:3], v[2:3], v[10:11], -v[6:7]
	v_mov_b64_e32 v[4:5], v[12:13]
.LBB6_46:
	s_and_saveexec_b64 s[4:5], s[0:1]
	s_cbranch_execz .LBB6_50
; %bb.47:
	v_mov_b32_e32 v7, 0
	v_add_u32_e32 v6, -1, v0
	v_add_u32_e32 v7, 24, v7
	s_movk_i32 s10, 0x80
	s_mov_b64 s[0:1], 0
.LBB6_48:                               ; =>This Inner Loop Header: Depth=1
	v_add_u32_e32 v10, -8, v7
	scratch_load_dwordx4 v[10:13], v10, off
	v_mov_b32_e32 v34, s10
	ds_read_b128 v[34:37], v34
	v_add_u32_e32 v6, -1, v6
	s_add_i32 s10, s10, 16
	v_cmp_eq_u32_e32 vcc, 0, v6
	v_add_u32_e32 v7, 16, v7
	s_or_b64 s[0:1], vcc, s[0:1]
	s_waitcnt vmcnt(0) lgkmcnt(0)
	v_mul_f64 v[38:39], v[36:37], v[12:13]
	v_mul_f64 v[12:13], v[34:35], v[12:13]
	v_fma_f64 v[34:35], v[34:35], v[10:11], -v[38:39]
	v_fmac_f64_e32 v[12:13], v[36:37], v[10:11]
	v_add_f64 v[2:3], v[2:3], v[34:35]
	v_add_f64 v[4:5], v[4:5], v[12:13]
	s_andn2_b64 exec, exec, s[0:1]
	s_cbranch_execnz .LBB6_48
; %bb.49:
	s_or_b64 exec, exec, s[0:1]
.LBB6_50:
	s_or_b64 exec, exec, s[4:5]
	v_mov_b32_e32 v6, 0
	ds_read_b128 v[34:37], v6
	v_mov_b32_e32 v6, 0
	v_or_b32_e32 v10, 8, v6
	s_mov_b64 s[4:5], exec
	s_waitcnt lgkmcnt(0)
	v_mul_f64 v[12:13], v[4:5], v[36:37]
	v_mul_f64 v[6:7], v[2:3], v[36:37]
	v_fma_f64 v[2:3], v[2:3], v[34:35], -v[12:13]
	v_fmac_f64_e32 v[6:7], v[4:5], v[34:35]
	scratch_store_dwordx2 off, v[2:3], off
.LBB6_51:
	s_or_b64 exec, exec, s[8:9]
	s_and_b64 vcc, exec, s[2:3]
	s_cbranch_vccnz .LBB6_53
	s_branch .LBB6_96
.LBB6_52:
	s_mov_b64 s[4:5], 0
                                        ; implicit-def: $vgpr6_vgpr7
                                        ; implicit-def: $vgpr10
	s_cbranch_execz .LBB6_96
.LBB6_53:
	scratch_load_dwordx4 v[2:5], v1, off
	v_cndmask_b32_e64 v6, 0, 1, s[6:7]
	v_cmp_eq_u32_e64 s[2:3], 0, v0
	v_cmp_ne_u32_e64 s[0:1], 1, v6
	s_waitcnt vmcnt(0)
	ds_write_b128 v9, v[2:5]
	s_waitcnt lgkmcnt(0)
	; wave barrier
	s_waitcnt lgkmcnt(0)
	s_and_saveexec_b64 s[6:7], s[2:3]
	s_cbranch_execz .LBB6_57
; %bb.54:
	ds_read_b128 v[2:5], v9
	s_and_b64 vcc, exec, s[0:1]
	s_cbranch_vccnz .LBB6_56
; %bb.55:
	scratch_load_dwordx4 v[10:13], v8, off
	s_waitcnt vmcnt(0) lgkmcnt(0)
	v_mul_f64 v[6:7], v[4:5], v[12:13]
	v_mul_f64 v[12:13], v[2:3], v[12:13]
	v_fmac_f64_e32 v[12:13], v[4:5], v[10:11]
	v_fma_f64 v[2:3], v[2:3], v[10:11], -v[6:7]
	v_mov_b64_e32 v[4:5], v[12:13]
.LBB6_56:
	v_mov_b32_e32 v6, 0
	ds_read_b128 v[10:13], v6 offset:16
	s_waitcnt lgkmcnt(0)
	v_mul_f64 v[6:7], v[4:5], v[12:13]
	v_mul_f64 v[36:37], v[2:3], v[12:13]
	v_fma_f64 v[34:35], v[2:3], v[10:11], -v[6:7]
	v_fmac_f64_e32 v[36:37], v[4:5], v[10:11]
	scratch_store_dwordx4 off, v[34:37], off offset:16
.LBB6_57:
	s_or_b64 exec, exec, s[6:7]
	scratch_load_dwordx4 v[2:5], v30, off
	v_cmp_gt_u32_e32 vcc, 2, v0
	s_waitcnt vmcnt(0)
	ds_write_b128 v9, v[2:5]
	s_waitcnt lgkmcnt(0)
	; wave barrier
	s_waitcnt lgkmcnt(0)
	s_and_saveexec_b64 s[6:7], vcc
	s_cbranch_execz .LBB6_63
; %bb.58:
	ds_read_b128 v[2:5], v9
	s_and_b64 vcc, exec, s[0:1]
	s_cbranch_vccnz .LBB6_60
; %bb.59:
	scratch_load_dwordx4 v[10:13], v8, off
	s_waitcnt vmcnt(0) lgkmcnt(0)
	v_mul_f64 v[6:7], v[4:5], v[12:13]
	v_mul_f64 v[12:13], v[2:3], v[12:13]
	v_fmac_f64_e32 v[12:13], v[4:5], v[10:11]
	v_fma_f64 v[2:3], v[2:3], v[10:11], -v[6:7]
	v_mov_b64_e32 v[4:5], v[12:13]
.LBB6_60:
	s_and_saveexec_b64 s[8:9], s[2:3]
	s_cbranch_execz .LBB6_62
; %bb.61:
	scratch_load_dwordx4 v[10:13], v8, off offset:16
	ds_read_b128 v[34:37], v9 offset:16
	s_waitcnt vmcnt(0) lgkmcnt(0)
	v_mul_f64 v[6:7], v[36:37], v[12:13]
	v_mul_f64 v[12:13], v[34:35], v[12:13]
	v_fma_f64 v[6:7], v[34:35], v[10:11], -v[6:7]
	v_fmac_f64_e32 v[12:13], v[36:37], v[10:11]
	v_add_f64 v[2:3], v[2:3], v[6:7]
	v_add_f64 v[4:5], v[4:5], v[12:13]
.LBB6_62:
	s_or_b64 exec, exec, s[8:9]
	v_mov_b32_e32 v6, 0
	ds_read_b128 v[10:13], v6 offset:32
	s_waitcnt lgkmcnt(0)
	v_mul_f64 v[6:7], v[4:5], v[12:13]
	v_mul_f64 v[36:37], v[2:3], v[12:13]
	v_fma_f64 v[34:35], v[2:3], v[10:11], -v[6:7]
	v_fmac_f64_e32 v[36:37], v[4:5], v[10:11]
	scratch_store_dwordx4 off, v[34:37], off offset:32
.LBB6_63:
	s_or_b64 exec, exec, s[6:7]
	scratch_load_dwordx4 v[2:5], v29, off
	v_cmp_gt_u32_e32 vcc, 3, v0
	s_waitcnt vmcnt(0)
	ds_write_b128 v9, v[2:5]
	s_waitcnt lgkmcnt(0)
	; wave barrier
	s_waitcnt lgkmcnt(0)
	s_and_saveexec_b64 s[6:7], vcc
	s_cbranch_execz .LBB6_71
; %bb.64:
	ds_read_b128 v[2:5], v9
	s_and_b64 vcc, exec, s[0:1]
	s_cbranch_vccnz .LBB6_66
; %bb.65:
	scratch_load_dwordx4 v[10:13], v8, off
	s_waitcnt vmcnt(0) lgkmcnt(0)
	v_mul_f64 v[6:7], v[4:5], v[12:13]
	v_mul_f64 v[12:13], v[2:3], v[12:13]
	v_fmac_f64_e32 v[12:13], v[4:5], v[10:11]
	v_fma_f64 v[2:3], v[2:3], v[10:11], -v[6:7]
	v_mov_b64_e32 v[4:5], v[12:13]
.LBB6_66:
	v_cmp_ne_u32_e32 vcc, 2, v0
	s_and_saveexec_b64 s[8:9], vcc
	s_cbranch_execz .LBB6_70
; %bb.67:
	scratch_load_dwordx4 v[10:13], v8, off offset:16
	ds_read_b128 v[34:37], v9 offset:16
	s_waitcnt vmcnt(0) lgkmcnt(0)
	v_mul_f64 v[6:7], v[36:37], v[12:13]
	v_mul_f64 v[12:13], v[34:35], v[12:13]
	v_fma_f64 v[6:7], v[34:35], v[10:11], -v[6:7]
	v_fmac_f64_e32 v[12:13], v[36:37], v[10:11]
	v_add_f64 v[2:3], v[2:3], v[6:7]
	v_add_f64 v[4:5], v[4:5], v[12:13]
	s_and_saveexec_b64 s[10:11], s[2:3]
	s_cbranch_execz .LBB6_69
; %bb.68:
	scratch_load_dwordx4 v[10:13], off, off offset:32
	v_mov_b32_e32 v6, 0
	ds_read_b128 v[34:37], v6 offset:144
	s_waitcnt vmcnt(0) lgkmcnt(0)
	v_mul_f64 v[6:7], v[34:35], v[12:13]
	v_mul_f64 v[12:13], v[36:37], v[12:13]
	v_fmac_f64_e32 v[6:7], v[36:37], v[10:11]
	v_fma_f64 v[10:11], v[34:35], v[10:11], -v[12:13]
	v_add_f64 v[4:5], v[4:5], v[6:7]
	v_add_f64 v[2:3], v[2:3], v[10:11]
.LBB6_69:
	s_or_b64 exec, exec, s[10:11]
.LBB6_70:
	s_or_b64 exec, exec, s[8:9]
	v_mov_b32_e32 v6, 0
	ds_read_b128 v[10:13], v6 offset:48
	s_waitcnt lgkmcnt(0)
	v_mul_f64 v[6:7], v[4:5], v[12:13]
	v_mul_f64 v[36:37], v[2:3], v[12:13]
	v_fma_f64 v[34:35], v[2:3], v[10:11], -v[6:7]
	v_fmac_f64_e32 v[36:37], v[4:5], v[10:11]
	scratch_store_dwordx4 off, v[34:37], off offset:48
.LBB6_71:
	s_or_b64 exec, exec, s[6:7]
	scratch_load_dwordx4 v[2:5], v31, off
	v_cmp_gt_u32_e32 vcc, 4, v0
	s_waitcnt vmcnt(0)
	ds_write_b128 v9, v[2:5]
	s_waitcnt lgkmcnt(0)
	; wave barrier
	s_waitcnt lgkmcnt(0)
	s_and_saveexec_b64 s[2:3], vcc
	s_cbranch_execz .LBB6_79
; %bb.72:
	ds_read_b128 v[2:5], v9
	s_and_b64 vcc, exec, s[0:1]
	s_cbranch_vccnz .LBB6_74
; %bb.73:
	scratch_load_dwordx4 v[10:13], v8, off
	s_waitcnt vmcnt(0) lgkmcnt(0)
	v_mul_f64 v[6:7], v[4:5], v[12:13]
	v_mul_f64 v[12:13], v[2:3], v[12:13]
	v_fmac_f64_e32 v[12:13], v[4:5], v[10:11]
	v_fma_f64 v[2:3], v[2:3], v[10:11], -v[6:7]
	v_mov_b64_e32 v[4:5], v[12:13]
.LBB6_74:
	v_cmp_ne_u32_e32 vcc, 3, v0
	s_and_saveexec_b64 s[6:7], vcc
	s_cbranch_execz .LBB6_78
; %bb.75:
	v_mov_b32_e32 v7, 0
	v_add_u32_e32 v6, 0x80, v28
	v_add3_u32 v7, v28, v7, 24
	s_mov_b64 s[8:9], 0
	v_mov_b32_e32 v10, v0
.LBB6_76:                               ; =>This Inner Loop Header: Depth=1
	v_add_u32_e32 v11, -8, v7
	scratch_load_dwordx4 v[34:37], v11, off
	ds_read_b128 v[38:41], v6
	v_add_u32_e32 v10, 1, v10
	v_cmp_lt_u32_e32 vcc, 2, v10
	v_add_u32_e32 v6, 16, v6
	v_add_u32_e32 v7, 16, v7
	s_or_b64 s[8:9], vcc, s[8:9]
	s_waitcnt vmcnt(0) lgkmcnt(0)
	v_mul_f64 v[12:13], v[40:41], v[36:37]
	v_mul_f64 v[36:37], v[38:39], v[36:37]
	v_fma_f64 v[12:13], v[38:39], v[34:35], -v[12:13]
	v_fmac_f64_e32 v[36:37], v[40:41], v[34:35]
	v_add_f64 v[2:3], v[2:3], v[12:13]
	v_add_f64 v[4:5], v[4:5], v[36:37]
	s_andn2_b64 exec, exec, s[8:9]
	s_cbranch_execnz .LBB6_76
; %bb.77:
	s_or_b64 exec, exec, s[8:9]
.LBB6_78:
	s_or_b64 exec, exec, s[6:7]
	v_mov_b32_e32 v6, 0
	ds_read_b128 v[10:13], v6 offset:64
	s_waitcnt lgkmcnt(0)
	v_mul_f64 v[6:7], v[4:5], v[12:13]
	v_mul_f64 v[36:37], v[2:3], v[12:13]
	v_fma_f64 v[34:35], v[2:3], v[10:11], -v[6:7]
	v_fmac_f64_e32 v[36:37], v[4:5], v[10:11]
	scratch_store_dwordx4 off, v[34:37], off offset:64
.LBB6_79:
	s_or_b64 exec, exec, s[2:3]
	scratch_load_dwordx4 v[2:5], v33, off
	v_cmp_gt_u32_e64 s[2:3], 5, v0
	s_waitcnt vmcnt(0)
	ds_write_b128 v9, v[2:5]
	s_waitcnt lgkmcnt(0)
	; wave barrier
	s_waitcnt lgkmcnt(0)
	s_and_saveexec_b64 s[6:7], s[2:3]
	s_cbranch_execz .LBB6_87
; %bb.80:
	ds_read_b128 v[2:5], v9
	s_and_b64 vcc, exec, s[0:1]
	s_cbranch_vccnz .LBB6_82
; %bb.81:
	scratch_load_dwordx4 v[10:13], v8, off
	s_waitcnt vmcnt(0) lgkmcnt(0)
	v_mul_f64 v[6:7], v[4:5], v[12:13]
	v_mul_f64 v[12:13], v[2:3], v[12:13]
	v_fmac_f64_e32 v[12:13], v[4:5], v[10:11]
	v_fma_f64 v[2:3], v[2:3], v[10:11], -v[6:7]
	v_mov_b64_e32 v[4:5], v[12:13]
.LBB6_82:
	v_cmp_ne_u32_e32 vcc, 4, v0
	s_and_saveexec_b64 s[8:9], vcc
	s_cbranch_execz .LBB6_86
; %bb.83:
	v_mov_b32_e32 v7, 0
	v_add_u32_e32 v6, 0x80, v28
	v_add3_u32 v7, v28, v7, 24
	s_mov_b64 s[10:11], 0
	v_mov_b32_e32 v10, v0
.LBB6_84:                               ; =>This Inner Loop Header: Depth=1
	v_add_u32_e32 v11, -8, v7
	scratch_load_dwordx4 v[34:37], v11, off
	ds_read_b128 v[38:41], v6
	v_add_u32_e32 v10, 1, v10
	v_cmp_lt_u32_e32 vcc, 3, v10
	v_add_u32_e32 v6, 16, v6
	v_add_u32_e32 v7, 16, v7
	s_or_b64 s[10:11], vcc, s[10:11]
	s_waitcnt vmcnt(0) lgkmcnt(0)
	v_mul_f64 v[12:13], v[40:41], v[36:37]
	v_mul_f64 v[36:37], v[38:39], v[36:37]
	v_fma_f64 v[12:13], v[38:39], v[34:35], -v[12:13]
	v_fmac_f64_e32 v[36:37], v[40:41], v[34:35]
	v_add_f64 v[2:3], v[2:3], v[12:13]
	v_add_f64 v[4:5], v[4:5], v[36:37]
	s_andn2_b64 exec, exec, s[10:11]
	s_cbranch_execnz .LBB6_84
; %bb.85:
	s_or_b64 exec, exec, s[10:11]
.LBB6_86:
	s_or_b64 exec, exec, s[8:9]
	v_mov_b32_e32 v6, 0
	ds_read_b128 v[10:13], v6 offset:80
	s_waitcnt lgkmcnt(0)
	v_mul_f64 v[6:7], v[4:5], v[12:13]
	v_mul_f64 v[36:37], v[2:3], v[12:13]
	v_fma_f64 v[34:35], v[2:3], v[10:11], -v[6:7]
	v_fmac_f64_e32 v[36:37], v[4:5], v[10:11]
	scratch_store_dwordx4 off, v[34:37], off offset:80
.LBB6_87:
	s_or_b64 exec, exec, s[6:7]
	scratch_load_dwordx4 v[2:5], v32, off
	v_cmp_ne_u32_e32 vcc, 6, v0
                                        ; implicit-def: $vgpr6_vgpr7
                                        ; implicit-def: $vgpr10
	s_waitcnt vmcnt(0)
	ds_write_b128 v9, v[2:5]
	s_waitcnt lgkmcnt(0)
	; wave barrier
	s_waitcnt lgkmcnt(0)
	s_and_saveexec_b64 s[6:7], vcc
	s_cbranch_execz .LBB6_95
; %bb.88:
	ds_read_b128 v[2:5], v9
	s_and_b64 vcc, exec, s[0:1]
	s_cbranch_vccnz .LBB6_90
; %bb.89:
	scratch_load_dwordx4 v[6:9], v8, off
	s_waitcnt vmcnt(0) lgkmcnt(0)
	v_mul_f64 v[10:11], v[4:5], v[8:9]
	v_mul_f64 v[8:9], v[2:3], v[8:9]
	v_fmac_f64_e32 v[8:9], v[4:5], v[6:7]
	v_fma_f64 v[2:3], v[2:3], v[6:7], -v[10:11]
	v_mov_b64_e32 v[4:5], v[8:9]
.LBB6_90:
	s_and_saveexec_b64 s[0:1], s[2:3]
	s_cbranch_execz .LBB6_94
; %bb.91:
	v_mov_b32_e32 v7, 0
	v_add_u32_e32 v6, 0x80, v28
	v_add3_u32 v7, v28, v7, 24
	s_mov_b64 s[2:3], 0
.LBB6_92:                               ; =>This Inner Loop Header: Depth=1
	v_add_u32_e32 v8, -8, v7
	scratch_load_dwordx4 v[8:11], v8, off
	ds_read_b128 v[34:37], v6
	v_add_u32_e32 v0, 1, v0
	v_cmp_lt_u32_e32 vcc, 4, v0
	v_add_u32_e32 v6, 16, v6
	v_add_u32_e32 v7, 16, v7
	s_or_b64 s[2:3], vcc, s[2:3]
	s_waitcnt vmcnt(0) lgkmcnt(0)
	v_mul_f64 v[12:13], v[36:37], v[10:11]
	v_mul_f64 v[10:11], v[34:35], v[10:11]
	v_fma_f64 v[12:13], v[34:35], v[8:9], -v[12:13]
	v_fmac_f64_e32 v[10:11], v[36:37], v[8:9]
	v_add_f64 v[2:3], v[2:3], v[12:13]
	v_add_f64 v[4:5], v[4:5], v[10:11]
	s_andn2_b64 exec, exec, s[2:3]
	s_cbranch_execnz .LBB6_92
; %bb.93:
	s_or_b64 exec, exec, s[2:3]
.LBB6_94:
	s_or_b64 exec, exec, s[0:1]
	v_mov_b32_e32 v0, 0
	ds_read_b128 v[34:37], v0 offset:96
	v_mov_b32_e32 v0, 0
	v_add_u32_e32 v10, 0x68, v0
	s_or_b64 s[4:5], s[4:5], exec
	s_waitcnt lgkmcnt(0)
	v_mul_f64 v[8:9], v[4:5], v[36:37]
	v_mul_f64 v[6:7], v[2:3], v[36:37]
	v_fma_f64 v[2:3], v[2:3], v[34:35], -v[8:9]
	v_fmac_f64_e32 v[6:7], v[4:5], v[34:35]
	scratch_store_dwordx2 off, v[2:3], off offset:96
.LBB6_95:
	s_or_b64 exec, exec, s[6:7]
.LBB6_96:
	s_and_saveexec_b64 s[0:1], s[4:5]
	s_cbranch_execz .LBB6_98
; %bb.97:
	scratch_store_dwordx2 v10, v[6:7], off
.LBB6_98:
	s_or_b64 exec, exec, s[0:1]
	scratch_load_dwordx4 v[2:5], off, off
	scratch_load_dwordx4 v[6:9], v1, off
	scratch_load_dwordx4 v[10:13], v30, off
	;; [unrolled: 1-line block ×6, first 2 shown]
	s_waitcnt vmcnt(6)
	global_store_dwordx4 v[14:15], v[2:5], off
	s_waitcnt vmcnt(6)
	global_store_dwordx4 v[16:17], v[6:9], off
	;; [unrolled: 2-line block ×7, first 2 shown]
.LBB6_99:
	s_endpgm
	.section	.rodata,"a",@progbits
	.p2align	6, 0x0
	.amdhsa_kernel _ZN9rocsolver6v33100L18trti2_kernel_smallILi7E19rocblas_complex_numIdEPS3_EEv13rocblas_fill_17rocblas_diagonal_T1_iil
		.amdhsa_group_segment_fixed_size 224
		.amdhsa_private_segment_fixed_size 128
		.amdhsa_kernarg_size 32
		.amdhsa_user_sgpr_count 2
		.amdhsa_user_sgpr_dispatch_ptr 0
		.amdhsa_user_sgpr_queue_ptr 0
		.amdhsa_user_sgpr_kernarg_segment_ptr 1
		.amdhsa_user_sgpr_dispatch_id 0
		.amdhsa_user_sgpr_kernarg_preload_length 0
		.amdhsa_user_sgpr_kernarg_preload_offset 0
		.amdhsa_user_sgpr_private_segment_size 0
		.amdhsa_uses_dynamic_stack 0
		.amdhsa_enable_private_segment 1
		.amdhsa_system_sgpr_workgroup_id_x 1
		.amdhsa_system_sgpr_workgroup_id_y 0
		.amdhsa_system_sgpr_workgroup_id_z 0
		.amdhsa_system_sgpr_workgroup_info 0
		.amdhsa_system_vgpr_workitem_id 0
		.amdhsa_next_free_vgpr 50
		.amdhsa_next_free_sgpr 12
		.amdhsa_accum_offset 52
		.amdhsa_reserve_vcc 1
		.amdhsa_float_round_mode_32 0
		.amdhsa_float_round_mode_16_64 0
		.amdhsa_float_denorm_mode_32 3
		.amdhsa_float_denorm_mode_16_64 3
		.amdhsa_dx10_clamp 1
		.amdhsa_ieee_mode 1
		.amdhsa_fp16_overflow 0
		.amdhsa_tg_split 0
		.amdhsa_exception_fp_ieee_invalid_op 0
		.amdhsa_exception_fp_denorm_src 0
		.amdhsa_exception_fp_ieee_div_zero 0
		.amdhsa_exception_fp_ieee_overflow 0
		.amdhsa_exception_fp_ieee_underflow 0
		.amdhsa_exception_fp_ieee_inexact 0
		.amdhsa_exception_int_div_zero 0
	.end_amdhsa_kernel
	.section	.text._ZN9rocsolver6v33100L18trti2_kernel_smallILi7E19rocblas_complex_numIdEPS3_EEv13rocblas_fill_17rocblas_diagonal_T1_iil,"axG",@progbits,_ZN9rocsolver6v33100L18trti2_kernel_smallILi7E19rocblas_complex_numIdEPS3_EEv13rocblas_fill_17rocblas_diagonal_T1_iil,comdat
.Lfunc_end6:
	.size	_ZN9rocsolver6v33100L18trti2_kernel_smallILi7E19rocblas_complex_numIdEPS3_EEv13rocblas_fill_17rocblas_diagonal_T1_iil, .Lfunc_end6-_ZN9rocsolver6v33100L18trti2_kernel_smallILi7E19rocblas_complex_numIdEPS3_EEv13rocblas_fill_17rocblas_diagonal_T1_iil
                                        ; -- End function
	.section	.AMDGPU.csdata,"",@progbits
; Kernel info:
; codeLenInByte = 4352
; NumSgprs: 18
; NumVgprs: 50
; NumAgprs: 0
; TotalNumVgprs: 50
; ScratchSize: 128
; MemoryBound: 0
; FloatMode: 240
; IeeeMode: 1
; LDSByteSize: 224 bytes/workgroup (compile time only)
; SGPRBlocks: 2
; VGPRBlocks: 6
; NumSGPRsForWavesPerEU: 18
; NumVGPRsForWavesPerEU: 50
; AccumOffset: 52
; Occupancy: 8
; WaveLimiterHint : 0
; COMPUTE_PGM_RSRC2:SCRATCH_EN: 1
; COMPUTE_PGM_RSRC2:USER_SGPR: 2
; COMPUTE_PGM_RSRC2:TRAP_HANDLER: 0
; COMPUTE_PGM_RSRC2:TGID_X_EN: 1
; COMPUTE_PGM_RSRC2:TGID_Y_EN: 0
; COMPUTE_PGM_RSRC2:TGID_Z_EN: 0
; COMPUTE_PGM_RSRC2:TIDIG_COMP_CNT: 0
; COMPUTE_PGM_RSRC3_GFX90A:ACCUM_OFFSET: 12
; COMPUTE_PGM_RSRC3_GFX90A:TG_SPLIT: 0
	.section	.text._ZN9rocsolver6v33100L18trti2_kernel_smallILi8E19rocblas_complex_numIdEPS3_EEv13rocblas_fill_17rocblas_diagonal_T1_iil,"axG",@progbits,_ZN9rocsolver6v33100L18trti2_kernel_smallILi8E19rocblas_complex_numIdEPS3_EEv13rocblas_fill_17rocblas_diagonal_T1_iil,comdat
	.globl	_ZN9rocsolver6v33100L18trti2_kernel_smallILi8E19rocblas_complex_numIdEPS3_EEv13rocblas_fill_17rocblas_diagonal_T1_iil ; -- Begin function _ZN9rocsolver6v33100L18trti2_kernel_smallILi8E19rocblas_complex_numIdEPS3_EEv13rocblas_fill_17rocblas_diagonal_T1_iil
	.p2align	8
	.type	_ZN9rocsolver6v33100L18trti2_kernel_smallILi8E19rocblas_complex_numIdEPS3_EEv13rocblas_fill_17rocblas_diagonal_T1_iil,@function
_ZN9rocsolver6v33100L18trti2_kernel_smallILi8E19rocblas_complex_numIdEPS3_EEv13rocblas_fill_17rocblas_diagonal_T1_iil: ; @_ZN9rocsolver6v33100L18trti2_kernel_smallILi8E19rocblas_complex_numIdEPS3_EEv13rocblas_fill_17rocblas_diagonal_T1_iil
; %bb.0:
	v_cmp_gt_u32_e32 vcc, 8, v0
	s_and_saveexec_b64 s[4:5], vcc
	s_cbranch_execz .LBB7_115
; %bb.1:
	s_load_dwordx8 s[4:11], s[0:1], 0x0
	s_ashr_i32 s3, s2, 31
	v_lshlrev_b32_e32 v30, 4, v0
	v_mov_b32_e32 v31, 0
	v_mov_b32_e32 v12, 0
	s_waitcnt lgkmcnt(0)
	s_ashr_i32 s1, s8, 31
	s_mov_b32 s0, s8
	s_mul_i32 s8, s2, s11
	s_mul_hi_u32 s11, s2, s10
	s_add_i32 s8, s11, s8
	s_mul_i32 s3, s3, s10
	s_add_i32 s3, s8, s3
	s_mul_i32 s2, s2, s10
	s_lshl_b64 s[2:3], s[2:3], 4
	s_add_u32 s2, s6, s2
	s_addc_u32 s3, s7, s3
	s_lshl_b64 s[0:1], s[0:1], 4
	s_add_u32 s0, s2, s0
	s_addc_u32 s1, s3, s1
	v_lshl_add_u64 v[14:15], s[0:1], 0, v[30:31]
	s_ashr_i32 s3, s9, 31
	s_mov_b32 s2, s9
	v_lshl_add_u64 v[16:17], s[2:3], 4, v[14:15]
	s_add_i32 s2, s9, s9
	v_add_u32_e32 v10, s2, v0
	v_ashrrev_i32_e32 v11, 31, v10
	v_lshl_add_u64 v[18:19], v[10:11], 4, s[0:1]
	v_add_u32_e32 v10, s9, v10
	v_ashrrev_i32_e32 v11, 31, v10
	v_lshl_add_u64 v[20:21], v[10:11], 4, s[0:1]
	v_add_u32_e32 v10, s9, v10
	v_ashrrev_i32_e32 v11, 31, v10
	v_lshl_add_u64 v[22:23], v[10:11], 4, s[0:1]
	v_add_u32_e32 v10, s9, v10
	v_ashrrev_i32_e32 v11, 31, v10
	v_lshl_add_u64 v[24:25], v[10:11], 4, s[0:1]
	v_add_u32_e32 v10, s9, v10
	v_ashrrev_i32_e32 v11, 31, v10
	v_lshl_add_u64 v[26:27], v[10:11], 4, s[0:1]
	v_add_u32_e32 v10, s9, v10
	v_ashrrev_i32_e32 v11, 31, v10
	v_lshl_add_u64 v[28:29], v[10:11], 4, s[0:1]
	global_load_dwordx4 v[2:5], v30, s[0:1]
	global_load_dwordx4 v[6:9], v[16:17], off
	global_load_dwordx4 v[32:35], v[18:19], off
	;; [unrolled: 1-line block ×7, first 2 shown]
	s_cmpk_lg_i32 s5, 0x84
	s_cselect_b64 s[6:7], -1, 0
	s_cmpk_eq_i32 s5, 0x84
	s_waitcnt vmcnt(7)
	scratch_store_dwordx4 off, v[2:5], off
	s_waitcnt vmcnt(7)
	scratch_store_dwordx4 off, v[6:9], off offset:16
	s_waitcnt vmcnt(7)
	scratch_store_dwordx4 off, v[32:35], off offset:32
	;; [unrolled: 2-line block ×7, first 2 shown]
	s_cbranch_scc1 .LBB7_7
; %bb.2:
	scratch_load_dwordx4 v[2:5], v30, off
                                        ; implicit-def: $vgpr10_vgpr11
	s_waitcnt vmcnt(0)
	v_xor_b32_e32 v1, 0x80000000, v3
	v_cmp_gt_f64_e32 vcc, 0, v[2:3]
	v_xor_b32_e32 v8, 0x80000000, v5
	v_mov_b32_e32 v6, v2
	v_cndmask_b32_e32 v7, v3, v1, vcc
	v_cmp_gt_f64_e32 vcc, 0, v[4:5]
	s_nop 1
	v_cndmask_b32_e32 v9, v5, v8, vcc
	v_mov_b32_e32 v8, v4
	v_cmp_ngt_f64_e32 vcc, v[6:7], v[8:9]
                                        ; implicit-def: $vgpr6_vgpr7
	s_and_saveexec_b64 s[0:1], vcc
	s_xor_b64 s[0:1], exec, s[0:1]
	s_cbranch_execz .LBB7_4
; %bb.3:
	v_div_scale_f64 v[6:7], s[2:3], v[4:5], v[4:5], v[2:3]
	v_rcp_f64_e32 v[8:9], v[6:7]
	v_div_scale_f64 v[10:11], vcc, v[2:3], v[4:5], v[2:3]
	v_fma_f64 v[32:33], -v[6:7], v[8:9], 1.0
	v_fmac_f64_e32 v[8:9], v[8:9], v[32:33]
	v_fma_f64 v[32:33], -v[6:7], v[8:9], 1.0
	v_fmac_f64_e32 v[8:9], v[8:9], v[32:33]
	v_mul_f64 v[32:33], v[10:11], v[8:9]
	v_fma_f64 v[6:7], -v[6:7], v[32:33], v[10:11]
	v_div_fmas_f64 v[6:7], v[6:7], v[8:9], v[32:33]
	v_div_fixup_f64 v[6:7], v[6:7], v[4:5], v[2:3]
	v_fmac_f64_e32 v[4:5], v[2:3], v[6:7]
	v_div_scale_f64 v[2:3], s[2:3], v[4:5], v[4:5], 1.0
	v_rcp_f64_e32 v[8:9], v[2:3]
	s_nop 0
	v_fma_f64 v[10:11], -v[2:3], v[8:9], 1.0
	v_fmac_f64_e32 v[8:9], v[8:9], v[10:11]
	v_fma_f64 v[10:11], -v[2:3], v[8:9], 1.0
	v_fmac_f64_e32 v[8:9], v[8:9], v[10:11]
	v_div_scale_f64 v[10:11], vcc, 1.0, v[4:5], 1.0
	v_mul_f64 v[32:33], v[10:11], v[8:9]
	v_fma_f64 v[2:3], -v[2:3], v[32:33], v[10:11]
	s_nop 1
	v_div_fmas_f64 v[2:3], v[2:3], v[8:9], v[32:33]
	v_div_fixup_f64 v[8:9], v[2:3], v[4:5], 1.0
	v_mul_f64 v[6:7], v[6:7], v[8:9]
	v_xor_b32_e32 v9, 0x80000000, v9
	v_xor_b32_e32 v11, 0x80000000, v7
	v_mov_b32_e32 v10, v6
                                        ; implicit-def: $vgpr2_vgpr3
.LBB7_4:
	s_or_saveexec_b64 s[0:1], s[0:1]
	v_add_u32_e32 v1, 0, v30
	s_xor_b64 exec, exec, s[0:1]
	s_cbranch_execz .LBB7_6
; %bb.5:
	v_div_scale_f64 v[6:7], s[2:3], v[2:3], v[2:3], v[4:5]
	v_rcp_f64_e32 v[8:9], v[6:7]
	v_div_scale_f64 v[10:11], vcc, v[4:5], v[2:3], v[4:5]
	v_fma_f64 v[32:33], -v[6:7], v[8:9], 1.0
	v_fmac_f64_e32 v[8:9], v[8:9], v[32:33]
	v_fma_f64 v[32:33], -v[6:7], v[8:9], 1.0
	v_fmac_f64_e32 v[8:9], v[8:9], v[32:33]
	v_mul_f64 v[32:33], v[10:11], v[8:9]
	v_fma_f64 v[6:7], -v[6:7], v[32:33], v[10:11]
	v_div_fmas_f64 v[6:7], v[6:7], v[8:9], v[32:33]
	v_div_fixup_f64 v[8:9], v[6:7], v[2:3], v[4:5]
	v_fmac_f64_e32 v[2:3], v[4:5], v[8:9]
	v_div_scale_f64 v[4:5], s[2:3], v[2:3], v[2:3], 1.0
	v_rcp_f64_e32 v[6:7], v[4:5]
	s_nop 0
	v_fma_f64 v[10:11], -v[4:5], v[6:7], 1.0
	v_fmac_f64_e32 v[6:7], v[6:7], v[10:11]
	v_fma_f64 v[10:11], -v[4:5], v[6:7], 1.0
	v_fmac_f64_e32 v[6:7], v[6:7], v[10:11]
	v_div_scale_f64 v[10:11], vcc, 1.0, v[2:3], 1.0
	v_mul_f64 v[32:33], v[10:11], v[6:7]
	v_fma_f64 v[4:5], -v[4:5], v[32:33], v[10:11]
	s_nop 1
	v_div_fmas_f64 v[4:5], v[4:5], v[6:7], v[32:33]
	v_div_fixup_f64 v[6:7], v[4:5], v[2:3], 1.0
	v_xor_b32_e32 v11, 0x80000000, v7
	v_mov_b32_e32 v10, v6
	v_mul_f64 v[8:9], v[8:9], -v[6:7]
.LBB7_6:
	s_or_b64 exec, exec, s[0:1]
	scratch_store_dwordx4 v1, v[6:9], off
	s_nop 1
	v_xor_b32_e32 v9, 0x80000000, v9
	s_branch .LBB7_8
.LBB7_7:
	v_mov_b64_e32 v[8:9], 0
	v_mov_b64_e32 v[10:11], -1.0
.LBB7_8:
	v_add_u32_e32 v1, 16, v12
	v_add_u32_e32 v34, 32, v12
	;; [unrolled: 1-line block ×7, first 2 shown]
	v_mov_b32_e32 v12, v8
	v_mov_b32_e32 v13, v9
	s_cmpk_eq_i32 s4, 0x79
	v_add_u32_e32 v9, 0x80, v30
	v_add_u32_e32 v8, 0, v30
	ds_write_b128 v30, v[10:13]
	s_cbranch_scc1 .LBB7_60
; %bb.9:
	scratch_load_dwordx4 v[2:5], v36, off
	v_cmp_eq_u32_e64 s[0:1], 7, v0
	s_waitcnt vmcnt(0)
	ds_write_b128 v9, v[2:5]
	s_waitcnt lgkmcnt(0)
	; wave barrier
	s_waitcnt lgkmcnt(0)
	s_and_saveexec_b64 s[2:3], s[0:1]
	s_cbranch_execz .LBB7_13
; %bb.10:
	ds_read_b128 v[2:5], v9
	s_andn2_b64 vcc, exec, s[6:7]
	s_cbranch_vccnz .LBB7_12
; %bb.11:
	scratch_load_dwordx4 v[10:13], v8, off
	s_waitcnt vmcnt(0) lgkmcnt(0)
	v_mul_f64 v[6:7], v[4:5], v[12:13]
	v_mul_f64 v[12:13], v[2:3], v[12:13]
	v_fmac_f64_e32 v[12:13], v[4:5], v[10:11]
	v_fma_f64 v[2:3], v[2:3], v[10:11], -v[6:7]
	v_mov_b64_e32 v[4:5], v[12:13]
.LBB7_12:
	v_mov_b32_e32 v6, 0
	ds_read_b128 v[10:13], v6 offset:96
	s_waitcnt lgkmcnt(0)
	v_mul_f64 v[6:7], v[4:5], v[12:13]
	v_mul_f64 v[40:41], v[2:3], v[12:13]
	v_fma_f64 v[38:39], v[2:3], v[10:11], -v[6:7]
	v_fmac_f64_e32 v[40:41], v[4:5], v[10:11]
	scratch_store_dwordx4 off, v[38:41], off offset:96
.LBB7_13:
	s_or_b64 exec, exec, s[2:3]
	scratch_load_dwordx4 v[2:5], v32, off
	v_cmp_lt_u32_e64 s[2:3], 5, v0
	s_waitcnt vmcnt(0)
	ds_write_b128 v9, v[2:5]
	s_waitcnt lgkmcnt(0)
	; wave barrier
	s_waitcnt lgkmcnt(0)
	s_and_saveexec_b64 s[4:5], s[2:3]
	s_cbranch_execz .LBB7_19
; %bb.14:
	ds_read_b128 v[2:5], v9
	s_andn2_b64 vcc, exec, s[6:7]
	s_cbranch_vccnz .LBB7_16
; %bb.15:
	scratch_load_dwordx4 v[10:13], v8, off
	s_waitcnt vmcnt(0) lgkmcnt(0)
	v_mul_f64 v[6:7], v[4:5], v[12:13]
	v_mul_f64 v[12:13], v[2:3], v[12:13]
	v_fmac_f64_e32 v[12:13], v[4:5], v[10:11]
	v_fma_f64 v[2:3], v[2:3], v[10:11], -v[6:7]
	v_mov_b64_e32 v[4:5], v[12:13]
.LBB7_16:
	s_and_saveexec_b64 s[8:9], s[0:1]
	s_cbranch_execz .LBB7_18
; %bb.17:
	scratch_load_dwordx4 v[10:13], off, off offset:96
	v_mov_b32_e32 v6, 0
	ds_read_b128 v[38:41], v6 offset:224
	s_waitcnt vmcnt(0) lgkmcnt(0)
	v_mul_f64 v[6:7], v[38:39], v[12:13]
	v_mul_f64 v[12:13], v[40:41], v[12:13]
	v_fmac_f64_e32 v[6:7], v[40:41], v[10:11]
	v_fma_f64 v[10:11], v[38:39], v[10:11], -v[12:13]
	v_add_f64 v[4:5], v[4:5], v[6:7]
	v_add_f64 v[2:3], v[2:3], v[10:11]
.LBB7_18:
	s_or_b64 exec, exec, s[8:9]
	v_mov_b32_e32 v6, 0
	ds_read_b128 v[10:13], v6 offset:80
	s_waitcnt lgkmcnt(0)
	v_mul_f64 v[6:7], v[4:5], v[12:13]
	v_mul_f64 v[40:41], v[2:3], v[12:13]
	v_fma_f64 v[38:39], v[2:3], v[10:11], -v[6:7]
	v_fmac_f64_e32 v[40:41], v[4:5], v[10:11]
	scratch_store_dwordx4 off, v[38:41], off offset:80
.LBB7_19:
	s_or_b64 exec, exec, s[4:5]
	scratch_load_dwordx4 v[2:5], v35, off
	v_cmp_lt_u32_e64 s[0:1], 4, v0
	s_waitcnt vmcnt(0)
	ds_write_b128 v9, v[2:5]
	s_waitcnt lgkmcnt(0)
	; wave barrier
	s_waitcnt lgkmcnt(0)
	s_and_saveexec_b64 s[4:5], s[0:1]
	s_cbranch_execz .LBB7_27
; %bb.20:
	ds_read_b128 v[2:5], v9
	s_andn2_b64 vcc, exec, s[6:7]
	s_cbranch_vccnz .LBB7_22
; %bb.21:
	scratch_load_dwordx4 v[10:13], v8, off
	s_waitcnt vmcnt(0) lgkmcnt(0)
	v_mul_f64 v[6:7], v[4:5], v[12:13]
	v_mul_f64 v[12:13], v[2:3], v[12:13]
	v_fmac_f64_e32 v[12:13], v[4:5], v[10:11]
	v_fma_f64 v[2:3], v[2:3], v[10:11], -v[6:7]
	v_mov_b64_e32 v[4:5], v[12:13]
.LBB7_22:
	s_and_saveexec_b64 s[8:9], s[2:3]
	s_cbranch_execz .LBB7_26
; %bb.23:
	v_mov_b32_e32 v7, 0
	v_add_u32_e32 v6, -5, v0
	v_add_u32_e32 v7, 0x58, v7
	s_movk_i32 s10, 0xd0
	s_mov_b64 s[2:3], 0
.LBB7_24:                               ; =>This Inner Loop Header: Depth=1
	v_add_u32_e32 v10, -8, v7
	scratch_load_dwordx4 v[10:13], v10, off
	v_mov_b32_e32 v37, s10
	ds_read_b128 v[38:41], v37
	v_add_u32_e32 v6, -1, v6
	s_add_i32 s10, s10, 16
	v_cmp_eq_u32_e32 vcc, 0, v6
	v_add_u32_e32 v7, 16, v7
	s_or_b64 s[2:3], vcc, s[2:3]
	s_waitcnt vmcnt(0) lgkmcnt(0)
	v_mul_f64 v[42:43], v[40:41], v[12:13]
	v_mul_f64 v[12:13], v[38:39], v[12:13]
	v_fma_f64 v[38:39], v[38:39], v[10:11], -v[42:43]
	v_fmac_f64_e32 v[12:13], v[40:41], v[10:11]
	v_add_f64 v[2:3], v[2:3], v[38:39]
	v_add_f64 v[4:5], v[4:5], v[12:13]
	s_andn2_b64 exec, exec, s[2:3]
	s_cbranch_execnz .LBB7_24
; %bb.25:
	s_or_b64 exec, exec, s[2:3]
.LBB7_26:
	s_or_b64 exec, exec, s[8:9]
	v_mov_b32_e32 v6, 0
	ds_read_b128 v[10:13], v6 offset:64
	s_waitcnt lgkmcnt(0)
	v_mul_f64 v[6:7], v[4:5], v[12:13]
	v_mul_f64 v[40:41], v[2:3], v[12:13]
	v_fma_f64 v[38:39], v[2:3], v[10:11], -v[6:7]
	v_fmac_f64_e32 v[40:41], v[4:5], v[10:11]
	scratch_store_dwordx4 off, v[38:41], off offset:64
.LBB7_27:
	s_or_b64 exec, exec, s[4:5]
	scratch_load_dwordx4 v[2:5], v31, off
	v_cmp_lt_u32_e64 s[2:3], 3, v0
	s_waitcnt vmcnt(0)
	ds_write_b128 v9, v[2:5]
	s_waitcnt lgkmcnt(0)
	; wave barrier
	s_waitcnt lgkmcnt(0)
	s_and_saveexec_b64 s[4:5], s[2:3]
	s_cbranch_execz .LBB7_35
; %bb.28:
	ds_read_b128 v[2:5], v9
	s_andn2_b64 vcc, exec, s[6:7]
	s_cbranch_vccnz .LBB7_30
; %bb.29:
	scratch_load_dwordx4 v[10:13], v8, off
	s_waitcnt vmcnt(0) lgkmcnt(0)
	v_mul_f64 v[6:7], v[4:5], v[12:13]
	v_mul_f64 v[12:13], v[2:3], v[12:13]
	v_fmac_f64_e32 v[12:13], v[4:5], v[10:11]
	v_fma_f64 v[2:3], v[2:3], v[10:11], -v[6:7]
	v_mov_b64_e32 v[4:5], v[12:13]
.LBB7_30:
	s_and_saveexec_b64 s[8:9], s[0:1]
	s_cbranch_execz .LBB7_34
; %bb.31:
	v_mov_b32_e32 v7, 0
	v_add_u32_e32 v6, -4, v0
	v_add_u32_e32 v7, 0x48, v7
	s_movk_i32 s10, 0xc0
	s_mov_b64 s[0:1], 0
.LBB7_32:                               ; =>This Inner Loop Header: Depth=1
	v_add_u32_e32 v10, -8, v7
	scratch_load_dwordx4 v[10:13], v10, off
	v_mov_b32_e32 v37, s10
	ds_read_b128 v[38:41], v37
	v_add_u32_e32 v6, -1, v6
	s_add_i32 s10, s10, 16
	v_cmp_eq_u32_e32 vcc, 0, v6
	v_add_u32_e32 v7, 16, v7
	s_or_b64 s[0:1], vcc, s[0:1]
	s_waitcnt vmcnt(0) lgkmcnt(0)
	v_mul_f64 v[42:43], v[40:41], v[12:13]
	v_mul_f64 v[12:13], v[38:39], v[12:13]
	v_fma_f64 v[38:39], v[38:39], v[10:11], -v[42:43]
	v_fmac_f64_e32 v[12:13], v[40:41], v[10:11]
	v_add_f64 v[2:3], v[2:3], v[38:39]
	v_add_f64 v[4:5], v[4:5], v[12:13]
	s_andn2_b64 exec, exec, s[0:1]
	s_cbranch_execnz .LBB7_32
; %bb.33:
	s_or_b64 exec, exec, s[0:1]
.LBB7_34:
	s_or_b64 exec, exec, s[8:9]
	v_mov_b32_e32 v6, 0
	ds_read_b128 v[10:13], v6 offset:48
	s_waitcnt lgkmcnt(0)
	v_mul_f64 v[6:7], v[4:5], v[12:13]
	v_mul_f64 v[40:41], v[2:3], v[12:13]
	v_fma_f64 v[38:39], v[2:3], v[10:11], -v[6:7]
	v_fmac_f64_e32 v[40:41], v[4:5], v[10:11]
	scratch_store_dwordx4 off, v[38:41], off offset:48
.LBB7_35:
	;; [unrolled: 63-line block ×4, first 2 shown]
	s_or_b64 exec, exec, s[2:3]
	scratch_load_dwordx4 v[2:5], off, off
	v_cmp_ne_u32_e32 vcc, 0, v0
	s_mov_b64 s[2:3], 0
	s_mov_b64 s[4:5], 0
                                        ; implicit-def: $vgpr6_vgpr7
                                        ; implicit-def: $vgpr10
	s_waitcnt vmcnt(0)
	ds_write_b128 v9, v[2:5]
	s_waitcnt lgkmcnt(0)
	; wave barrier
	s_waitcnt lgkmcnt(0)
	s_and_saveexec_b64 s[8:9], vcc
	s_cbranch_execz .LBB7_59
; %bb.52:
	ds_read_b128 v[2:5], v9
	s_andn2_b64 vcc, exec, s[6:7]
	s_cbranch_vccnz .LBB7_54
; %bb.53:
	scratch_load_dwordx4 v[10:13], v8, off
	s_waitcnt vmcnt(0) lgkmcnt(0)
	v_mul_f64 v[6:7], v[4:5], v[12:13]
	v_mul_f64 v[12:13], v[2:3], v[12:13]
	v_fmac_f64_e32 v[12:13], v[4:5], v[10:11]
	v_fma_f64 v[2:3], v[2:3], v[10:11], -v[6:7]
	v_mov_b64_e32 v[4:5], v[12:13]
.LBB7_54:
	s_and_saveexec_b64 s[4:5], s[0:1]
	s_cbranch_execz .LBB7_58
; %bb.55:
	v_mov_b32_e32 v7, 0
	v_add_u32_e32 v6, -1, v0
	v_add_u32_e32 v7, 24, v7
	s_movk_i32 s10, 0x90
	s_mov_b64 s[0:1], 0
.LBB7_56:                               ; =>This Inner Loop Header: Depth=1
	v_add_u32_e32 v10, -8, v7
	scratch_load_dwordx4 v[10:13], v10, off
	v_mov_b32_e32 v37, s10
	ds_read_b128 v[38:41], v37
	v_add_u32_e32 v6, -1, v6
	s_add_i32 s10, s10, 16
	v_cmp_eq_u32_e32 vcc, 0, v6
	v_add_u32_e32 v7, 16, v7
	s_or_b64 s[0:1], vcc, s[0:1]
	s_waitcnt vmcnt(0) lgkmcnt(0)
	v_mul_f64 v[42:43], v[40:41], v[12:13]
	v_mul_f64 v[12:13], v[38:39], v[12:13]
	v_fma_f64 v[38:39], v[38:39], v[10:11], -v[42:43]
	v_fmac_f64_e32 v[12:13], v[40:41], v[10:11]
	v_add_f64 v[2:3], v[2:3], v[38:39]
	v_add_f64 v[4:5], v[4:5], v[12:13]
	s_andn2_b64 exec, exec, s[0:1]
	s_cbranch_execnz .LBB7_56
; %bb.57:
	s_or_b64 exec, exec, s[0:1]
.LBB7_58:
	s_or_b64 exec, exec, s[4:5]
	v_mov_b32_e32 v6, 0
	ds_read_b128 v[38:41], v6
	v_mov_b32_e32 v6, 0
	v_or_b32_e32 v10, 8, v6
	s_mov_b64 s[4:5], exec
	s_waitcnt lgkmcnt(0)
	v_mul_f64 v[12:13], v[4:5], v[40:41]
	v_mul_f64 v[6:7], v[2:3], v[40:41]
	v_fma_f64 v[2:3], v[2:3], v[38:39], -v[12:13]
	v_fmac_f64_e32 v[6:7], v[4:5], v[38:39]
	scratch_store_dwordx2 off, v[2:3], off
.LBB7_59:
	s_or_b64 exec, exec, s[8:9]
	s_and_b64 vcc, exec, s[2:3]
	s_cbranch_vccnz .LBB7_61
	s_branch .LBB7_112
.LBB7_60:
	s_mov_b64 s[4:5], 0
                                        ; implicit-def: $vgpr6_vgpr7
                                        ; implicit-def: $vgpr10
	s_cbranch_execz .LBB7_112
.LBB7_61:
	scratch_load_dwordx4 v[2:5], v1, off
	v_cndmask_b32_e64 v6, 0, 1, s[6:7]
	v_cmp_eq_u32_e64 s[2:3], 0, v0
	v_cmp_ne_u32_e64 s[0:1], 1, v6
	s_waitcnt vmcnt(0)
	ds_write_b128 v9, v[2:5]
	s_waitcnt lgkmcnt(0)
	; wave barrier
	s_waitcnt lgkmcnt(0)
	s_and_saveexec_b64 s[6:7], s[2:3]
	s_cbranch_execz .LBB7_65
; %bb.62:
	ds_read_b128 v[2:5], v9
	s_and_b64 vcc, exec, s[0:1]
	s_cbranch_vccnz .LBB7_64
; %bb.63:
	scratch_load_dwordx4 v[10:13], v8, off
	s_waitcnt vmcnt(0) lgkmcnt(0)
	v_mul_f64 v[6:7], v[4:5], v[12:13]
	v_mul_f64 v[12:13], v[2:3], v[12:13]
	v_fmac_f64_e32 v[12:13], v[4:5], v[10:11]
	v_fma_f64 v[2:3], v[2:3], v[10:11], -v[6:7]
	v_mov_b64_e32 v[4:5], v[12:13]
.LBB7_64:
	v_mov_b32_e32 v6, 0
	ds_read_b128 v[10:13], v6 offset:16
	s_waitcnt lgkmcnt(0)
	v_mul_f64 v[6:7], v[4:5], v[12:13]
	v_mul_f64 v[40:41], v[2:3], v[12:13]
	v_fma_f64 v[38:39], v[2:3], v[10:11], -v[6:7]
	v_fmac_f64_e32 v[40:41], v[4:5], v[10:11]
	scratch_store_dwordx4 off, v[38:41], off offset:16
.LBB7_65:
	s_or_b64 exec, exec, s[6:7]
	scratch_load_dwordx4 v[2:5], v34, off
	v_cmp_gt_u32_e32 vcc, 2, v0
	s_waitcnt vmcnt(0)
	ds_write_b128 v9, v[2:5]
	s_waitcnt lgkmcnt(0)
	; wave barrier
	s_waitcnt lgkmcnt(0)
	s_and_saveexec_b64 s[6:7], vcc
	s_cbranch_execz .LBB7_71
; %bb.66:
	ds_read_b128 v[2:5], v9
	s_and_b64 vcc, exec, s[0:1]
	s_cbranch_vccnz .LBB7_68
; %bb.67:
	scratch_load_dwordx4 v[10:13], v8, off
	s_waitcnt vmcnt(0) lgkmcnt(0)
	v_mul_f64 v[6:7], v[4:5], v[12:13]
	v_mul_f64 v[12:13], v[2:3], v[12:13]
	v_fmac_f64_e32 v[12:13], v[4:5], v[10:11]
	v_fma_f64 v[2:3], v[2:3], v[10:11], -v[6:7]
	v_mov_b64_e32 v[4:5], v[12:13]
.LBB7_68:
	s_and_saveexec_b64 s[8:9], s[2:3]
	s_cbranch_execz .LBB7_70
; %bb.69:
	scratch_load_dwordx4 v[10:13], v8, off offset:16
	ds_read_b128 v[38:41], v9 offset:16
	s_waitcnt vmcnt(0) lgkmcnt(0)
	v_mul_f64 v[6:7], v[40:41], v[12:13]
	v_mul_f64 v[12:13], v[38:39], v[12:13]
	v_fma_f64 v[6:7], v[38:39], v[10:11], -v[6:7]
	v_fmac_f64_e32 v[12:13], v[40:41], v[10:11]
	v_add_f64 v[2:3], v[2:3], v[6:7]
	v_add_f64 v[4:5], v[4:5], v[12:13]
.LBB7_70:
	s_or_b64 exec, exec, s[8:9]
	v_mov_b32_e32 v6, 0
	ds_read_b128 v[10:13], v6 offset:32
	s_waitcnt lgkmcnt(0)
	v_mul_f64 v[6:7], v[4:5], v[12:13]
	v_mul_f64 v[40:41], v[2:3], v[12:13]
	v_fma_f64 v[38:39], v[2:3], v[10:11], -v[6:7]
	v_fmac_f64_e32 v[40:41], v[4:5], v[10:11]
	scratch_store_dwordx4 off, v[38:41], off offset:32
.LBB7_71:
	s_or_b64 exec, exec, s[6:7]
	scratch_load_dwordx4 v[2:5], v31, off
	v_cmp_gt_u32_e32 vcc, 3, v0
	s_waitcnt vmcnt(0)
	ds_write_b128 v9, v[2:5]
	s_waitcnt lgkmcnt(0)
	; wave barrier
	s_waitcnt lgkmcnt(0)
	s_and_saveexec_b64 s[6:7], vcc
	s_cbranch_execz .LBB7_79
; %bb.72:
	ds_read_b128 v[2:5], v9
	s_and_b64 vcc, exec, s[0:1]
	s_cbranch_vccnz .LBB7_74
; %bb.73:
	scratch_load_dwordx4 v[10:13], v8, off
	s_waitcnt vmcnt(0) lgkmcnt(0)
	v_mul_f64 v[6:7], v[4:5], v[12:13]
	v_mul_f64 v[12:13], v[2:3], v[12:13]
	v_fmac_f64_e32 v[12:13], v[4:5], v[10:11]
	v_fma_f64 v[2:3], v[2:3], v[10:11], -v[6:7]
	v_mov_b64_e32 v[4:5], v[12:13]
.LBB7_74:
	v_cmp_ne_u32_e32 vcc, 2, v0
	s_and_saveexec_b64 s[8:9], vcc
	s_cbranch_execz .LBB7_78
; %bb.75:
	scratch_load_dwordx4 v[10:13], v8, off offset:16
	ds_read_b128 v[38:41], v9 offset:16
	s_waitcnt vmcnt(0) lgkmcnt(0)
	v_mul_f64 v[6:7], v[40:41], v[12:13]
	v_mul_f64 v[12:13], v[38:39], v[12:13]
	v_fma_f64 v[6:7], v[38:39], v[10:11], -v[6:7]
	v_fmac_f64_e32 v[12:13], v[40:41], v[10:11]
	v_add_f64 v[2:3], v[2:3], v[6:7]
	v_add_f64 v[4:5], v[4:5], v[12:13]
	s_and_saveexec_b64 s[10:11], s[2:3]
	s_cbranch_execz .LBB7_77
; %bb.76:
	scratch_load_dwordx4 v[10:13], off, off offset:32
	v_mov_b32_e32 v6, 0
	ds_read_b128 v[38:41], v6 offset:160
	s_waitcnt vmcnt(0) lgkmcnt(0)
	v_mul_f64 v[6:7], v[38:39], v[12:13]
	v_mul_f64 v[12:13], v[40:41], v[12:13]
	v_fmac_f64_e32 v[6:7], v[40:41], v[10:11]
	v_fma_f64 v[10:11], v[38:39], v[10:11], -v[12:13]
	v_add_f64 v[4:5], v[4:5], v[6:7]
	v_add_f64 v[2:3], v[2:3], v[10:11]
.LBB7_77:
	s_or_b64 exec, exec, s[10:11]
.LBB7_78:
	s_or_b64 exec, exec, s[8:9]
	v_mov_b32_e32 v6, 0
	ds_read_b128 v[10:13], v6 offset:48
	s_waitcnt lgkmcnt(0)
	v_mul_f64 v[6:7], v[4:5], v[12:13]
	v_mul_f64 v[40:41], v[2:3], v[12:13]
	v_fma_f64 v[38:39], v[2:3], v[10:11], -v[6:7]
	v_fmac_f64_e32 v[40:41], v[4:5], v[10:11]
	scratch_store_dwordx4 off, v[38:41], off offset:48
.LBB7_79:
	s_or_b64 exec, exec, s[6:7]
	scratch_load_dwordx4 v[2:5], v35, off
	v_cmp_gt_u32_e32 vcc, 4, v0
	s_waitcnt vmcnt(0)
	ds_write_b128 v9, v[2:5]
	s_waitcnt lgkmcnt(0)
	; wave barrier
	s_waitcnt lgkmcnt(0)
	s_and_saveexec_b64 s[2:3], vcc
	s_cbranch_execz .LBB7_87
; %bb.80:
	ds_read_b128 v[2:5], v9
	s_and_b64 vcc, exec, s[0:1]
	s_cbranch_vccnz .LBB7_82
; %bb.81:
	scratch_load_dwordx4 v[10:13], v8, off
	s_waitcnt vmcnt(0) lgkmcnt(0)
	v_mul_f64 v[6:7], v[4:5], v[12:13]
	v_mul_f64 v[12:13], v[2:3], v[12:13]
	v_fmac_f64_e32 v[12:13], v[4:5], v[10:11]
	v_fma_f64 v[2:3], v[2:3], v[10:11], -v[6:7]
	v_mov_b64_e32 v[4:5], v[12:13]
.LBB7_82:
	v_cmp_ne_u32_e32 vcc, 3, v0
	s_and_saveexec_b64 s[6:7], vcc
	s_cbranch_execz .LBB7_86
; %bb.83:
	v_mov_b32_e32 v7, 0
	v_add_u32_e32 v6, 0x90, v30
	v_add3_u32 v7, v30, v7, 24
	s_mov_b64 s[8:9], 0
	v_mov_b32_e32 v10, v0
.LBB7_84:                               ; =>This Inner Loop Header: Depth=1
	v_add_u32_e32 v11, -8, v7
	scratch_load_dwordx4 v[38:41], v11, off
	ds_read_b128 v[42:45], v6
	v_add_u32_e32 v10, 1, v10
	v_cmp_lt_u32_e32 vcc, 2, v10
	v_add_u32_e32 v6, 16, v6
	v_add_u32_e32 v7, 16, v7
	s_or_b64 s[8:9], vcc, s[8:9]
	s_waitcnt vmcnt(0) lgkmcnt(0)
	v_mul_f64 v[12:13], v[44:45], v[40:41]
	v_mul_f64 v[40:41], v[42:43], v[40:41]
	v_fma_f64 v[12:13], v[42:43], v[38:39], -v[12:13]
	v_fmac_f64_e32 v[40:41], v[44:45], v[38:39]
	v_add_f64 v[2:3], v[2:3], v[12:13]
	v_add_f64 v[4:5], v[4:5], v[40:41]
	s_andn2_b64 exec, exec, s[8:9]
	s_cbranch_execnz .LBB7_84
; %bb.85:
	s_or_b64 exec, exec, s[8:9]
.LBB7_86:
	s_or_b64 exec, exec, s[6:7]
	v_mov_b32_e32 v6, 0
	ds_read_b128 v[10:13], v6 offset:64
	s_waitcnt lgkmcnt(0)
	v_mul_f64 v[6:7], v[4:5], v[12:13]
	v_mul_f64 v[40:41], v[2:3], v[12:13]
	v_fma_f64 v[38:39], v[2:3], v[10:11], -v[6:7]
	v_fmac_f64_e32 v[40:41], v[4:5], v[10:11]
	scratch_store_dwordx4 off, v[38:41], off offset:64
.LBB7_87:
	s_or_b64 exec, exec, s[2:3]
	scratch_load_dwordx4 v[2:5], v32, off
	v_cmp_gt_u32_e32 vcc, 5, v0
	s_waitcnt vmcnt(0)
	ds_write_b128 v9, v[2:5]
	s_waitcnt lgkmcnt(0)
	; wave barrier
	s_waitcnt lgkmcnt(0)
	s_and_saveexec_b64 s[2:3], vcc
	s_cbranch_execz .LBB7_95
; %bb.88:
	ds_read_b128 v[2:5], v9
	s_and_b64 vcc, exec, s[0:1]
	s_cbranch_vccnz .LBB7_90
; %bb.89:
	scratch_load_dwordx4 v[10:13], v8, off
	s_waitcnt vmcnt(0) lgkmcnt(0)
	v_mul_f64 v[6:7], v[4:5], v[12:13]
	v_mul_f64 v[12:13], v[2:3], v[12:13]
	v_fmac_f64_e32 v[12:13], v[4:5], v[10:11]
	v_fma_f64 v[2:3], v[2:3], v[10:11], -v[6:7]
	v_mov_b64_e32 v[4:5], v[12:13]
.LBB7_90:
	v_cmp_ne_u32_e32 vcc, 4, v0
	s_and_saveexec_b64 s[6:7], vcc
	s_cbranch_execz .LBB7_94
; %bb.91:
	v_mov_b32_e32 v7, 0
	v_add_u32_e32 v6, 0x90, v30
	v_add3_u32 v7, v30, v7, 24
	s_mov_b64 s[8:9], 0
	v_mov_b32_e32 v10, v0
.LBB7_92:                               ; =>This Inner Loop Header: Depth=1
	v_add_u32_e32 v11, -8, v7
	scratch_load_dwordx4 v[38:41], v11, off
	ds_read_b128 v[42:45], v6
	v_add_u32_e32 v10, 1, v10
	v_cmp_lt_u32_e32 vcc, 3, v10
	v_add_u32_e32 v6, 16, v6
	v_add_u32_e32 v7, 16, v7
	s_or_b64 s[8:9], vcc, s[8:9]
	s_waitcnt vmcnt(0) lgkmcnt(0)
	v_mul_f64 v[12:13], v[44:45], v[40:41]
	v_mul_f64 v[40:41], v[42:43], v[40:41]
	v_fma_f64 v[12:13], v[42:43], v[38:39], -v[12:13]
	v_fmac_f64_e32 v[40:41], v[44:45], v[38:39]
	v_add_f64 v[2:3], v[2:3], v[12:13]
	v_add_f64 v[4:5], v[4:5], v[40:41]
	s_andn2_b64 exec, exec, s[8:9]
	s_cbranch_execnz .LBB7_92
; %bb.93:
	s_or_b64 exec, exec, s[8:9]
.LBB7_94:
	s_or_b64 exec, exec, s[6:7]
	v_mov_b32_e32 v6, 0
	ds_read_b128 v[10:13], v6 offset:80
	s_waitcnt lgkmcnt(0)
	v_mul_f64 v[6:7], v[4:5], v[12:13]
	v_mul_f64 v[40:41], v[2:3], v[12:13]
	v_fma_f64 v[38:39], v[2:3], v[10:11], -v[6:7]
	v_fmac_f64_e32 v[40:41], v[4:5], v[10:11]
	scratch_store_dwordx4 off, v[38:41], off offset:80
.LBB7_95:
	s_or_b64 exec, exec, s[2:3]
	scratch_load_dwordx4 v[2:5], v36, off
	v_cmp_gt_u32_e64 s[2:3], 6, v0
	s_waitcnt vmcnt(0)
	ds_write_b128 v9, v[2:5]
	s_waitcnt lgkmcnt(0)
	; wave barrier
	s_waitcnt lgkmcnt(0)
	s_and_saveexec_b64 s[6:7], s[2:3]
	s_cbranch_execz .LBB7_103
; %bb.96:
	ds_read_b128 v[2:5], v9
	s_and_b64 vcc, exec, s[0:1]
	s_cbranch_vccnz .LBB7_98
; %bb.97:
	scratch_load_dwordx4 v[10:13], v8, off
	s_waitcnt vmcnt(0) lgkmcnt(0)
	v_mul_f64 v[6:7], v[4:5], v[12:13]
	v_mul_f64 v[12:13], v[2:3], v[12:13]
	v_fmac_f64_e32 v[12:13], v[4:5], v[10:11]
	v_fma_f64 v[2:3], v[2:3], v[10:11], -v[6:7]
	v_mov_b64_e32 v[4:5], v[12:13]
.LBB7_98:
	v_cmp_ne_u32_e32 vcc, 5, v0
	s_and_saveexec_b64 s[8:9], vcc
	s_cbranch_execz .LBB7_102
; %bb.99:
	v_mov_b32_e32 v7, 0
	v_add_u32_e32 v6, 0x90, v30
	v_add3_u32 v7, v30, v7, 24
	s_mov_b64 s[10:11], 0
	v_mov_b32_e32 v10, v0
.LBB7_100:                              ; =>This Inner Loop Header: Depth=1
	v_add_u32_e32 v11, -8, v7
	scratch_load_dwordx4 v[38:41], v11, off
	ds_read_b128 v[42:45], v6
	v_add_u32_e32 v10, 1, v10
	v_cmp_lt_u32_e32 vcc, 4, v10
	v_add_u32_e32 v6, 16, v6
	v_add_u32_e32 v7, 16, v7
	s_or_b64 s[10:11], vcc, s[10:11]
	s_waitcnt vmcnt(0) lgkmcnt(0)
	v_mul_f64 v[12:13], v[44:45], v[40:41]
	v_mul_f64 v[40:41], v[42:43], v[40:41]
	v_fma_f64 v[12:13], v[42:43], v[38:39], -v[12:13]
	v_fmac_f64_e32 v[40:41], v[44:45], v[38:39]
	v_add_f64 v[2:3], v[2:3], v[12:13]
	v_add_f64 v[4:5], v[4:5], v[40:41]
	s_andn2_b64 exec, exec, s[10:11]
	s_cbranch_execnz .LBB7_100
; %bb.101:
	s_or_b64 exec, exec, s[10:11]
.LBB7_102:
	s_or_b64 exec, exec, s[8:9]
	v_mov_b32_e32 v6, 0
	ds_read_b128 v[10:13], v6 offset:96
	s_waitcnt lgkmcnt(0)
	v_mul_f64 v[6:7], v[4:5], v[12:13]
	v_mul_f64 v[40:41], v[2:3], v[12:13]
	v_fma_f64 v[38:39], v[2:3], v[10:11], -v[6:7]
	v_fmac_f64_e32 v[40:41], v[4:5], v[10:11]
	scratch_store_dwordx4 off, v[38:41], off offset:96
.LBB7_103:
	s_or_b64 exec, exec, s[6:7]
	scratch_load_dwordx4 v[2:5], v33, off
	v_cmp_ne_u32_e32 vcc, 7, v0
                                        ; implicit-def: $vgpr6_vgpr7
                                        ; implicit-def: $vgpr10
	s_waitcnt vmcnt(0)
	ds_write_b128 v9, v[2:5]
	s_waitcnt lgkmcnt(0)
	; wave barrier
	s_waitcnt lgkmcnt(0)
	s_and_saveexec_b64 s[6:7], vcc
	s_cbranch_execz .LBB7_111
; %bb.104:
	ds_read_b128 v[2:5], v9
	s_and_b64 vcc, exec, s[0:1]
	s_cbranch_vccnz .LBB7_106
; %bb.105:
	scratch_load_dwordx4 v[6:9], v8, off
	s_waitcnt vmcnt(0) lgkmcnt(0)
	v_mul_f64 v[10:11], v[4:5], v[8:9]
	v_mul_f64 v[8:9], v[2:3], v[8:9]
	v_fmac_f64_e32 v[8:9], v[4:5], v[6:7]
	v_fma_f64 v[2:3], v[2:3], v[6:7], -v[10:11]
	v_mov_b64_e32 v[4:5], v[8:9]
.LBB7_106:
	s_and_saveexec_b64 s[0:1], s[2:3]
	s_cbranch_execz .LBB7_110
; %bb.107:
	v_mov_b32_e32 v7, 0
	v_add_u32_e32 v6, 0x90, v30
	v_add3_u32 v7, v30, v7, 24
	s_mov_b64 s[2:3], 0
.LBB7_108:                              ; =>This Inner Loop Header: Depth=1
	v_add_u32_e32 v8, -8, v7
	scratch_load_dwordx4 v[8:11], v8, off
	ds_read_b128 v[38:41], v6
	v_add_u32_e32 v0, 1, v0
	v_cmp_lt_u32_e32 vcc, 5, v0
	v_add_u32_e32 v6, 16, v6
	v_add_u32_e32 v7, 16, v7
	s_or_b64 s[2:3], vcc, s[2:3]
	s_waitcnt vmcnt(0) lgkmcnt(0)
	v_mul_f64 v[12:13], v[40:41], v[10:11]
	v_mul_f64 v[10:11], v[38:39], v[10:11]
	v_fma_f64 v[12:13], v[38:39], v[8:9], -v[12:13]
	v_fmac_f64_e32 v[10:11], v[40:41], v[8:9]
	v_add_f64 v[2:3], v[2:3], v[12:13]
	v_add_f64 v[4:5], v[4:5], v[10:11]
	s_andn2_b64 exec, exec, s[2:3]
	s_cbranch_execnz .LBB7_108
; %bb.109:
	s_or_b64 exec, exec, s[2:3]
.LBB7_110:
	s_or_b64 exec, exec, s[0:1]
	v_mov_b32_e32 v0, 0
	ds_read_b128 v[38:41], v0 offset:112
	v_mov_b32_e32 v0, 0
	v_add_u32_e32 v10, 0x78, v0
	s_or_b64 s[4:5], s[4:5], exec
	s_waitcnt lgkmcnt(0)
	v_mul_f64 v[8:9], v[4:5], v[40:41]
	v_mul_f64 v[6:7], v[2:3], v[40:41]
	v_fma_f64 v[2:3], v[2:3], v[38:39], -v[8:9]
	v_fmac_f64_e32 v[6:7], v[4:5], v[38:39]
	scratch_store_dwordx2 off, v[2:3], off offset:112
.LBB7_111:
	s_or_b64 exec, exec, s[6:7]
.LBB7_112:
	s_and_saveexec_b64 s[0:1], s[4:5]
	s_cbranch_execz .LBB7_114
; %bb.113:
	scratch_store_dwordx2 v10, v[6:7], off
.LBB7_114:
	s_or_b64 exec, exec, s[0:1]
	scratch_load_dwordx4 v[2:5], off, off
	scratch_load_dwordx4 v[6:9], v1, off
	scratch_load_dwordx4 v[10:13], v34, off
	;; [unrolled: 1-line block ×7, first 2 shown]
	s_waitcnt vmcnt(7)
	global_store_dwordx4 v[14:15], v[2:5], off
	s_waitcnt vmcnt(7)
	global_store_dwordx4 v[16:17], v[6:9], off
	;; [unrolled: 2-line block ×8, first 2 shown]
.LBB7_115:
	s_endpgm
	.section	.rodata,"a",@progbits
	.p2align	6, 0x0
	.amdhsa_kernel _ZN9rocsolver6v33100L18trti2_kernel_smallILi8E19rocblas_complex_numIdEPS3_EEv13rocblas_fill_17rocblas_diagonal_T1_iil
		.amdhsa_group_segment_fixed_size 256
		.amdhsa_private_segment_fixed_size 144
		.amdhsa_kernarg_size 32
		.amdhsa_user_sgpr_count 2
		.amdhsa_user_sgpr_dispatch_ptr 0
		.amdhsa_user_sgpr_queue_ptr 0
		.amdhsa_user_sgpr_kernarg_segment_ptr 1
		.amdhsa_user_sgpr_dispatch_id 0
		.amdhsa_user_sgpr_kernarg_preload_length 0
		.amdhsa_user_sgpr_kernarg_preload_offset 0
		.amdhsa_user_sgpr_private_segment_size 0
		.amdhsa_uses_dynamic_stack 0
		.amdhsa_enable_private_segment 1
		.amdhsa_system_sgpr_workgroup_id_x 1
		.amdhsa_system_sgpr_workgroup_id_y 0
		.amdhsa_system_sgpr_workgroup_id_z 0
		.amdhsa_system_sgpr_workgroup_info 0
		.amdhsa_system_vgpr_workitem_id 0
		.amdhsa_next_free_vgpr 58
		.amdhsa_next_free_sgpr 12
		.amdhsa_accum_offset 60
		.amdhsa_reserve_vcc 1
		.amdhsa_float_round_mode_32 0
		.amdhsa_float_round_mode_16_64 0
		.amdhsa_float_denorm_mode_32 3
		.amdhsa_float_denorm_mode_16_64 3
		.amdhsa_dx10_clamp 1
		.amdhsa_ieee_mode 1
		.amdhsa_fp16_overflow 0
		.amdhsa_tg_split 0
		.amdhsa_exception_fp_ieee_invalid_op 0
		.amdhsa_exception_fp_denorm_src 0
		.amdhsa_exception_fp_ieee_div_zero 0
		.amdhsa_exception_fp_ieee_overflow 0
		.amdhsa_exception_fp_ieee_underflow 0
		.amdhsa_exception_fp_ieee_inexact 0
		.amdhsa_exception_int_div_zero 0
	.end_amdhsa_kernel
	.section	.text._ZN9rocsolver6v33100L18trti2_kernel_smallILi8E19rocblas_complex_numIdEPS3_EEv13rocblas_fill_17rocblas_diagonal_T1_iil,"axG",@progbits,_ZN9rocsolver6v33100L18trti2_kernel_smallILi8E19rocblas_complex_numIdEPS3_EEv13rocblas_fill_17rocblas_diagonal_T1_iil,comdat
.Lfunc_end7:
	.size	_ZN9rocsolver6v33100L18trti2_kernel_smallILi8E19rocblas_complex_numIdEPS3_EEv13rocblas_fill_17rocblas_diagonal_T1_iil, .Lfunc_end7-_ZN9rocsolver6v33100L18trti2_kernel_smallILi8E19rocblas_complex_numIdEPS3_EEv13rocblas_fill_17rocblas_diagonal_T1_iil
                                        ; -- End function
	.section	.AMDGPU.csdata,"",@progbits
; Kernel info:
; codeLenInByte = 5016
; NumSgprs: 18
; NumVgprs: 58
; NumAgprs: 0
; TotalNumVgprs: 58
; ScratchSize: 144
; MemoryBound: 0
; FloatMode: 240
; IeeeMode: 1
; LDSByteSize: 256 bytes/workgroup (compile time only)
; SGPRBlocks: 2
; VGPRBlocks: 7
; NumSGPRsForWavesPerEU: 18
; NumVGPRsForWavesPerEU: 58
; AccumOffset: 60
; Occupancy: 8
; WaveLimiterHint : 0
; COMPUTE_PGM_RSRC2:SCRATCH_EN: 1
; COMPUTE_PGM_RSRC2:USER_SGPR: 2
; COMPUTE_PGM_RSRC2:TRAP_HANDLER: 0
; COMPUTE_PGM_RSRC2:TGID_X_EN: 1
; COMPUTE_PGM_RSRC2:TGID_Y_EN: 0
; COMPUTE_PGM_RSRC2:TGID_Z_EN: 0
; COMPUTE_PGM_RSRC2:TIDIG_COMP_CNT: 0
; COMPUTE_PGM_RSRC3_GFX90A:ACCUM_OFFSET: 14
; COMPUTE_PGM_RSRC3_GFX90A:TG_SPLIT: 0
	.section	.text._ZN9rocsolver6v33100L18trti2_kernel_smallILi9E19rocblas_complex_numIdEPS3_EEv13rocblas_fill_17rocblas_diagonal_T1_iil,"axG",@progbits,_ZN9rocsolver6v33100L18trti2_kernel_smallILi9E19rocblas_complex_numIdEPS3_EEv13rocblas_fill_17rocblas_diagonal_T1_iil,comdat
	.globl	_ZN9rocsolver6v33100L18trti2_kernel_smallILi9E19rocblas_complex_numIdEPS3_EEv13rocblas_fill_17rocblas_diagonal_T1_iil ; -- Begin function _ZN9rocsolver6v33100L18trti2_kernel_smallILi9E19rocblas_complex_numIdEPS3_EEv13rocblas_fill_17rocblas_diagonal_T1_iil
	.p2align	8
	.type	_ZN9rocsolver6v33100L18trti2_kernel_smallILi9E19rocblas_complex_numIdEPS3_EEv13rocblas_fill_17rocblas_diagonal_T1_iil,@function
_ZN9rocsolver6v33100L18trti2_kernel_smallILi9E19rocblas_complex_numIdEPS3_EEv13rocblas_fill_17rocblas_diagonal_T1_iil: ; @_ZN9rocsolver6v33100L18trti2_kernel_smallILi9E19rocblas_complex_numIdEPS3_EEv13rocblas_fill_17rocblas_diagonal_T1_iil
; %bb.0:
	v_cmp_gt_u32_e32 vcc, 9, v0
	s_and_saveexec_b64 s[4:5], vcc
	s_cbranch_execz .LBB8_131
; %bb.1:
	s_load_dwordx8 s[4:11], s[0:1], 0x0
	s_ashr_i32 s3, s2, 31
	v_lshlrev_b32_e32 v32, 4, v0
	v_mov_b32_e32 v33, 0
	v_mov_b32_e32 v12, 0
	s_waitcnt lgkmcnt(0)
	s_ashr_i32 s1, s8, 31
	s_mov_b32 s0, s8
	s_mul_i32 s8, s2, s11
	s_mul_hi_u32 s11, s2, s10
	s_add_i32 s8, s11, s8
	s_mul_i32 s3, s3, s10
	s_add_i32 s3, s8, s3
	s_mul_i32 s2, s2, s10
	s_lshl_b64 s[2:3], s[2:3], 4
	s_add_u32 s2, s6, s2
	s_addc_u32 s3, s7, s3
	s_lshl_b64 s[0:1], s[0:1], 4
	s_add_u32 s0, s2, s0
	s_addc_u32 s1, s3, s1
	v_lshl_add_u64 v[14:15], s[0:1], 0, v[32:33]
	s_ashr_i32 s3, s9, 31
	s_mov_b32 s2, s9
	v_lshl_add_u64 v[16:17], s[2:3], 4, v[14:15]
	s_add_i32 s2, s9, s9
	v_add_u32_e32 v10, s2, v0
	v_ashrrev_i32_e32 v11, 31, v10
	v_lshl_add_u64 v[18:19], v[10:11], 4, s[0:1]
	v_add_u32_e32 v10, s9, v10
	v_ashrrev_i32_e32 v11, 31, v10
	v_lshl_add_u64 v[20:21], v[10:11], 4, s[0:1]
	;; [unrolled: 3-line block ×7, first 2 shown]
	global_load_dwordx4 v[2:5], v32, s[0:1]
	global_load_dwordx4 v[6:9], v[16:17], off
	global_load_dwordx4 v[34:37], v[18:19], off
	;; [unrolled: 1-line block ×8, first 2 shown]
	s_cmpk_lg_i32 s5, 0x84
	s_cselect_b64 s[6:7], -1, 0
	s_cmpk_eq_i32 s5, 0x84
	s_waitcnt vmcnt(8)
	scratch_store_dwordx4 off, v[2:5], off
	s_waitcnt vmcnt(8)
	scratch_store_dwordx4 off, v[6:9], off offset:16
	s_waitcnt vmcnt(8)
	scratch_store_dwordx4 off, v[34:37], off offset:32
	;; [unrolled: 2-line block ×8, first 2 shown]
	s_cbranch_scc1 .LBB8_7
; %bb.2:
	scratch_load_dwordx4 v[2:5], v32, off
                                        ; implicit-def: $vgpr10_vgpr11
	s_waitcnt vmcnt(0)
	v_xor_b32_e32 v1, 0x80000000, v3
	v_cmp_gt_f64_e32 vcc, 0, v[2:3]
	v_xor_b32_e32 v8, 0x80000000, v5
	v_mov_b32_e32 v6, v2
	v_cndmask_b32_e32 v7, v3, v1, vcc
	v_cmp_gt_f64_e32 vcc, 0, v[4:5]
	s_nop 1
	v_cndmask_b32_e32 v9, v5, v8, vcc
	v_mov_b32_e32 v8, v4
	v_cmp_ngt_f64_e32 vcc, v[6:7], v[8:9]
                                        ; implicit-def: $vgpr6_vgpr7
	s_and_saveexec_b64 s[0:1], vcc
	s_xor_b64 s[0:1], exec, s[0:1]
	s_cbranch_execz .LBB8_4
; %bb.3:
	v_div_scale_f64 v[6:7], s[2:3], v[4:5], v[4:5], v[2:3]
	v_rcp_f64_e32 v[8:9], v[6:7]
	v_div_scale_f64 v[10:11], vcc, v[2:3], v[4:5], v[2:3]
	v_fma_f64 v[34:35], -v[6:7], v[8:9], 1.0
	v_fmac_f64_e32 v[8:9], v[8:9], v[34:35]
	v_fma_f64 v[34:35], -v[6:7], v[8:9], 1.0
	v_fmac_f64_e32 v[8:9], v[8:9], v[34:35]
	v_mul_f64 v[34:35], v[10:11], v[8:9]
	v_fma_f64 v[6:7], -v[6:7], v[34:35], v[10:11]
	v_div_fmas_f64 v[6:7], v[6:7], v[8:9], v[34:35]
	v_div_fixup_f64 v[6:7], v[6:7], v[4:5], v[2:3]
	v_fmac_f64_e32 v[4:5], v[2:3], v[6:7]
	v_div_scale_f64 v[2:3], s[2:3], v[4:5], v[4:5], 1.0
	v_rcp_f64_e32 v[8:9], v[2:3]
	s_nop 0
	v_fma_f64 v[10:11], -v[2:3], v[8:9], 1.0
	v_fmac_f64_e32 v[8:9], v[8:9], v[10:11]
	v_fma_f64 v[10:11], -v[2:3], v[8:9], 1.0
	v_fmac_f64_e32 v[8:9], v[8:9], v[10:11]
	v_div_scale_f64 v[10:11], vcc, 1.0, v[4:5], 1.0
	v_mul_f64 v[34:35], v[10:11], v[8:9]
	v_fma_f64 v[2:3], -v[2:3], v[34:35], v[10:11]
	s_nop 1
	v_div_fmas_f64 v[2:3], v[2:3], v[8:9], v[34:35]
	v_div_fixup_f64 v[8:9], v[2:3], v[4:5], 1.0
	v_mul_f64 v[6:7], v[6:7], v[8:9]
	v_xor_b32_e32 v9, 0x80000000, v9
	v_xor_b32_e32 v11, 0x80000000, v7
	v_mov_b32_e32 v10, v6
                                        ; implicit-def: $vgpr2_vgpr3
.LBB8_4:
	s_or_saveexec_b64 s[0:1], s[0:1]
	v_add_u32_e32 v1, 0, v32
	s_xor_b64 exec, exec, s[0:1]
	s_cbranch_execz .LBB8_6
; %bb.5:
	v_div_scale_f64 v[6:7], s[2:3], v[2:3], v[2:3], v[4:5]
	v_rcp_f64_e32 v[8:9], v[6:7]
	v_div_scale_f64 v[10:11], vcc, v[4:5], v[2:3], v[4:5]
	v_fma_f64 v[34:35], -v[6:7], v[8:9], 1.0
	v_fmac_f64_e32 v[8:9], v[8:9], v[34:35]
	v_fma_f64 v[34:35], -v[6:7], v[8:9], 1.0
	v_fmac_f64_e32 v[8:9], v[8:9], v[34:35]
	v_mul_f64 v[34:35], v[10:11], v[8:9]
	v_fma_f64 v[6:7], -v[6:7], v[34:35], v[10:11]
	v_div_fmas_f64 v[6:7], v[6:7], v[8:9], v[34:35]
	v_div_fixup_f64 v[8:9], v[6:7], v[2:3], v[4:5]
	v_fmac_f64_e32 v[2:3], v[4:5], v[8:9]
	v_div_scale_f64 v[4:5], s[2:3], v[2:3], v[2:3], 1.0
	v_rcp_f64_e32 v[6:7], v[4:5]
	s_nop 0
	v_fma_f64 v[10:11], -v[4:5], v[6:7], 1.0
	v_fmac_f64_e32 v[6:7], v[6:7], v[10:11]
	v_fma_f64 v[10:11], -v[4:5], v[6:7], 1.0
	v_fmac_f64_e32 v[6:7], v[6:7], v[10:11]
	v_div_scale_f64 v[10:11], vcc, 1.0, v[2:3], 1.0
	v_mul_f64 v[34:35], v[10:11], v[6:7]
	v_fma_f64 v[4:5], -v[4:5], v[34:35], v[10:11]
	s_nop 1
	v_div_fmas_f64 v[4:5], v[4:5], v[6:7], v[34:35]
	v_div_fixup_f64 v[6:7], v[4:5], v[2:3], 1.0
	v_xor_b32_e32 v11, 0x80000000, v7
	v_mov_b32_e32 v10, v6
	v_mul_f64 v[8:9], v[8:9], -v[6:7]
.LBB8_6:
	s_or_b64 exec, exec, s[0:1]
	scratch_store_dwordx4 v1, v[6:9], off
	s_nop 1
	v_xor_b32_e32 v9, 0x80000000, v9
	s_branch .LBB8_8
.LBB8_7:
	v_mov_b64_e32 v[8:9], 0
	v_mov_b64_e32 v[10:11], -1.0
.LBB8_8:
	v_add_u32_e32 v34, 16, v12
	v_add_u32_e32 v1, 32, v12
	;; [unrolled: 1-line block ×8, first 2 shown]
	v_mov_b32_e32 v12, v8
	v_mov_b32_e32 v13, v9
	s_cmpk_eq_i32 s4, 0x79
	v_add_u32_e32 v9, 0x90, v32
	v_add_u32_e32 v8, 0, v32
	ds_write_b128 v32, v[10:13]
	s_cbranch_scc1 .LBB8_68
; %bb.9:
	scratch_load_dwordx4 v[2:5], v36, off
	v_cmp_eq_u32_e64 s[0:1], 8, v0
	s_waitcnt vmcnt(0)
	ds_write_b128 v9, v[2:5]
	s_waitcnt lgkmcnt(0)
	; wave barrier
	s_waitcnt lgkmcnt(0)
	s_and_saveexec_b64 s[2:3], s[0:1]
	s_cbranch_execz .LBB8_13
; %bb.10:
	ds_read_b128 v[2:5], v9
	s_andn2_b64 vcc, exec, s[6:7]
	s_cbranch_vccnz .LBB8_12
; %bb.11:
	scratch_load_dwordx4 v[10:13], v8, off
	s_waitcnt vmcnt(0) lgkmcnt(0)
	v_mul_f64 v[6:7], v[4:5], v[12:13]
	v_mul_f64 v[12:13], v[2:3], v[12:13]
	v_fmac_f64_e32 v[12:13], v[4:5], v[10:11]
	v_fma_f64 v[2:3], v[2:3], v[10:11], -v[6:7]
	v_mov_b64_e32 v[4:5], v[12:13]
.LBB8_12:
	v_mov_b32_e32 v6, 0
	ds_read_b128 v[10:13], v6 offset:112
	s_waitcnt lgkmcnt(0)
	v_mul_f64 v[6:7], v[4:5], v[12:13]
	v_mul_f64 v[42:43], v[2:3], v[12:13]
	v_fma_f64 v[40:41], v[2:3], v[10:11], -v[6:7]
	v_fmac_f64_e32 v[42:43], v[4:5], v[10:11]
	scratch_store_dwordx4 off, v[40:43], off offset:112
.LBB8_13:
	s_or_b64 exec, exec, s[2:3]
	scratch_load_dwordx4 v[2:5], v39, off
	v_cmp_lt_u32_e64 s[2:3], 6, v0
	s_waitcnt vmcnt(0)
	ds_write_b128 v9, v[2:5]
	s_waitcnt lgkmcnt(0)
	; wave barrier
	s_waitcnt lgkmcnt(0)
	s_and_saveexec_b64 s[4:5], s[2:3]
	s_cbranch_execz .LBB8_19
; %bb.14:
	ds_read_b128 v[2:5], v9
	s_andn2_b64 vcc, exec, s[6:7]
	s_cbranch_vccnz .LBB8_16
; %bb.15:
	scratch_load_dwordx4 v[10:13], v8, off
	s_waitcnt vmcnt(0) lgkmcnt(0)
	v_mul_f64 v[6:7], v[4:5], v[12:13]
	v_mul_f64 v[12:13], v[2:3], v[12:13]
	v_fmac_f64_e32 v[12:13], v[4:5], v[10:11]
	v_fma_f64 v[2:3], v[2:3], v[10:11], -v[6:7]
	v_mov_b64_e32 v[4:5], v[12:13]
.LBB8_16:
	s_and_saveexec_b64 s[8:9], s[0:1]
	s_cbranch_execz .LBB8_18
; %bb.17:
	scratch_load_dwordx4 v[10:13], off, off offset:112
	v_mov_b32_e32 v6, 0
	ds_read_b128 v[40:43], v6 offset:256
	s_waitcnt vmcnt(0) lgkmcnt(0)
	v_mul_f64 v[6:7], v[40:41], v[12:13]
	v_mul_f64 v[12:13], v[42:43], v[12:13]
	v_fmac_f64_e32 v[6:7], v[42:43], v[10:11]
	v_fma_f64 v[10:11], v[40:41], v[10:11], -v[12:13]
	v_add_f64 v[4:5], v[4:5], v[6:7]
	v_add_f64 v[2:3], v[2:3], v[10:11]
.LBB8_18:
	s_or_b64 exec, exec, s[8:9]
	v_mov_b32_e32 v6, 0
	ds_read_b128 v[10:13], v6 offset:96
	s_waitcnt lgkmcnt(0)
	v_mul_f64 v[6:7], v[4:5], v[12:13]
	v_mul_f64 v[42:43], v[2:3], v[12:13]
	v_fma_f64 v[40:41], v[2:3], v[10:11], -v[6:7]
	v_fmac_f64_e32 v[42:43], v[4:5], v[10:11]
	scratch_store_dwordx4 off, v[40:43], off offset:96
.LBB8_19:
	s_or_b64 exec, exec, s[4:5]
	scratch_load_dwordx4 v[2:5], v35, off
	v_cmp_lt_u32_e64 s[0:1], 5, v0
	s_waitcnt vmcnt(0)
	ds_write_b128 v9, v[2:5]
	s_waitcnt lgkmcnt(0)
	; wave barrier
	s_waitcnt lgkmcnt(0)
	s_and_saveexec_b64 s[4:5], s[0:1]
	s_cbranch_execz .LBB8_27
; %bb.20:
	ds_read_b128 v[2:5], v9
	s_andn2_b64 vcc, exec, s[6:7]
	s_cbranch_vccnz .LBB8_22
; %bb.21:
	scratch_load_dwordx4 v[10:13], v8, off
	s_waitcnt vmcnt(0) lgkmcnt(0)
	v_mul_f64 v[6:7], v[4:5], v[12:13]
	v_mul_f64 v[12:13], v[2:3], v[12:13]
	v_fmac_f64_e32 v[12:13], v[4:5], v[10:11]
	v_fma_f64 v[2:3], v[2:3], v[10:11], -v[6:7]
	v_mov_b64_e32 v[4:5], v[12:13]
.LBB8_22:
	s_and_saveexec_b64 s[8:9], s[2:3]
	s_cbranch_execz .LBB8_26
; %bb.23:
	v_mov_b32_e32 v7, 0
	v_add_u32_e32 v6, -6, v0
	v_add_u32_e32 v7, 0x68, v7
	s_movk_i32 s10, 0xf0
	s_mov_b64 s[2:3], 0
.LBB8_24:                               ; =>This Inner Loop Header: Depth=1
	v_add_u32_e32 v10, -8, v7
	scratch_load_dwordx4 v[10:13], v10, off
	v_mov_b32_e32 v40, s10
	ds_read_b128 v[40:43], v40
	v_add_u32_e32 v6, -1, v6
	s_add_i32 s10, s10, 16
	v_cmp_eq_u32_e32 vcc, 0, v6
	v_add_u32_e32 v7, 16, v7
	s_or_b64 s[2:3], vcc, s[2:3]
	s_waitcnt vmcnt(0) lgkmcnt(0)
	v_mul_f64 v[44:45], v[42:43], v[12:13]
	v_mul_f64 v[12:13], v[40:41], v[12:13]
	v_fma_f64 v[40:41], v[40:41], v[10:11], -v[44:45]
	v_fmac_f64_e32 v[12:13], v[42:43], v[10:11]
	v_add_f64 v[2:3], v[2:3], v[40:41]
	v_add_f64 v[4:5], v[4:5], v[12:13]
	s_andn2_b64 exec, exec, s[2:3]
	s_cbranch_execnz .LBB8_24
; %bb.25:
	s_or_b64 exec, exec, s[2:3]
.LBB8_26:
	s_or_b64 exec, exec, s[8:9]
	v_mov_b32_e32 v6, 0
	ds_read_b128 v[10:13], v6 offset:80
	s_waitcnt lgkmcnt(0)
	v_mul_f64 v[6:7], v[4:5], v[12:13]
	v_mul_f64 v[42:43], v[2:3], v[12:13]
	v_fma_f64 v[40:41], v[2:3], v[10:11], -v[6:7]
	v_fmac_f64_e32 v[42:43], v[4:5], v[10:11]
	scratch_store_dwordx4 off, v[40:43], off offset:80
.LBB8_27:
	s_or_b64 exec, exec, s[4:5]
	scratch_load_dwordx4 v[2:5], v37, off
	v_cmp_lt_u32_e64 s[2:3], 4, v0
	s_waitcnt vmcnt(0)
	ds_write_b128 v9, v[2:5]
	s_waitcnt lgkmcnt(0)
	; wave barrier
	s_waitcnt lgkmcnt(0)
	s_and_saveexec_b64 s[4:5], s[2:3]
	s_cbranch_execz .LBB8_35
; %bb.28:
	ds_read_b128 v[2:5], v9
	s_andn2_b64 vcc, exec, s[6:7]
	s_cbranch_vccnz .LBB8_30
; %bb.29:
	scratch_load_dwordx4 v[10:13], v8, off
	s_waitcnt vmcnt(0) lgkmcnt(0)
	v_mul_f64 v[6:7], v[4:5], v[12:13]
	v_mul_f64 v[12:13], v[2:3], v[12:13]
	v_fmac_f64_e32 v[12:13], v[4:5], v[10:11]
	v_fma_f64 v[2:3], v[2:3], v[10:11], -v[6:7]
	v_mov_b64_e32 v[4:5], v[12:13]
.LBB8_30:
	s_and_saveexec_b64 s[8:9], s[0:1]
	s_cbranch_execz .LBB8_34
; %bb.31:
	v_mov_b32_e32 v7, 0
	v_add_u32_e32 v6, -5, v0
	v_add_u32_e32 v7, 0x58, v7
	s_movk_i32 s10, 0xe0
	s_mov_b64 s[0:1], 0
.LBB8_32:                               ; =>This Inner Loop Header: Depth=1
	v_add_u32_e32 v10, -8, v7
	scratch_load_dwordx4 v[10:13], v10, off
	v_mov_b32_e32 v40, s10
	ds_read_b128 v[40:43], v40
	v_add_u32_e32 v6, -1, v6
	s_add_i32 s10, s10, 16
	v_cmp_eq_u32_e32 vcc, 0, v6
	v_add_u32_e32 v7, 16, v7
	s_or_b64 s[0:1], vcc, s[0:1]
	s_waitcnt vmcnt(0) lgkmcnt(0)
	v_mul_f64 v[44:45], v[42:43], v[12:13]
	v_mul_f64 v[12:13], v[40:41], v[12:13]
	v_fma_f64 v[40:41], v[40:41], v[10:11], -v[44:45]
	v_fmac_f64_e32 v[12:13], v[42:43], v[10:11]
	v_add_f64 v[2:3], v[2:3], v[40:41]
	v_add_f64 v[4:5], v[4:5], v[12:13]
	s_andn2_b64 exec, exec, s[0:1]
	s_cbranch_execnz .LBB8_32
; %bb.33:
	s_or_b64 exec, exec, s[0:1]
.LBB8_34:
	s_or_b64 exec, exec, s[8:9]
	v_mov_b32_e32 v6, 0
	ds_read_b128 v[10:13], v6 offset:64
	s_waitcnt lgkmcnt(0)
	v_mul_f64 v[6:7], v[4:5], v[12:13]
	v_mul_f64 v[42:43], v[2:3], v[12:13]
	v_fma_f64 v[40:41], v[2:3], v[10:11], -v[6:7]
	v_fmac_f64_e32 v[42:43], v[4:5], v[10:11]
	scratch_store_dwordx4 off, v[40:43], off offset:64
.LBB8_35:
	;; [unrolled: 63-line block ×5, first 2 shown]
	s_or_b64 exec, exec, s[4:5]
	scratch_load_dwordx4 v[2:5], off, off
	v_cmp_ne_u32_e32 vcc, 0, v0
	s_mov_b64 s[2:3], 0
	s_mov_b64 s[4:5], 0
                                        ; implicit-def: $vgpr6_vgpr7
                                        ; implicit-def: $vgpr10
	s_waitcnt vmcnt(0)
	ds_write_b128 v9, v[2:5]
	s_waitcnt lgkmcnt(0)
	; wave barrier
	s_waitcnt lgkmcnt(0)
	s_and_saveexec_b64 s[8:9], vcc
	s_cbranch_execz .LBB8_67
; %bb.60:
	ds_read_b128 v[2:5], v9
	s_andn2_b64 vcc, exec, s[6:7]
	s_cbranch_vccnz .LBB8_62
; %bb.61:
	scratch_load_dwordx4 v[10:13], v8, off
	s_waitcnt vmcnt(0) lgkmcnt(0)
	v_mul_f64 v[6:7], v[4:5], v[12:13]
	v_mul_f64 v[12:13], v[2:3], v[12:13]
	v_fmac_f64_e32 v[12:13], v[4:5], v[10:11]
	v_fma_f64 v[2:3], v[2:3], v[10:11], -v[6:7]
	v_mov_b64_e32 v[4:5], v[12:13]
.LBB8_62:
	s_and_saveexec_b64 s[4:5], s[0:1]
	s_cbranch_execz .LBB8_66
; %bb.63:
	v_mov_b32_e32 v7, 0
	v_add_u32_e32 v6, -1, v0
	v_add_u32_e32 v7, 24, v7
	s_movk_i32 s10, 0xa0
	s_mov_b64 s[0:1], 0
.LBB8_64:                               ; =>This Inner Loop Header: Depth=1
	v_add_u32_e32 v10, -8, v7
	scratch_load_dwordx4 v[10:13], v10, off
	v_mov_b32_e32 v40, s10
	ds_read_b128 v[40:43], v40
	v_add_u32_e32 v6, -1, v6
	s_add_i32 s10, s10, 16
	v_cmp_eq_u32_e32 vcc, 0, v6
	v_add_u32_e32 v7, 16, v7
	s_or_b64 s[0:1], vcc, s[0:1]
	s_waitcnt vmcnt(0) lgkmcnt(0)
	v_mul_f64 v[44:45], v[42:43], v[12:13]
	v_mul_f64 v[12:13], v[40:41], v[12:13]
	v_fma_f64 v[40:41], v[40:41], v[10:11], -v[44:45]
	v_fmac_f64_e32 v[12:13], v[42:43], v[10:11]
	v_add_f64 v[2:3], v[2:3], v[40:41]
	v_add_f64 v[4:5], v[4:5], v[12:13]
	s_andn2_b64 exec, exec, s[0:1]
	s_cbranch_execnz .LBB8_64
; %bb.65:
	s_or_b64 exec, exec, s[0:1]
.LBB8_66:
	s_or_b64 exec, exec, s[4:5]
	v_mov_b32_e32 v6, 0
	ds_read_b128 v[40:43], v6
	v_mov_b32_e32 v6, 0
	v_or_b32_e32 v10, 8, v6
	s_mov_b64 s[4:5], exec
	s_waitcnt lgkmcnt(0)
	v_mul_f64 v[12:13], v[4:5], v[42:43]
	v_mul_f64 v[6:7], v[2:3], v[42:43]
	v_fma_f64 v[2:3], v[2:3], v[40:41], -v[12:13]
	v_fmac_f64_e32 v[6:7], v[4:5], v[40:41]
	scratch_store_dwordx2 off, v[2:3], off
.LBB8_67:
	s_or_b64 exec, exec, s[8:9]
	s_and_b64 vcc, exec, s[2:3]
	s_cbranch_vccnz .LBB8_69
	s_branch .LBB8_128
.LBB8_68:
	s_mov_b64 s[4:5], 0
                                        ; implicit-def: $vgpr6_vgpr7
                                        ; implicit-def: $vgpr10
	s_cbranch_execz .LBB8_128
.LBB8_69:
	scratch_load_dwordx4 v[2:5], v34, off
	v_cndmask_b32_e64 v6, 0, 1, s[6:7]
	v_cmp_eq_u32_e64 s[2:3], 0, v0
	v_cmp_ne_u32_e64 s[0:1], 1, v6
	s_waitcnt vmcnt(0)
	ds_write_b128 v9, v[2:5]
	s_waitcnt lgkmcnt(0)
	; wave barrier
	s_waitcnt lgkmcnt(0)
	s_and_saveexec_b64 s[6:7], s[2:3]
	s_cbranch_execz .LBB8_73
; %bb.70:
	ds_read_b128 v[2:5], v9
	s_and_b64 vcc, exec, s[0:1]
	s_cbranch_vccnz .LBB8_72
; %bb.71:
	scratch_load_dwordx4 v[10:13], v8, off
	s_waitcnt vmcnt(0) lgkmcnt(0)
	v_mul_f64 v[6:7], v[4:5], v[12:13]
	v_mul_f64 v[12:13], v[2:3], v[12:13]
	v_fmac_f64_e32 v[12:13], v[4:5], v[10:11]
	v_fma_f64 v[2:3], v[2:3], v[10:11], -v[6:7]
	v_mov_b64_e32 v[4:5], v[12:13]
.LBB8_72:
	v_mov_b32_e32 v6, 0
	ds_read_b128 v[10:13], v6 offset:16
	s_waitcnt lgkmcnt(0)
	v_mul_f64 v[6:7], v[4:5], v[12:13]
	v_mul_f64 v[42:43], v[2:3], v[12:13]
	v_fma_f64 v[40:41], v[2:3], v[10:11], -v[6:7]
	v_fmac_f64_e32 v[42:43], v[4:5], v[10:11]
	scratch_store_dwordx4 off, v[40:43], off offset:16
.LBB8_73:
	s_or_b64 exec, exec, s[6:7]
	scratch_load_dwordx4 v[2:5], v1, off
	v_cmp_gt_u32_e32 vcc, 2, v0
	s_waitcnt vmcnt(0)
	ds_write_b128 v9, v[2:5]
	s_waitcnt lgkmcnt(0)
	; wave barrier
	s_waitcnt lgkmcnt(0)
	s_and_saveexec_b64 s[6:7], vcc
	s_cbranch_execz .LBB8_79
; %bb.74:
	ds_read_b128 v[2:5], v9
	s_and_b64 vcc, exec, s[0:1]
	s_cbranch_vccnz .LBB8_76
; %bb.75:
	scratch_load_dwordx4 v[10:13], v8, off
	s_waitcnt vmcnt(0) lgkmcnt(0)
	v_mul_f64 v[6:7], v[4:5], v[12:13]
	v_mul_f64 v[12:13], v[2:3], v[12:13]
	v_fmac_f64_e32 v[12:13], v[4:5], v[10:11]
	v_fma_f64 v[2:3], v[2:3], v[10:11], -v[6:7]
	v_mov_b64_e32 v[4:5], v[12:13]
.LBB8_76:
	s_and_saveexec_b64 s[8:9], s[2:3]
	s_cbranch_execz .LBB8_78
; %bb.77:
	scratch_load_dwordx4 v[10:13], v8, off offset:16
	ds_read_b128 v[40:43], v9 offset:16
	s_waitcnt vmcnt(0) lgkmcnt(0)
	v_mul_f64 v[6:7], v[42:43], v[12:13]
	v_mul_f64 v[12:13], v[40:41], v[12:13]
	v_fma_f64 v[6:7], v[40:41], v[10:11], -v[6:7]
	v_fmac_f64_e32 v[12:13], v[42:43], v[10:11]
	v_add_f64 v[2:3], v[2:3], v[6:7]
	v_add_f64 v[4:5], v[4:5], v[12:13]
.LBB8_78:
	s_or_b64 exec, exec, s[8:9]
	v_mov_b32_e32 v6, 0
	ds_read_b128 v[10:13], v6 offset:32
	s_waitcnt lgkmcnt(0)
	v_mul_f64 v[6:7], v[4:5], v[12:13]
	v_mul_f64 v[42:43], v[2:3], v[12:13]
	v_fma_f64 v[40:41], v[2:3], v[10:11], -v[6:7]
	v_fmac_f64_e32 v[42:43], v[4:5], v[10:11]
	scratch_store_dwordx4 off, v[40:43], off offset:32
.LBB8_79:
	s_or_b64 exec, exec, s[6:7]
	scratch_load_dwordx4 v[2:5], v33, off
	v_cmp_gt_u32_e32 vcc, 3, v0
	s_waitcnt vmcnt(0)
	ds_write_b128 v9, v[2:5]
	s_waitcnt lgkmcnt(0)
	; wave barrier
	s_waitcnt lgkmcnt(0)
	s_and_saveexec_b64 s[6:7], vcc
	s_cbranch_execz .LBB8_87
; %bb.80:
	ds_read_b128 v[2:5], v9
	s_and_b64 vcc, exec, s[0:1]
	s_cbranch_vccnz .LBB8_82
; %bb.81:
	scratch_load_dwordx4 v[10:13], v8, off
	s_waitcnt vmcnt(0) lgkmcnt(0)
	v_mul_f64 v[6:7], v[4:5], v[12:13]
	v_mul_f64 v[12:13], v[2:3], v[12:13]
	v_fmac_f64_e32 v[12:13], v[4:5], v[10:11]
	v_fma_f64 v[2:3], v[2:3], v[10:11], -v[6:7]
	v_mov_b64_e32 v[4:5], v[12:13]
.LBB8_82:
	v_cmp_ne_u32_e32 vcc, 2, v0
	s_and_saveexec_b64 s[8:9], vcc
	s_cbranch_execz .LBB8_86
; %bb.83:
	scratch_load_dwordx4 v[10:13], v8, off offset:16
	ds_read_b128 v[40:43], v9 offset:16
	s_waitcnt vmcnt(0) lgkmcnt(0)
	v_mul_f64 v[6:7], v[42:43], v[12:13]
	v_mul_f64 v[12:13], v[40:41], v[12:13]
	v_fma_f64 v[6:7], v[40:41], v[10:11], -v[6:7]
	v_fmac_f64_e32 v[12:13], v[42:43], v[10:11]
	v_add_f64 v[2:3], v[2:3], v[6:7]
	v_add_f64 v[4:5], v[4:5], v[12:13]
	s_and_saveexec_b64 s[10:11], s[2:3]
	s_cbranch_execz .LBB8_85
; %bb.84:
	scratch_load_dwordx4 v[10:13], off, off offset:32
	v_mov_b32_e32 v6, 0
	ds_read_b128 v[40:43], v6 offset:176
	s_waitcnt vmcnt(0) lgkmcnt(0)
	v_mul_f64 v[6:7], v[40:41], v[12:13]
	v_mul_f64 v[12:13], v[42:43], v[12:13]
	v_fmac_f64_e32 v[6:7], v[42:43], v[10:11]
	v_fma_f64 v[10:11], v[40:41], v[10:11], -v[12:13]
	v_add_f64 v[4:5], v[4:5], v[6:7]
	v_add_f64 v[2:3], v[2:3], v[10:11]
.LBB8_85:
	s_or_b64 exec, exec, s[10:11]
.LBB8_86:
	s_or_b64 exec, exec, s[8:9]
	v_mov_b32_e32 v6, 0
	ds_read_b128 v[10:13], v6 offset:48
	s_waitcnt lgkmcnt(0)
	v_mul_f64 v[6:7], v[4:5], v[12:13]
	v_mul_f64 v[42:43], v[2:3], v[12:13]
	v_fma_f64 v[40:41], v[2:3], v[10:11], -v[6:7]
	v_fmac_f64_e32 v[42:43], v[4:5], v[10:11]
	scratch_store_dwordx4 off, v[40:43], off offset:48
.LBB8_87:
	s_or_b64 exec, exec, s[6:7]
	scratch_load_dwordx4 v[2:5], v37, off
	v_cmp_gt_u32_e32 vcc, 4, v0
	s_waitcnt vmcnt(0)
	ds_write_b128 v9, v[2:5]
	s_waitcnt lgkmcnt(0)
	; wave barrier
	s_waitcnt lgkmcnt(0)
	s_and_saveexec_b64 s[2:3], vcc
	s_cbranch_execz .LBB8_95
; %bb.88:
	ds_read_b128 v[2:5], v9
	s_and_b64 vcc, exec, s[0:1]
	s_cbranch_vccnz .LBB8_90
; %bb.89:
	scratch_load_dwordx4 v[10:13], v8, off
	s_waitcnt vmcnt(0) lgkmcnt(0)
	v_mul_f64 v[6:7], v[4:5], v[12:13]
	v_mul_f64 v[12:13], v[2:3], v[12:13]
	v_fmac_f64_e32 v[12:13], v[4:5], v[10:11]
	v_fma_f64 v[2:3], v[2:3], v[10:11], -v[6:7]
	v_mov_b64_e32 v[4:5], v[12:13]
.LBB8_90:
	v_cmp_ne_u32_e32 vcc, 3, v0
	s_and_saveexec_b64 s[6:7], vcc
	s_cbranch_execz .LBB8_94
; %bb.91:
	v_mov_b32_e32 v7, 0
	v_add_u32_e32 v6, 0xa0, v32
	v_add3_u32 v7, v32, v7, 24
	s_mov_b64 s[8:9], 0
	v_mov_b32_e32 v10, v0
.LBB8_92:                               ; =>This Inner Loop Header: Depth=1
	v_add_u32_e32 v11, -8, v7
	scratch_load_dwordx4 v[40:43], v11, off
	ds_read_b128 v[44:47], v6
	v_add_u32_e32 v10, 1, v10
	v_cmp_lt_u32_e32 vcc, 2, v10
	v_add_u32_e32 v6, 16, v6
	v_add_u32_e32 v7, 16, v7
	s_or_b64 s[8:9], vcc, s[8:9]
	s_waitcnt vmcnt(0) lgkmcnt(0)
	v_mul_f64 v[12:13], v[46:47], v[42:43]
	v_mul_f64 v[42:43], v[44:45], v[42:43]
	v_fma_f64 v[12:13], v[44:45], v[40:41], -v[12:13]
	v_fmac_f64_e32 v[42:43], v[46:47], v[40:41]
	v_add_f64 v[2:3], v[2:3], v[12:13]
	v_add_f64 v[4:5], v[4:5], v[42:43]
	s_andn2_b64 exec, exec, s[8:9]
	s_cbranch_execnz .LBB8_92
; %bb.93:
	s_or_b64 exec, exec, s[8:9]
.LBB8_94:
	s_or_b64 exec, exec, s[6:7]
	v_mov_b32_e32 v6, 0
	ds_read_b128 v[10:13], v6 offset:64
	s_waitcnt lgkmcnt(0)
	v_mul_f64 v[6:7], v[4:5], v[12:13]
	v_mul_f64 v[42:43], v[2:3], v[12:13]
	v_fma_f64 v[40:41], v[2:3], v[10:11], -v[6:7]
	v_fmac_f64_e32 v[42:43], v[4:5], v[10:11]
	scratch_store_dwordx4 off, v[40:43], off offset:64
.LBB8_95:
	s_or_b64 exec, exec, s[2:3]
	scratch_load_dwordx4 v[2:5], v35, off
	v_cmp_gt_u32_e32 vcc, 5, v0
	s_waitcnt vmcnt(0)
	ds_write_b128 v9, v[2:5]
	s_waitcnt lgkmcnt(0)
	; wave barrier
	s_waitcnt lgkmcnt(0)
	s_and_saveexec_b64 s[2:3], vcc
	s_cbranch_execz .LBB8_103
; %bb.96:
	ds_read_b128 v[2:5], v9
	s_and_b64 vcc, exec, s[0:1]
	s_cbranch_vccnz .LBB8_98
; %bb.97:
	scratch_load_dwordx4 v[10:13], v8, off
	s_waitcnt vmcnt(0) lgkmcnt(0)
	v_mul_f64 v[6:7], v[4:5], v[12:13]
	v_mul_f64 v[12:13], v[2:3], v[12:13]
	v_fmac_f64_e32 v[12:13], v[4:5], v[10:11]
	v_fma_f64 v[2:3], v[2:3], v[10:11], -v[6:7]
	v_mov_b64_e32 v[4:5], v[12:13]
.LBB8_98:
	v_cmp_ne_u32_e32 vcc, 4, v0
	s_and_saveexec_b64 s[6:7], vcc
	s_cbranch_execz .LBB8_102
; %bb.99:
	v_mov_b32_e32 v7, 0
	v_add_u32_e32 v6, 0xa0, v32
	v_add3_u32 v7, v32, v7, 24
	s_mov_b64 s[8:9], 0
	v_mov_b32_e32 v10, v0
.LBB8_100:                              ; =>This Inner Loop Header: Depth=1
	v_add_u32_e32 v11, -8, v7
	scratch_load_dwordx4 v[40:43], v11, off
	ds_read_b128 v[44:47], v6
	v_add_u32_e32 v10, 1, v10
	v_cmp_lt_u32_e32 vcc, 3, v10
	v_add_u32_e32 v6, 16, v6
	v_add_u32_e32 v7, 16, v7
	s_or_b64 s[8:9], vcc, s[8:9]
	s_waitcnt vmcnt(0) lgkmcnt(0)
	v_mul_f64 v[12:13], v[46:47], v[42:43]
	v_mul_f64 v[42:43], v[44:45], v[42:43]
	v_fma_f64 v[12:13], v[44:45], v[40:41], -v[12:13]
	v_fmac_f64_e32 v[42:43], v[46:47], v[40:41]
	v_add_f64 v[2:3], v[2:3], v[12:13]
	v_add_f64 v[4:5], v[4:5], v[42:43]
	s_andn2_b64 exec, exec, s[8:9]
	s_cbranch_execnz .LBB8_100
; %bb.101:
	s_or_b64 exec, exec, s[8:9]
.LBB8_102:
	s_or_b64 exec, exec, s[6:7]
	v_mov_b32_e32 v6, 0
	ds_read_b128 v[10:13], v6 offset:80
	s_waitcnt lgkmcnt(0)
	v_mul_f64 v[6:7], v[4:5], v[12:13]
	v_mul_f64 v[42:43], v[2:3], v[12:13]
	v_fma_f64 v[40:41], v[2:3], v[10:11], -v[6:7]
	v_fmac_f64_e32 v[42:43], v[4:5], v[10:11]
	scratch_store_dwordx4 off, v[40:43], off offset:80
.LBB8_103:
	s_or_b64 exec, exec, s[2:3]
	scratch_load_dwordx4 v[2:5], v39, off
	v_cmp_gt_u32_e32 vcc, 6, v0
	s_waitcnt vmcnt(0)
	ds_write_b128 v9, v[2:5]
	s_waitcnt lgkmcnt(0)
	; wave barrier
	s_waitcnt lgkmcnt(0)
	s_and_saveexec_b64 s[2:3], vcc
	s_cbranch_execz .LBB8_111
; %bb.104:
	ds_read_b128 v[2:5], v9
	s_and_b64 vcc, exec, s[0:1]
	s_cbranch_vccnz .LBB8_106
; %bb.105:
	scratch_load_dwordx4 v[10:13], v8, off
	s_waitcnt vmcnt(0) lgkmcnt(0)
	v_mul_f64 v[6:7], v[4:5], v[12:13]
	v_mul_f64 v[12:13], v[2:3], v[12:13]
	v_fmac_f64_e32 v[12:13], v[4:5], v[10:11]
	v_fma_f64 v[2:3], v[2:3], v[10:11], -v[6:7]
	v_mov_b64_e32 v[4:5], v[12:13]
.LBB8_106:
	v_cmp_ne_u32_e32 vcc, 5, v0
	s_and_saveexec_b64 s[6:7], vcc
	s_cbranch_execz .LBB8_110
; %bb.107:
	v_mov_b32_e32 v7, 0
	v_add_u32_e32 v6, 0xa0, v32
	v_add3_u32 v7, v32, v7, 24
	s_mov_b64 s[8:9], 0
	v_mov_b32_e32 v10, v0
.LBB8_108:                              ; =>This Inner Loop Header: Depth=1
	v_add_u32_e32 v11, -8, v7
	scratch_load_dwordx4 v[40:43], v11, off
	ds_read_b128 v[44:47], v6
	v_add_u32_e32 v10, 1, v10
	v_cmp_lt_u32_e32 vcc, 4, v10
	v_add_u32_e32 v6, 16, v6
	v_add_u32_e32 v7, 16, v7
	s_or_b64 s[8:9], vcc, s[8:9]
	s_waitcnt vmcnt(0) lgkmcnt(0)
	v_mul_f64 v[12:13], v[46:47], v[42:43]
	v_mul_f64 v[42:43], v[44:45], v[42:43]
	v_fma_f64 v[12:13], v[44:45], v[40:41], -v[12:13]
	v_fmac_f64_e32 v[42:43], v[46:47], v[40:41]
	v_add_f64 v[2:3], v[2:3], v[12:13]
	v_add_f64 v[4:5], v[4:5], v[42:43]
	s_andn2_b64 exec, exec, s[8:9]
	s_cbranch_execnz .LBB8_108
; %bb.109:
	s_or_b64 exec, exec, s[8:9]
.LBB8_110:
	s_or_b64 exec, exec, s[6:7]
	v_mov_b32_e32 v6, 0
	ds_read_b128 v[10:13], v6 offset:96
	s_waitcnt lgkmcnt(0)
	v_mul_f64 v[6:7], v[4:5], v[12:13]
	v_mul_f64 v[42:43], v[2:3], v[12:13]
	v_fma_f64 v[40:41], v[2:3], v[10:11], -v[6:7]
	v_fmac_f64_e32 v[42:43], v[4:5], v[10:11]
	scratch_store_dwordx4 off, v[40:43], off offset:96
.LBB8_111:
	s_or_b64 exec, exec, s[2:3]
	scratch_load_dwordx4 v[2:5], v36, off
	v_cmp_gt_u32_e64 s[2:3], 7, v0
	s_waitcnt vmcnt(0)
	ds_write_b128 v9, v[2:5]
	s_waitcnt lgkmcnt(0)
	; wave barrier
	s_waitcnt lgkmcnt(0)
	s_and_saveexec_b64 s[6:7], s[2:3]
	s_cbranch_execz .LBB8_119
; %bb.112:
	ds_read_b128 v[2:5], v9
	s_and_b64 vcc, exec, s[0:1]
	s_cbranch_vccnz .LBB8_114
; %bb.113:
	scratch_load_dwordx4 v[10:13], v8, off
	s_waitcnt vmcnt(0) lgkmcnt(0)
	v_mul_f64 v[6:7], v[4:5], v[12:13]
	v_mul_f64 v[12:13], v[2:3], v[12:13]
	v_fmac_f64_e32 v[12:13], v[4:5], v[10:11]
	v_fma_f64 v[2:3], v[2:3], v[10:11], -v[6:7]
	v_mov_b64_e32 v[4:5], v[12:13]
.LBB8_114:
	v_cmp_ne_u32_e32 vcc, 6, v0
	s_and_saveexec_b64 s[8:9], vcc
	s_cbranch_execz .LBB8_118
; %bb.115:
	v_mov_b32_e32 v7, 0
	v_add_u32_e32 v6, 0xa0, v32
	v_add3_u32 v7, v32, v7, 24
	s_mov_b64 s[10:11], 0
	v_mov_b32_e32 v10, v0
.LBB8_116:                              ; =>This Inner Loop Header: Depth=1
	v_add_u32_e32 v11, -8, v7
	scratch_load_dwordx4 v[40:43], v11, off
	ds_read_b128 v[44:47], v6
	v_add_u32_e32 v10, 1, v10
	v_cmp_lt_u32_e32 vcc, 5, v10
	v_add_u32_e32 v6, 16, v6
	v_add_u32_e32 v7, 16, v7
	s_or_b64 s[10:11], vcc, s[10:11]
	s_waitcnt vmcnt(0) lgkmcnt(0)
	v_mul_f64 v[12:13], v[46:47], v[42:43]
	v_mul_f64 v[42:43], v[44:45], v[42:43]
	v_fma_f64 v[12:13], v[44:45], v[40:41], -v[12:13]
	v_fmac_f64_e32 v[42:43], v[46:47], v[40:41]
	v_add_f64 v[2:3], v[2:3], v[12:13]
	v_add_f64 v[4:5], v[4:5], v[42:43]
	s_andn2_b64 exec, exec, s[10:11]
	s_cbranch_execnz .LBB8_116
; %bb.117:
	s_or_b64 exec, exec, s[10:11]
.LBB8_118:
	s_or_b64 exec, exec, s[8:9]
	v_mov_b32_e32 v6, 0
	ds_read_b128 v[10:13], v6 offset:112
	s_waitcnt lgkmcnt(0)
	v_mul_f64 v[6:7], v[4:5], v[12:13]
	v_mul_f64 v[42:43], v[2:3], v[12:13]
	v_fma_f64 v[40:41], v[2:3], v[10:11], -v[6:7]
	v_fmac_f64_e32 v[42:43], v[4:5], v[10:11]
	scratch_store_dwordx4 off, v[40:43], off offset:112
.LBB8_119:
	s_or_b64 exec, exec, s[6:7]
	scratch_load_dwordx4 v[2:5], v38, off
	v_cmp_ne_u32_e32 vcc, 8, v0
                                        ; implicit-def: $vgpr6_vgpr7
                                        ; implicit-def: $vgpr10
	s_waitcnt vmcnt(0)
	ds_write_b128 v9, v[2:5]
	s_waitcnt lgkmcnt(0)
	; wave barrier
	s_waitcnt lgkmcnt(0)
	s_and_saveexec_b64 s[6:7], vcc
	s_cbranch_execz .LBB8_127
; %bb.120:
	ds_read_b128 v[2:5], v9
	s_and_b64 vcc, exec, s[0:1]
	s_cbranch_vccnz .LBB8_122
; %bb.121:
	scratch_load_dwordx4 v[6:9], v8, off
	s_waitcnt vmcnt(0) lgkmcnt(0)
	v_mul_f64 v[10:11], v[4:5], v[8:9]
	v_mul_f64 v[8:9], v[2:3], v[8:9]
	v_fmac_f64_e32 v[8:9], v[4:5], v[6:7]
	v_fma_f64 v[2:3], v[2:3], v[6:7], -v[10:11]
	v_mov_b64_e32 v[4:5], v[8:9]
.LBB8_122:
	s_and_saveexec_b64 s[0:1], s[2:3]
	s_cbranch_execz .LBB8_126
; %bb.123:
	v_mov_b32_e32 v7, 0
	v_add_u32_e32 v6, 0xa0, v32
	v_add3_u32 v7, v32, v7, 24
	s_mov_b64 s[2:3], 0
.LBB8_124:                              ; =>This Inner Loop Header: Depth=1
	v_add_u32_e32 v8, -8, v7
	scratch_load_dwordx4 v[8:11], v8, off
	ds_read_b128 v[40:43], v6
	v_add_u32_e32 v0, 1, v0
	v_cmp_lt_u32_e32 vcc, 6, v0
	v_add_u32_e32 v6, 16, v6
	v_add_u32_e32 v7, 16, v7
	s_or_b64 s[2:3], vcc, s[2:3]
	s_waitcnt vmcnt(0) lgkmcnt(0)
	v_mul_f64 v[12:13], v[42:43], v[10:11]
	v_mul_f64 v[10:11], v[40:41], v[10:11]
	v_fma_f64 v[12:13], v[40:41], v[8:9], -v[12:13]
	v_fmac_f64_e32 v[10:11], v[42:43], v[8:9]
	v_add_f64 v[2:3], v[2:3], v[12:13]
	v_add_f64 v[4:5], v[4:5], v[10:11]
	s_andn2_b64 exec, exec, s[2:3]
	s_cbranch_execnz .LBB8_124
; %bb.125:
	s_or_b64 exec, exec, s[2:3]
.LBB8_126:
	s_or_b64 exec, exec, s[0:1]
	v_mov_b32_e32 v0, 0
	ds_read_b128 v[40:43], v0 offset:128
	v_mov_b32_e32 v0, 0
	v_add_u32_e32 v10, 0x88, v0
	s_or_b64 s[4:5], s[4:5], exec
	s_waitcnt lgkmcnt(0)
	v_mul_f64 v[8:9], v[4:5], v[42:43]
	v_mul_f64 v[6:7], v[2:3], v[42:43]
	v_fma_f64 v[2:3], v[2:3], v[40:41], -v[8:9]
	v_fmac_f64_e32 v[6:7], v[4:5], v[40:41]
	scratch_store_dwordx2 off, v[2:3], off offset:128
.LBB8_127:
	s_or_b64 exec, exec, s[6:7]
.LBB8_128:
	s_and_saveexec_b64 s[0:1], s[4:5]
	s_cbranch_execz .LBB8_130
; %bb.129:
	scratch_store_dwordx2 v10, v[6:7], off
.LBB8_130:
	s_or_b64 exec, exec, s[0:1]
	scratch_load_dwordx4 v[2:5], off, off
	scratch_load_dwordx4 v[6:9], v34, off
	scratch_load_dwordx4 v[10:13], v1, off
	;; [unrolled: 1-line block ×8, first 2 shown]
	s_waitcnt vmcnt(8)
	global_store_dwordx4 v[14:15], v[2:5], off
	s_waitcnt vmcnt(8)
	global_store_dwordx4 v[16:17], v[6:9], off
	;; [unrolled: 2-line block ×9, first 2 shown]
.LBB8_131:
	s_endpgm
	.section	.rodata,"a",@progbits
	.p2align	6, 0x0
	.amdhsa_kernel _ZN9rocsolver6v33100L18trti2_kernel_smallILi9E19rocblas_complex_numIdEPS3_EEv13rocblas_fill_17rocblas_diagonal_T1_iil
		.amdhsa_group_segment_fixed_size 288
		.amdhsa_private_segment_fixed_size 160
		.amdhsa_kernarg_size 32
		.amdhsa_user_sgpr_count 2
		.amdhsa_user_sgpr_dispatch_ptr 0
		.amdhsa_user_sgpr_queue_ptr 0
		.amdhsa_user_sgpr_kernarg_segment_ptr 1
		.amdhsa_user_sgpr_dispatch_id 0
		.amdhsa_user_sgpr_kernarg_preload_length 0
		.amdhsa_user_sgpr_kernarg_preload_offset 0
		.amdhsa_user_sgpr_private_segment_size 0
		.amdhsa_uses_dynamic_stack 0
		.amdhsa_enable_private_segment 1
		.amdhsa_system_sgpr_workgroup_id_x 1
		.amdhsa_system_sgpr_workgroup_id_y 0
		.amdhsa_system_sgpr_workgroup_id_z 0
		.amdhsa_system_sgpr_workgroup_info 0
		.amdhsa_system_vgpr_workitem_id 0
		.amdhsa_next_free_vgpr 64
		.amdhsa_next_free_sgpr 12
		.amdhsa_accum_offset 64
		.amdhsa_reserve_vcc 1
		.amdhsa_float_round_mode_32 0
		.amdhsa_float_round_mode_16_64 0
		.amdhsa_float_denorm_mode_32 3
		.amdhsa_float_denorm_mode_16_64 3
		.amdhsa_dx10_clamp 1
		.amdhsa_ieee_mode 1
		.amdhsa_fp16_overflow 0
		.amdhsa_tg_split 0
		.amdhsa_exception_fp_ieee_invalid_op 0
		.amdhsa_exception_fp_denorm_src 0
		.amdhsa_exception_fp_ieee_div_zero 0
		.amdhsa_exception_fp_ieee_overflow 0
		.amdhsa_exception_fp_ieee_underflow 0
		.amdhsa_exception_fp_ieee_inexact 0
		.amdhsa_exception_int_div_zero 0
	.end_amdhsa_kernel
	.section	.text._ZN9rocsolver6v33100L18trti2_kernel_smallILi9E19rocblas_complex_numIdEPS3_EEv13rocblas_fill_17rocblas_diagonal_T1_iil,"axG",@progbits,_ZN9rocsolver6v33100L18trti2_kernel_smallILi9E19rocblas_complex_numIdEPS3_EEv13rocblas_fill_17rocblas_diagonal_T1_iil,comdat
.Lfunc_end8:
	.size	_ZN9rocsolver6v33100L18trti2_kernel_smallILi9E19rocblas_complex_numIdEPS3_EEv13rocblas_fill_17rocblas_diagonal_T1_iil, .Lfunc_end8-_ZN9rocsolver6v33100L18trti2_kernel_smallILi9E19rocblas_complex_numIdEPS3_EEv13rocblas_fill_17rocblas_diagonal_T1_iil
                                        ; -- End function
	.section	.AMDGPU.csdata,"",@progbits
; Kernel info:
; codeLenInByte = 5680
; NumSgprs: 18
; NumVgprs: 64
; NumAgprs: 0
; TotalNumVgprs: 64
; ScratchSize: 160
; MemoryBound: 0
; FloatMode: 240
; IeeeMode: 1
; LDSByteSize: 288 bytes/workgroup (compile time only)
; SGPRBlocks: 2
; VGPRBlocks: 7
; NumSGPRsForWavesPerEU: 18
; NumVGPRsForWavesPerEU: 64
; AccumOffset: 64
; Occupancy: 8
; WaveLimiterHint : 0
; COMPUTE_PGM_RSRC2:SCRATCH_EN: 1
; COMPUTE_PGM_RSRC2:USER_SGPR: 2
; COMPUTE_PGM_RSRC2:TRAP_HANDLER: 0
; COMPUTE_PGM_RSRC2:TGID_X_EN: 1
; COMPUTE_PGM_RSRC2:TGID_Y_EN: 0
; COMPUTE_PGM_RSRC2:TGID_Z_EN: 0
; COMPUTE_PGM_RSRC2:TIDIG_COMP_CNT: 0
; COMPUTE_PGM_RSRC3_GFX90A:ACCUM_OFFSET: 15
; COMPUTE_PGM_RSRC3_GFX90A:TG_SPLIT: 0
	.section	.text._ZN9rocsolver6v33100L18trti2_kernel_smallILi10E19rocblas_complex_numIdEPS3_EEv13rocblas_fill_17rocblas_diagonal_T1_iil,"axG",@progbits,_ZN9rocsolver6v33100L18trti2_kernel_smallILi10E19rocblas_complex_numIdEPS3_EEv13rocblas_fill_17rocblas_diagonal_T1_iil,comdat
	.globl	_ZN9rocsolver6v33100L18trti2_kernel_smallILi10E19rocblas_complex_numIdEPS3_EEv13rocblas_fill_17rocblas_diagonal_T1_iil ; -- Begin function _ZN9rocsolver6v33100L18trti2_kernel_smallILi10E19rocblas_complex_numIdEPS3_EEv13rocblas_fill_17rocblas_diagonal_T1_iil
	.p2align	8
	.type	_ZN9rocsolver6v33100L18trti2_kernel_smallILi10E19rocblas_complex_numIdEPS3_EEv13rocblas_fill_17rocblas_diagonal_T1_iil,@function
_ZN9rocsolver6v33100L18trti2_kernel_smallILi10E19rocblas_complex_numIdEPS3_EEv13rocblas_fill_17rocblas_diagonal_T1_iil: ; @_ZN9rocsolver6v33100L18trti2_kernel_smallILi10E19rocblas_complex_numIdEPS3_EEv13rocblas_fill_17rocblas_diagonal_T1_iil
; %bb.0:
	v_cmp_gt_u32_e32 vcc, 10, v0
	s_and_saveexec_b64 s[4:5], vcc
	s_cbranch_execz .LBB9_147
; %bb.1:
	s_load_dwordx8 s[4:11], s[0:1], 0x0
	s_ashr_i32 s3, s2, 31
	v_lshlrev_b32_e32 v34, 4, v0
	v_mov_b32_e32 v35, 0
	v_mov_b32_e32 v1, 0
	s_waitcnt lgkmcnt(0)
	s_ashr_i32 s1, s8, 31
	s_mov_b32 s0, s8
	s_mul_i32 s8, s2, s11
	s_mul_hi_u32 s11, s2, s10
	s_add_i32 s8, s11, s8
	s_mul_i32 s3, s3, s10
	s_add_i32 s3, s8, s3
	s_mul_i32 s2, s2, s10
	s_lshl_b64 s[2:3], s[2:3], 4
	s_add_u32 s2, s6, s2
	s_addc_u32 s3, s7, s3
	s_lshl_b64 s[0:1], s[0:1], 4
	s_add_u32 s0, s2, s0
	s_addc_u32 s1, s3, s1
	global_load_dwordx4 v[2:5], v34, s[0:1]
	s_add_i32 s6, s9, s9
	v_add_u32_e32 v6, s6, v0
	v_add_u32_e32 v20, s9, v6
	v_add_u32_e32 v22, s9, v20
	v_add_u32_e32 v24, s9, v22
	v_add_u32_e32 v26, s9, v24
	v_add_u32_e32 v28, s9, v26
	v_add_u32_e32 v30, s9, v28
	s_mov_b32 s2, s9
	s_ashr_i32 s3, s9, 31
	v_lshl_add_u64 v[14:15], s[0:1], 0, v[34:35]
	v_ashrrev_i32_e32 v21, 31, v20
	v_ashrrev_i32_e32 v25, 31, v24
	v_add_u32_e32 v32, s9, v30
	v_lshl_add_u64 v[16:17], s[2:3], 4, v[14:15]
	v_ashrrev_i32_e32 v7, 31, v6
	v_lshl_add_u64 v[20:21], v[20:21], 4, s[0:1]
	v_ashrrev_i32_e32 v23, 31, v22
	;; [unrolled: 2-line block ×3, first 2 shown]
	v_ashrrev_i32_e32 v29, 31, v28
	v_ashrrev_i32_e32 v33, 31, v32
	v_lshl_add_u64 v[18:19], v[6:7], 4, s[0:1]
	global_load_dwordx4 v[6:9], v[16:17], off
	global_load_dwordx4 v[10:13], v[18:19], off
	v_lshl_add_u64 v[22:23], v[22:23], 4, s[0:1]
	global_load_dwordx4 v[36:39], v[20:21], off
	global_load_dwordx4 v[40:43], v[22:23], off
	;; [unrolled: 3-line block ×3, first 2 shown]
	v_lshl_add_u64 v[28:29], v[28:29], 4, s[0:1]
	v_ashrrev_i32_e32 v31, 31, v30
	v_lshl_add_u64 v[32:33], v[32:33], 4, s[0:1]
	v_lshl_add_u64 v[30:31], v[30:31], 4, s[0:1]
	global_load_dwordx4 v[52:55], v[32:33], off
	s_cmpk_lg_i32 s5, 0x84
	s_cselect_b64 s[6:7], -1, 0
	s_cmpk_eq_i32 s5, 0x84
	s_waitcnt vmcnt(7)
	scratch_store_dwordx4 off, v[2:5], off
	global_load_dwordx4 v[2:5], v[28:29], off
	s_nop 0
	global_load_dwordx4 v[56:59], v[30:31], off
	s_waitcnt vmcnt(9)
	scratch_store_dwordx4 off, v[6:9], off offset:16
	s_waitcnt vmcnt(9)
	scratch_store_dwordx4 off, v[10:13], off offset:32
	;; [unrolled: 2-line block ×8, first 2 shown]
	scratch_store_dwordx4 off, v[52:55], off offset:144
	s_cbranch_scc1 .LBB9_7
; %bb.2:
	scratch_load_dwordx4 v[2:5], v34, off
                                        ; implicit-def: $vgpr10_vgpr11
	s_waitcnt vmcnt(0)
	v_xor_b32_e32 v7, 0x80000000, v3
	v_cmp_gt_f64_e32 vcc, 0, v[2:3]
	v_xor_b32_e32 v8, 0x80000000, v5
	v_mov_b32_e32 v6, v2
	v_cndmask_b32_e32 v7, v3, v7, vcc
	v_cmp_gt_f64_e32 vcc, 0, v[4:5]
	s_nop 1
	v_cndmask_b32_e32 v9, v5, v8, vcc
	v_mov_b32_e32 v8, v4
	v_cmp_ngt_f64_e32 vcc, v[6:7], v[8:9]
                                        ; implicit-def: $vgpr6_vgpr7
	s_and_saveexec_b64 s[0:1], vcc
	s_xor_b64 s[0:1], exec, s[0:1]
	s_cbranch_execz .LBB9_4
; %bb.3:
	v_div_scale_f64 v[6:7], s[2:3], v[4:5], v[4:5], v[2:3]
	v_rcp_f64_e32 v[8:9], v[6:7]
	v_div_scale_f64 v[10:11], vcc, v[2:3], v[4:5], v[2:3]
	v_fma_f64 v[12:13], -v[6:7], v[8:9], 1.0
	v_fmac_f64_e32 v[8:9], v[8:9], v[12:13]
	v_fma_f64 v[12:13], -v[6:7], v[8:9], 1.0
	v_fmac_f64_e32 v[8:9], v[8:9], v[12:13]
	v_mul_f64 v[12:13], v[10:11], v[8:9]
	v_fma_f64 v[6:7], -v[6:7], v[12:13], v[10:11]
	v_div_fmas_f64 v[6:7], v[6:7], v[8:9], v[12:13]
	v_div_fixup_f64 v[6:7], v[6:7], v[4:5], v[2:3]
	v_fmac_f64_e32 v[4:5], v[2:3], v[6:7]
	v_div_scale_f64 v[2:3], s[2:3], v[4:5], v[4:5], 1.0
	v_rcp_f64_e32 v[8:9], v[2:3]
	s_nop 0
	v_fma_f64 v[10:11], -v[2:3], v[8:9], 1.0
	v_fmac_f64_e32 v[8:9], v[8:9], v[10:11]
	v_fma_f64 v[10:11], -v[2:3], v[8:9], 1.0
	v_fmac_f64_e32 v[8:9], v[8:9], v[10:11]
	v_div_scale_f64 v[10:11], vcc, 1.0, v[4:5], 1.0
	v_mul_f64 v[12:13], v[10:11], v[8:9]
	v_fma_f64 v[2:3], -v[2:3], v[12:13], v[10:11]
	s_nop 1
	v_div_fmas_f64 v[2:3], v[2:3], v[8:9], v[12:13]
	v_div_fixup_f64 v[8:9], v[2:3], v[4:5], 1.0
	v_mul_f64 v[6:7], v[6:7], v[8:9]
	v_xor_b32_e32 v9, 0x80000000, v9
	v_xor_b32_e32 v11, 0x80000000, v7
	v_mov_b32_e32 v10, v6
                                        ; implicit-def: $vgpr2_vgpr3
.LBB9_4:
	s_or_saveexec_b64 s[0:1], s[0:1]
	v_add_u32_e32 v12, 0, v34
	s_xor_b64 exec, exec, s[0:1]
	s_cbranch_execz .LBB9_6
; %bb.5:
	v_div_scale_f64 v[6:7], s[2:3], v[2:3], v[2:3], v[4:5]
	v_rcp_f64_e32 v[8:9], v[6:7]
	v_div_scale_f64 v[10:11], vcc, v[4:5], v[2:3], v[4:5]
	v_fma_f64 v[36:37], -v[6:7], v[8:9], 1.0
	v_fmac_f64_e32 v[8:9], v[8:9], v[36:37]
	v_fma_f64 v[36:37], -v[6:7], v[8:9], 1.0
	v_fmac_f64_e32 v[8:9], v[8:9], v[36:37]
	v_mul_f64 v[36:37], v[10:11], v[8:9]
	v_fma_f64 v[6:7], -v[6:7], v[36:37], v[10:11]
	v_div_fmas_f64 v[6:7], v[6:7], v[8:9], v[36:37]
	v_div_fixup_f64 v[8:9], v[6:7], v[2:3], v[4:5]
	v_fmac_f64_e32 v[2:3], v[4:5], v[8:9]
	v_div_scale_f64 v[4:5], s[2:3], v[2:3], v[2:3], 1.0
	v_rcp_f64_e32 v[6:7], v[4:5]
	s_nop 0
	v_fma_f64 v[10:11], -v[4:5], v[6:7], 1.0
	v_fmac_f64_e32 v[6:7], v[6:7], v[10:11]
	v_fma_f64 v[10:11], -v[4:5], v[6:7], 1.0
	v_fmac_f64_e32 v[6:7], v[6:7], v[10:11]
	v_div_scale_f64 v[10:11], vcc, 1.0, v[2:3], 1.0
	v_mul_f64 v[36:37], v[10:11], v[6:7]
	v_fma_f64 v[4:5], -v[4:5], v[36:37], v[10:11]
	s_nop 1
	v_div_fmas_f64 v[4:5], v[4:5], v[6:7], v[36:37]
	v_div_fixup_f64 v[6:7], v[4:5], v[2:3], 1.0
	v_xor_b32_e32 v11, 0x80000000, v7
	v_mov_b32_e32 v10, v6
	v_mul_f64 v[8:9], v[8:9], -v[6:7]
.LBB9_6:
	s_or_b64 exec, exec, s[0:1]
	scratch_store_dwordx4 v12, v[6:9], off
	s_nop 1
	v_xor_b32_e32 v9, 0x80000000, v9
	s_branch .LBB9_8
.LBB9_7:
	v_mov_b64_e32 v[8:9], 0
	v_mov_b64_e32 v[10:11], -1.0
.LBB9_8:
	v_add_u32_e32 v39, 16, v1
	v_add_u32_e32 v36, 32, v1
	;; [unrolled: 1-line block ×9, first 2 shown]
	v_mov_b32_e32 v12, v8
	v_mov_b32_e32 v13, v9
	s_cmpk_eq_i32 s4, 0x79
	v_add_u32_e32 v9, 0xa0, v34
	v_add_u32_e32 v8, 0, v34
	ds_write_b128 v34, v[10:13]
	s_cbranch_scc1 .LBB9_76
; %bb.9:
	scratch_load_dwordx4 v[2:5], v35, off
	v_cmp_eq_u32_e64 s[0:1], 9, v0
	s_waitcnt vmcnt(0)
	ds_write_b128 v9, v[2:5]
	s_waitcnt lgkmcnt(0)
	; wave barrier
	s_waitcnt lgkmcnt(0)
	s_and_saveexec_b64 s[2:3], s[0:1]
	s_cbranch_execz .LBB9_13
; %bb.10:
	ds_read_b128 v[2:5], v9
	s_andn2_b64 vcc, exec, s[6:7]
	s_cbranch_vccnz .LBB9_12
; %bb.11:
	scratch_load_dwordx4 v[10:13], v8, off
	s_waitcnt vmcnt(0) lgkmcnt(0)
	v_mul_f64 v[6:7], v[4:5], v[12:13]
	v_mul_f64 v[12:13], v[2:3], v[12:13]
	v_fmac_f64_e32 v[12:13], v[4:5], v[10:11]
	v_fma_f64 v[2:3], v[2:3], v[10:11], -v[6:7]
	v_mov_b64_e32 v[4:5], v[12:13]
.LBB9_12:
	v_mov_b32_e32 v6, 0
	ds_read_b128 v[10:13], v6 offset:128
	s_waitcnt lgkmcnt(0)
	v_mul_f64 v[6:7], v[4:5], v[12:13]
	v_mul_f64 v[46:47], v[2:3], v[12:13]
	v_fma_f64 v[44:45], v[2:3], v[10:11], -v[6:7]
	v_fmac_f64_e32 v[46:47], v[4:5], v[10:11]
	scratch_store_dwordx4 off, v[44:47], off offset:128
.LBB9_13:
	s_or_b64 exec, exec, s[2:3]
	scratch_load_dwordx4 v[2:5], v42, off
	v_cmp_lt_u32_e64 s[2:3], 7, v0
	s_waitcnt vmcnt(0)
	ds_write_b128 v9, v[2:5]
	s_waitcnt lgkmcnt(0)
	; wave barrier
	s_waitcnt lgkmcnt(0)
	s_and_saveexec_b64 s[4:5], s[2:3]
	s_cbranch_execz .LBB9_19
; %bb.14:
	ds_read_b128 v[2:5], v9
	s_andn2_b64 vcc, exec, s[6:7]
	s_cbranch_vccnz .LBB9_16
; %bb.15:
	scratch_load_dwordx4 v[10:13], v8, off
	s_waitcnt vmcnt(0) lgkmcnt(0)
	v_mul_f64 v[6:7], v[4:5], v[12:13]
	v_mul_f64 v[12:13], v[2:3], v[12:13]
	v_fmac_f64_e32 v[12:13], v[4:5], v[10:11]
	v_fma_f64 v[2:3], v[2:3], v[10:11], -v[6:7]
	v_mov_b64_e32 v[4:5], v[12:13]
.LBB9_16:
	s_and_saveexec_b64 s[8:9], s[0:1]
	s_cbranch_execz .LBB9_18
; %bb.17:
	scratch_load_dwordx4 v[10:13], off, off offset:128
	v_mov_b32_e32 v6, 0
	ds_read_b128 v[44:47], v6 offset:288
	s_waitcnt vmcnt(0) lgkmcnt(0)
	v_mul_f64 v[6:7], v[44:45], v[12:13]
	v_mul_f64 v[12:13], v[46:47], v[12:13]
	v_fmac_f64_e32 v[6:7], v[46:47], v[10:11]
	v_fma_f64 v[10:11], v[44:45], v[10:11], -v[12:13]
	v_add_f64 v[4:5], v[4:5], v[6:7]
	v_add_f64 v[2:3], v[2:3], v[10:11]
.LBB9_18:
	s_or_b64 exec, exec, s[8:9]
	v_mov_b32_e32 v6, 0
	ds_read_b128 v[10:13], v6 offset:112
	s_waitcnt lgkmcnt(0)
	v_mul_f64 v[6:7], v[4:5], v[12:13]
	v_mul_f64 v[46:47], v[2:3], v[12:13]
	v_fma_f64 v[44:45], v[2:3], v[10:11], -v[6:7]
	v_fmac_f64_e32 v[46:47], v[4:5], v[10:11]
	scratch_store_dwordx4 off, v[44:47], off offset:112
.LBB9_19:
	s_or_b64 exec, exec, s[4:5]
	scratch_load_dwordx4 v[2:5], v38, off
	v_cmp_lt_u32_e64 s[0:1], 6, v0
	s_waitcnt vmcnt(0)
	ds_write_b128 v9, v[2:5]
	s_waitcnt lgkmcnt(0)
	; wave barrier
	s_waitcnt lgkmcnt(0)
	s_and_saveexec_b64 s[4:5], s[0:1]
	s_cbranch_execz .LBB9_27
; %bb.20:
	ds_read_b128 v[2:5], v9
	s_andn2_b64 vcc, exec, s[6:7]
	s_cbranch_vccnz .LBB9_22
; %bb.21:
	scratch_load_dwordx4 v[10:13], v8, off
	s_waitcnt vmcnt(0) lgkmcnt(0)
	v_mul_f64 v[6:7], v[4:5], v[12:13]
	v_mul_f64 v[12:13], v[2:3], v[12:13]
	v_fmac_f64_e32 v[12:13], v[4:5], v[10:11]
	v_fma_f64 v[2:3], v[2:3], v[10:11], -v[6:7]
	v_mov_b64_e32 v[4:5], v[12:13]
.LBB9_22:
	s_and_saveexec_b64 s[8:9], s[2:3]
	s_cbranch_execz .LBB9_26
; %bb.23:
	v_mov_b32_e32 v7, 0
	v_add_u32_e32 v6, -7, v0
	v_add_u32_e32 v7, 0x78, v7
	s_movk_i32 s10, 0x110
	s_mov_b64 s[2:3], 0
.LBB9_24:                               ; =>This Inner Loop Header: Depth=1
	v_add_u32_e32 v10, -8, v7
	scratch_load_dwordx4 v[10:13], v10, off
	v_mov_b32_e32 v43, s10
	ds_read_b128 v[44:47], v43
	v_add_u32_e32 v6, -1, v6
	s_add_i32 s10, s10, 16
	v_cmp_eq_u32_e32 vcc, 0, v6
	v_add_u32_e32 v7, 16, v7
	s_or_b64 s[2:3], vcc, s[2:3]
	s_waitcnt vmcnt(0) lgkmcnt(0)
	v_mul_f64 v[48:49], v[46:47], v[12:13]
	v_mul_f64 v[12:13], v[44:45], v[12:13]
	v_fma_f64 v[44:45], v[44:45], v[10:11], -v[48:49]
	v_fmac_f64_e32 v[12:13], v[46:47], v[10:11]
	v_add_f64 v[2:3], v[2:3], v[44:45]
	v_add_f64 v[4:5], v[4:5], v[12:13]
	s_andn2_b64 exec, exec, s[2:3]
	s_cbranch_execnz .LBB9_24
; %bb.25:
	s_or_b64 exec, exec, s[2:3]
.LBB9_26:
	s_or_b64 exec, exec, s[8:9]
	v_mov_b32_e32 v6, 0
	ds_read_b128 v[10:13], v6 offset:96
	s_waitcnt lgkmcnt(0)
	v_mul_f64 v[6:7], v[4:5], v[12:13]
	v_mul_f64 v[46:47], v[2:3], v[12:13]
	v_fma_f64 v[44:45], v[2:3], v[10:11], -v[6:7]
	v_fmac_f64_e32 v[46:47], v[4:5], v[10:11]
	scratch_store_dwordx4 off, v[44:47], off offset:96
.LBB9_27:
	s_or_b64 exec, exec, s[4:5]
	scratch_load_dwordx4 v[2:5], v41, off
	v_cmp_lt_u32_e64 s[2:3], 5, v0
	s_waitcnt vmcnt(0)
	ds_write_b128 v9, v[2:5]
	s_waitcnt lgkmcnt(0)
	; wave barrier
	s_waitcnt lgkmcnt(0)
	s_and_saveexec_b64 s[4:5], s[2:3]
	s_cbranch_execz .LBB9_35
; %bb.28:
	ds_read_b128 v[2:5], v9
	s_andn2_b64 vcc, exec, s[6:7]
	s_cbranch_vccnz .LBB9_30
; %bb.29:
	scratch_load_dwordx4 v[10:13], v8, off
	s_waitcnt vmcnt(0) lgkmcnt(0)
	v_mul_f64 v[6:7], v[4:5], v[12:13]
	v_mul_f64 v[12:13], v[2:3], v[12:13]
	v_fmac_f64_e32 v[12:13], v[4:5], v[10:11]
	v_fma_f64 v[2:3], v[2:3], v[10:11], -v[6:7]
	v_mov_b64_e32 v[4:5], v[12:13]
.LBB9_30:
	s_and_saveexec_b64 s[8:9], s[0:1]
	s_cbranch_execz .LBB9_34
; %bb.31:
	v_mov_b32_e32 v7, 0
	v_add_u32_e32 v6, -6, v0
	v_add_u32_e32 v7, 0x68, v7
	s_movk_i32 s10, 0x100
	s_mov_b64 s[0:1], 0
.LBB9_32:                               ; =>This Inner Loop Header: Depth=1
	v_add_u32_e32 v10, -8, v7
	scratch_load_dwordx4 v[10:13], v10, off
	v_mov_b32_e32 v43, s10
	ds_read_b128 v[44:47], v43
	v_add_u32_e32 v6, -1, v6
	s_add_i32 s10, s10, 16
	v_cmp_eq_u32_e32 vcc, 0, v6
	v_add_u32_e32 v7, 16, v7
	s_or_b64 s[0:1], vcc, s[0:1]
	s_waitcnt vmcnt(0) lgkmcnt(0)
	v_mul_f64 v[48:49], v[46:47], v[12:13]
	v_mul_f64 v[12:13], v[44:45], v[12:13]
	v_fma_f64 v[44:45], v[44:45], v[10:11], -v[48:49]
	v_fmac_f64_e32 v[12:13], v[46:47], v[10:11]
	v_add_f64 v[2:3], v[2:3], v[44:45]
	v_add_f64 v[4:5], v[4:5], v[12:13]
	s_andn2_b64 exec, exec, s[0:1]
	s_cbranch_execnz .LBB9_32
; %bb.33:
	s_or_b64 exec, exec, s[0:1]
.LBB9_34:
	s_or_b64 exec, exec, s[8:9]
	v_mov_b32_e32 v6, 0
	ds_read_b128 v[10:13], v6 offset:80
	s_waitcnt lgkmcnt(0)
	v_mul_f64 v[6:7], v[4:5], v[12:13]
	v_mul_f64 v[46:47], v[2:3], v[12:13]
	v_fma_f64 v[44:45], v[2:3], v[10:11], -v[6:7]
	v_fmac_f64_e32 v[46:47], v[4:5], v[10:11]
	scratch_store_dwordx4 off, v[44:47], off offset:80
.LBB9_35:
	;; [unrolled: 63-line block ×6, first 2 shown]
	s_or_b64 exec, exec, s[2:3]
	scratch_load_dwordx4 v[2:5], off, off
	v_cmp_ne_u32_e32 vcc, 0, v0
	s_mov_b64 s[2:3], 0
	s_mov_b64 s[4:5], 0
                                        ; implicit-def: $vgpr6_vgpr7
                                        ; implicit-def: $vgpr10
	s_waitcnt vmcnt(0)
	ds_write_b128 v9, v[2:5]
	s_waitcnt lgkmcnt(0)
	; wave barrier
	s_waitcnt lgkmcnt(0)
	s_and_saveexec_b64 s[8:9], vcc
	s_cbranch_execz .LBB9_75
; %bb.68:
	ds_read_b128 v[2:5], v9
	s_andn2_b64 vcc, exec, s[6:7]
	s_cbranch_vccnz .LBB9_70
; %bb.69:
	scratch_load_dwordx4 v[10:13], v8, off
	s_waitcnt vmcnt(0) lgkmcnt(0)
	v_mul_f64 v[6:7], v[4:5], v[12:13]
	v_mul_f64 v[12:13], v[2:3], v[12:13]
	v_fmac_f64_e32 v[12:13], v[4:5], v[10:11]
	v_fma_f64 v[2:3], v[2:3], v[10:11], -v[6:7]
	v_mov_b64_e32 v[4:5], v[12:13]
.LBB9_70:
	s_and_saveexec_b64 s[4:5], s[0:1]
	s_cbranch_execz .LBB9_74
; %bb.71:
	v_mov_b32_e32 v7, 0
	v_add_u32_e32 v6, -1, v0
	v_add_u32_e32 v7, 24, v7
	s_movk_i32 s10, 0xb0
	s_mov_b64 s[0:1], 0
.LBB9_72:                               ; =>This Inner Loop Header: Depth=1
	v_add_u32_e32 v10, -8, v7
	scratch_load_dwordx4 v[10:13], v10, off
	v_mov_b32_e32 v43, s10
	ds_read_b128 v[44:47], v43
	v_add_u32_e32 v6, -1, v6
	s_add_i32 s10, s10, 16
	v_cmp_eq_u32_e32 vcc, 0, v6
	v_add_u32_e32 v7, 16, v7
	s_or_b64 s[0:1], vcc, s[0:1]
	s_waitcnt vmcnt(0) lgkmcnt(0)
	v_mul_f64 v[48:49], v[46:47], v[12:13]
	v_mul_f64 v[12:13], v[44:45], v[12:13]
	v_fma_f64 v[44:45], v[44:45], v[10:11], -v[48:49]
	v_fmac_f64_e32 v[12:13], v[46:47], v[10:11]
	v_add_f64 v[2:3], v[2:3], v[44:45]
	v_add_f64 v[4:5], v[4:5], v[12:13]
	s_andn2_b64 exec, exec, s[0:1]
	s_cbranch_execnz .LBB9_72
; %bb.73:
	s_or_b64 exec, exec, s[0:1]
.LBB9_74:
	s_or_b64 exec, exec, s[4:5]
	v_mov_b32_e32 v6, 0
	ds_read_b128 v[44:47], v6
	v_mov_b32_e32 v6, 0
	v_or_b32_e32 v10, 8, v6
	s_mov_b64 s[4:5], exec
	s_waitcnt lgkmcnt(0)
	v_mul_f64 v[12:13], v[4:5], v[46:47]
	v_mul_f64 v[6:7], v[2:3], v[46:47]
	v_fma_f64 v[2:3], v[2:3], v[44:45], -v[12:13]
	v_fmac_f64_e32 v[6:7], v[4:5], v[44:45]
	scratch_store_dwordx2 off, v[2:3], off
.LBB9_75:
	s_or_b64 exec, exec, s[8:9]
	s_and_b64 vcc, exec, s[2:3]
	s_cbranch_vccnz .LBB9_77
	s_branch .LBB9_144
.LBB9_76:
	s_mov_b64 s[4:5], 0
                                        ; implicit-def: $vgpr6_vgpr7
                                        ; implicit-def: $vgpr10
	s_cbranch_execz .LBB9_144
.LBB9_77:
	scratch_load_dwordx4 v[2:5], v39, off
	v_cndmask_b32_e64 v6, 0, 1, s[6:7]
	v_cmp_eq_u32_e64 s[2:3], 0, v0
	v_cmp_ne_u32_e64 s[0:1], 1, v6
	s_waitcnt vmcnt(0)
	ds_write_b128 v9, v[2:5]
	s_waitcnt lgkmcnt(0)
	; wave barrier
	s_waitcnt lgkmcnt(0)
	s_and_saveexec_b64 s[6:7], s[2:3]
	s_cbranch_execz .LBB9_81
; %bb.78:
	ds_read_b128 v[2:5], v9
	s_and_b64 vcc, exec, s[0:1]
	s_cbranch_vccnz .LBB9_80
; %bb.79:
	scratch_load_dwordx4 v[10:13], v8, off
	s_waitcnt vmcnt(0) lgkmcnt(0)
	v_mul_f64 v[6:7], v[4:5], v[12:13]
	v_mul_f64 v[12:13], v[2:3], v[12:13]
	v_fmac_f64_e32 v[12:13], v[4:5], v[10:11]
	v_fma_f64 v[2:3], v[2:3], v[10:11], -v[6:7]
	v_mov_b64_e32 v[4:5], v[12:13]
.LBB9_80:
	v_mov_b32_e32 v6, 0
	ds_read_b128 v[10:13], v6 offset:16
	s_waitcnt lgkmcnt(0)
	v_mul_f64 v[6:7], v[4:5], v[12:13]
	v_mul_f64 v[46:47], v[2:3], v[12:13]
	v_fma_f64 v[44:45], v[2:3], v[10:11], -v[6:7]
	v_fmac_f64_e32 v[46:47], v[4:5], v[10:11]
	scratch_store_dwordx4 off, v[44:47], off offset:16
.LBB9_81:
	s_or_b64 exec, exec, s[6:7]
	scratch_load_dwordx4 v[2:5], v36, off
	v_cmp_gt_u32_e32 vcc, 2, v0
	s_waitcnt vmcnt(0)
	ds_write_b128 v9, v[2:5]
	s_waitcnt lgkmcnt(0)
	; wave barrier
	s_waitcnt lgkmcnt(0)
	s_and_saveexec_b64 s[6:7], vcc
	s_cbranch_execz .LBB9_87
; %bb.82:
	ds_read_b128 v[2:5], v9
	s_and_b64 vcc, exec, s[0:1]
	s_cbranch_vccnz .LBB9_84
; %bb.83:
	scratch_load_dwordx4 v[10:13], v8, off
	s_waitcnt vmcnt(0) lgkmcnt(0)
	v_mul_f64 v[6:7], v[4:5], v[12:13]
	v_mul_f64 v[12:13], v[2:3], v[12:13]
	v_fmac_f64_e32 v[12:13], v[4:5], v[10:11]
	v_fma_f64 v[2:3], v[2:3], v[10:11], -v[6:7]
	v_mov_b64_e32 v[4:5], v[12:13]
.LBB9_84:
	s_and_saveexec_b64 s[8:9], s[2:3]
	s_cbranch_execz .LBB9_86
; %bb.85:
	scratch_load_dwordx4 v[10:13], v8, off offset:16
	ds_read_b128 v[44:47], v9 offset:16
	s_waitcnt vmcnt(0) lgkmcnt(0)
	v_mul_f64 v[6:7], v[46:47], v[12:13]
	v_mul_f64 v[12:13], v[44:45], v[12:13]
	v_fma_f64 v[6:7], v[44:45], v[10:11], -v[6:7]
	v_fmac_f64_e32 v[12:13], v[46:47], v[10:11]
	v_add_f64 v[2:3], v[2:3], v[6:7]
	v_add_f64 v[4:5], v[4:5], v[12:13]
.LBB9_86:
	s_or_b64 exec, exec, s[8:9]
	v_mov_b32_e32 v6, 0
	ds_read_b128 v[10:13], v6 offset:32
	s_waitcnt lgkmcnt(0)
	v_mul_f64 v[6:7], v[4:5], v[12:13]
	v_mul_f64 v[46:47], v[2:3], v[12:13]
	v_fma_f64 v[44:45], v[2:3], v[10:11], -v[6:7]
	v_fmac_f64_e32 v[46:47], v[4:5], v[10:11]
	scratch_store_dwordx4 off, v[44:47], off offset:32
.LBB9_87:
	s_or_b64 exec, exec, s[6:7]
	scratch_load_dwordx4 v[2:5], v40, off
	v_cmp_gt_u32_e32 vcc, 3, v0
	s_waitcnt vmcnt(0)
	ds_write_b128 v9, v[2:5]
	s_waitcnt lgkmcnt(0)
	; wave barrier
	s_waitcnt lgkmcnt(0)
	s_and_saveexec_b64 s[6:7], vcc
	s_cbranch_execz .LBB9_95
; %bb.88:
	ds_read_b128 v[2:5], v9
	s_and_b64 vcc, exec, s[0:1]
	s_cbranch_vccnz .LBB9_90
; %bb.89:
	scratch_load_dwordx4 v[10:13], v8, off
	s_waitcnt vmcnt(0) lgkmcnt(0)
	v_mul_f64 v[6:7], v[4:5], v[12:13]
	v_mul_f64 v[12:13], v[2:3], v[12:13]
	v_fmac_f64_e32 v[12:13], v[4:5], v[10:11]
	v_fma_f64 v[2:3], v[2:3], v[10:11], -v[6:7]
	v_mov_b64_e32 v[4:5], v[12:13]
.LBB9_90:
	v_cmp_ne_u32_e32 vcc, 2, v0
	s_and_saveexec_b64 s[8:9], vcc
	s_cbranch_execz .LBB9_94
; %bb.91:
	scratch_load_dwordx4 v[10:13], v8, off offset:16
	ds_read_b128 v[44:47], v9 offset:16
	s_waitcnt vmcnt(0) lgkmcnt(0)
	v_mul_f64 v[6:7], v[46:47], v[12:13]
	v_mul_f64 v[12:13], v[44:45], v[12:13]
	v_fma_f64 v[6:7], v[44:45], v[10:11], -v[6:7]
	v_fmac_f64_e32 v[12:13], v[46:47], v[10:11]
	v_add_f64 v[2:3], v[2:3], v[6:7]
	v_add_f64 v[4:5], v[4:5], v[12:13]
	s_and_saveexec_b64 s[10:11], s[2:3]
	s_cbranch_execz .LBB9_93
; %bb.92:
	scratch_load_dwordx4 v[10:13], off, off offset:32
	v_mov_b32_e32 v6, 0
	ds_read_b128 v[44:47], v6 offset:192
	s_waitcnt vmcnt(0) lgkmcnt(0)
	v_mul_f64 v[6:7], v[44:45], v[12:13]
	v_mul_f64 v[12:13], v[46:47], v[12:13]
	v_fmac_f64_e32 v[6:7], v[46:47], v[10:11]
	v_fma_f64 v[10:11], v[44:45], v[10:11], -v[12:13]
	v_add_f64 v[4:5], v[4:5], v[6:7]
	v_add_f64 v[2:3], v[2:3], v[10:11]
.LBB9_93:
	s_or_b64 exec, exec, s[10:11]
.LBB9_94:
	s_or_b64 exec, exec, s[8:9]
	v_mov_b32_e32 v6, 0
	ds_read_b128 v[10:13], v6 offset:48
	s_waitcnt lgkmcnt(0)
	v_mul_f64 v[6:7], v[4:5], v[12:13]
	v_mul_f64 v[46:47], v[2:3], v[12:13]
	v_fma_f64 v[44:45], v[2:3], v[10:11], -v[6:7]
	v_fmac_f64_e32 v[46:47], v[4:5], v[10:11]
	scratch_store_dwordx4 off, v[44:47], off offset:48
.LBB9_95:
	s_or_b64 exec, exec, s[6:7]
	scratch_load_dwordx4 v[2:5], v37, off
	v_cmp_gt_u32_e32 vcc, 4, v0
	s_waitcnt vmcnt(0)
	ds_write_b128 v9, v[2:5]
	s_waitcnt lgkmcnt(0)
	; wave barrier
	s_waitcnt lgkmcnt(0)
	s_and_saveexec_b64 s[2:3], vcc
	s_cbranch_execz .LBB9_103
; %bb.96:
	ds_read_b128 v[2:5], v9
	s_and_b64 vcc, exec, s[0:1]
	s_cbranch_vccnz .LBB9_98
; %bb.97:
	scratch_load_dwordx4 v[10:13], v8, off
	s_waitcnt vmcnt(0) lgkmcnt(0)
	v_mul_f64 v[6:7], v[4:5], v[12:13]
	v_mul_f64 v[12:13], v[2:3], v[12:13]
	v_fmac_f64_e32 v[12:13], v[4:5], v[10:11]
	v_fma_f64 v[2:3], v[2:3], v[10:11], -v[6:7]
	v_mov_b64_e32 v[4:5], v[12:13]
.LBB9_98:
	v_cmp_ne_u32_e32 vcc, 3, v0
	s_and_saveexec_b64 s[6:7], vcc
	s_cbranch_execz .LBB9_102
; %bb.99:
	v_mov_b32_e32 v7, 0
	v_add_u32_e32 v6, 0xb0, v34
	v_add3_u32 v7, v34, v7, 24
	s_mov_b64 s[8:9], 0
	v_mov_b32_e32 v10, v0
.LBB9_100:                              ; =>This Inner Loop Header: Depth=1
	v_add_u32_e32 v11, -8, v7
	scratch_load_dwordx4 v[44:47], v11, off
	ds_read_b128 v[48:51], v6
	v_add_u32_e32 v10, 1, v10
	v_cmp_lt_u32_e32 vcc, 2, v10
	v_add_u32_e32 v6, 16, v6
	v_add_u32_e32 v7, 16, v7
	s_or_b64 s[8:9], vcc, s[8:9]
	s_waitcnt vmcnt(0) lgkmcnt(0)
	v_mul_f64 v[12:13], v[50:51], v[46:47]
	v_mul_f64 v[46:47], v[48:49], v[46:47]
	v_fma_f64 v[12:13], v[48:49], v[44:45], -v[12:13]
	v_fmac_f64_e32 v[46:47], v[50:51], v[44:45]
	v_add_f64 v[2:3], v[2:3], v[12:13]
	v_add_f64 v[4:5], v[4:5], v[46:47]
	s_andn2_b64 exec, exec, s[8:9]
	s_cbranch_execnz .LBB9_100
; %bb.101:
	s_or_b64 exec, exec, s[8:9]
.LBB9_102:
	s_or_b64 exec, exec, s[6:7]
	v_mov_b32_e32 v6, 0
	ds_read_b128 v[10:13], v6 offset:64
	s_waitcnt lgkmcnt(0)
	v_mul_f64 v[6:7], v[4:5], v[12:13]
	v_mul_f64 v[46:47], v[2:3], v[12:13]
	v_fma_f64 v[44:45], v[2:3], v[10:11], -v[6:7]
	v_fmac_f64_e32 v[46:47], v[4:5], v[10:11]
	scratch_store_dwordx4 off, v[44:47], off offset:64
.LBB9_103:
	s_or_b64 exec, exec, s[2:3]
	scratch_load_dwordx4 v[2:5], v41, off
	v_cmp_gt_u32_e32 vcc, 5, v0
	s_waitcnt vmcnt(0)
	ds_write_b128 v9, v[2:5]
	s_waitcnt lgkmcnt(0)
	; wave barrier
	s_waitcnt lgkmcnt(0)
	s_and_saveexec_b64 s[2:3], vcc
	s_cbranch_execz .LBB9_111
; %bb.104:
	ds_read_b128 v[2:5], v9
	s_and_b64 vcc, exec, s[0:1]
	s_cbranch_vccnz .LBB9_106
; %bb.105:
	scratch_load_dwordx4 v[10:13], v8, off
	s_waitcnt vmcnt(0) lgkmcnt(0)
	v_mul_f64 v[6:7], v[4:5], v[12:13]
	v_mul_f64 v[12:13], v[2:3], v[12:13]
	v_fmac_f64_e32 v[12:13], v[4:5], v[10:11]
	v_fma_f64 v[2:3], v[2:3], v[10:11], -v[6:7]
	v_mov_b64_e32 v[4:5], v[12:13]
.LBB9_106:
	v_cmp_ne_u32_e32 vcc, 4, v0
	s_and_saveexec_b64 s[6:7], vcc
	s_cbranch_execz .LBB9_110
; %bb.107:
	v_mov_b32_e32 v7, 0
	v_add_u32_e32 v6, 0xb0, v34
	v_add3_u32 v7, v34, v7, 24
	s_mov_b64 s[8:9], 0
	v_mov_b32_e32 v10, v0
.LBB9_108:                              ; =>This Inner Loop Header: Depth=1
	v_add_u32_e32 v11, -8, v7
	scratch_load_dwordx4 v[44:47], v11, off
	ds_read_b128 v[48:51], v6
	v_add_u32_e32 v10, 1, v10
	v_cmp_lt_u32_e32 vcc, 3, v10
	v_add_u32_e32 v6, 16, v6
	v_add_u32_e32 v7, 16, v7
	s_or_b64 s[8:9], vcc, s[8:9]
	s_waitcnt vmcnt(0) lgkmcnt(0)
	v_mul_f64 v[12:13], v[50:51], v[46:47]
	v_mul_f64 v[46:47], v[48:49], v[46:47]
	v_fma_f64 v[12:13], v[48:49], v[44:45], -v[12:13]
	v_fmac_f64_e32 v[46:47], v[50:51], v[44:45]
	v_add_f64 v[2:3], v[2:3], v[12:13]
	v_add_f64 v[4:5], v[4:5], v[46:47]
	s_andn2_b64 exec, exec, s[8:9]
	s_cbranch_execnz .LBB9_108
; %bb.109:
	s_or_b64 exec, exec, s[8:9]
.LBB9_110:
	s_or_b64 exec, exec, s[6:7]
	v_mov_b32_e32 v6, 0
	ds_read_b128 v[10:13], v6 offset:80
	s_waitcnt lgkmcnt(0)
	v_mul_f64 v[6:7], v[4:5], v[12:13]
	v_mul_f64 v[46:47], v[2:3], v[12:13]
	v_fma_f64 v[44:45], v[2:3], v[10:11], -v[6:7]
	v_fmac_f64_e32 v[46:47], v[4:5], v[10:11]
	scratch_store_dwordx4 off, v[44:47], off offset:80
.LBB9_111:
	s_or_b64 exec, exec, s[2:3]
	scratch_load_dwordx4 v[2:5], v38, off
	v_cmp_gt_u32_e32 vcc, 6, v0
	s_waitcnt vmcnt(0)
	ds_write_b128 v9, v[2:5]
	s_waitcnt lgkmcnt(0)
	; wave barrier
	s_waitcnt lgkmcnt(0)
	s_and_saveexec_b64 s[2:3], vcc
	s_cbranch_execz .LBB9_119
; %bb.112:
	ds_read_b128 v[2:5], v9
	s_and_b64 vcc, exec, s[0:1]
	s_cbranch_vccnz .LBB9_114
; %bb.113:
	scratch_load_dwordx4 v[10:13], v8, off
	s_waitcnt vmcnt(0) lgkmcnt(0)
	v_mul_f64 v[6:7], v[4:5], v[12:13]
	v_mul_f64 v[12:13], v[2:3], v[12:13]
	v_fmac_f64_e32 v[12:13], v[4:5], v[10:11]
	v_fma_f64 v[2:3], v[2:3], v[10:11], -v[6:7]
	v_mov_b64_e32 v[4:5], v[12:13]
.LBB9_114:
	v_cmp_ne_u32_e32 vcc, 5, v0
	s_and_saveexec_b64 s[6:7], vcc
	s_cbranch_execz .LBB9_118
; %bb.115:
	v_mov_b32_e32 v7, 0
	v_add_u32_e32 v6, 0xb0, v34
	v_add3_u32 v7, v34, v7, 24
	s_mov_b64 s[8:9], 0
	v_mov_b32_e32 v10, v0
.LBB9_116:                              ; =>This Inner Loop Header: Depth=1
	v_add_u32_e32 v11, -8, v7
	scratch_load_dwordx4 v[44:47], v11, off
	ds_read_b128 v[48:51], v6
	v_add_u32_e32 v10, 1, v10
	v_cmp_lt_u32_e32 vcc, 4, v10
	v_add_u32_e32 v6, 16, v6
	v_add_u32_e32 v7, 16, v7
	s_or_b64 s[8:9], vcc, s[8:9]
	s_waitcnt vmcnt(0) lgkmcnt(0)
	v_mul_f64 v[12:13], v[50:51], v[46:47]
	v_mul_f64 v[46:47], v[48:49], v[46:47]
	v_fma_f64 v[12:13], v[48:49], v[44:45], -v[12:13]
	v_fmac_f64_e32 v[46:47], v[50:51], v[44:45]
	v_add_f64 v[2:3], v[2:3], v[12:13]
	v_add_f64 v[4:5], v[4:5], v[46:47]
	s_andn2_b64 exec, exec, s[8:9]
	s_cbranch_execnz .LBB9_116
; %bb.117:
	s_or_b64 exec, exec, s[8:9]
.LBB9_118:
	s_or_b64 exec, exec, s[6:7]
	v_mov_b32_e32 v6, 0
	ds_read_b128 v[10:13], v6 offset:96
	s_waitcnt lgkmcnt(0)
	v_mul_f64 v[6:7], v[4:5], v[12:13]
	v_mul_f64 v[46:47], v[2:3], v[12:13]
	v_fma_f64 v[44:45], v[2:3], v[10:11], -v[6:7]
	v_fmac_f64_e32 v[46:47], v[4:5], v[10:11]
	scratch_store_dwordx4 off, v[44:47], off offset:96
.LBB9_119:
	s_or_b64 exec, exec, s[2:3]
	scratch_load_dwordx4 v[2:5], v42, off
	v_cmp_gt_u32_e32 vcc, 7, v0
	s_waitcnt vmcnt(0)
	ds_write_b128 v9, v[2:5]
	s_waitcnt lgkmcnt(0)
	; wave barrier
	s_waitcnt lgkmcnt(0)
	s_and_saveexec_b64 s[2:3], vcc
	s_cbranch_execz .LBB9_127
; %bb.120:
	ds_read_b128 v[2:5], v9
	s_and_b64 vcc, exec, s[0:1]
	s_cbranch_vccnz .LBB9_122
; %bb.121:
	scratch_load_dwordx4 v[10:13], v8, off
	s_waitcnt vmcnt(0) lgkmcnt(0)
	v_mul_f64 v[6:7], v[4:5], v[12:13]
	v_mul_f64 v[12:13], v[2:3], v[12:13]
	v_fmac_f64_e32 v[12:13], v[4:5], v[10:11]
	v_fma_f64 v[2:3], v[2:3], v[10:11], -v[6:7]
	v_mov_b64_e32 v[4:5], v[12:13]
.LBB9_122:
	v_cmp_ne_u32_e32 vcc, 6, v0
	s_and_saveexec_b64 s[6:7], vcc
	s_cbranch_execz .LBB9_126
; %bb.123:
	v_mov_b32_e32 v7, 0
	v_add_u32_e32 v6, 0xb0, v34
	v_add3_u32 v7, v34, v7, 24
	s_mov_b64 s[8:9], 0
	v_mov_b32_e32 v10, v0
.LBB9_124:                              ; =>This Inner Loop Header: Depth=1
	v_add_u32_e32 v11, -8, v7
	scratch_load_dwordx4 v[44:47], v11, off
	ds_read_b128 v[48:51], v6
	v_add_u32_e32 v10, 1, v10
	v_cmp_lt_u32_e32 vcc, 5, v10
	v_add_u32_e32 v6, 16, v6
	v_add_u32_e32 v7, 16, v7
	s_or_b64 s[8:9], vcc, s[8:9]
	s_waitcnt vmcnt(0) lgkmcnt(0)
	v_mul_f64 v[12:13], v[50:51], v[46:47]
	v_mul_f64 v[46:47], v[48:49], v[46:47]
	v_fma_f64 v[12:13], v[48:49], v[44:45], -v[12:13]
	v_fmac_f64_e32 v[46:47], v[50:51], v[44:45]
	v_add_f64 v[2:3], v[2:3], v[12:13]
	v_add_f64 v[4:5], v[4:5], v[46:47]
	s_andn2_b64 exec, exec, s[8:9]
	s_cbranch_execnz .LBB9_124
; %bb.125:
	s_or_b64 exec, exec, s[8:9]
.LBB9_126:
	s_or_b64 exec, exec, s[6:7]
	v_mov_b32_e32 v6, 0
	ds_read_b128 v[10:13], v6 offset:112
	s_waitcnt lgkmcnt(0)
	v_mul_f64 v[6:7], v[4:5], v[12:13]
	v_mul_f64 v[46:47], v[2:3], v[12:13]
	v_fma_f64 v[44:45], v[2:3], v[10:11], -v[6:7]
	v_fmac_f64_e32 v[46:47], v[4:5], v[10:11]
	scratch_store_dwordx4 off, v[44:47], off offset:112
.LBB9_127:
	s_or_b64 exec, exec, s[2:3]
	scratch_load_dwordx4 v[2:5], v35, off
	v_cmp_gt_u32_e64 s[2:3], 8, v0
	s_waitcnt vmcnt(0)
	ds_write_b128 v9, v[2:5]
	s_waitcnt lgkmcnt(0)
	; wave barrier
	s_waitcnt lgkmcnt(0)
	s_and_saveexec_b64 s[6:7], s[2:3]
	s_cbranch_execz .LBB9_135
; %bb.128:
	ds_read_b128 v[2:5], v9
	s_and_b64 vcc, exec, s[0:1]
	s_cbranch_vccnz .LBB9_130
; %bb.129:
	scratch_load_dwordx4 v[10:13], v8, off
	s_waitcnt vmcnt(0) lgkmcnt(0)
	v_mul_f64 v[6:7], v[4:5], v[12:13]
	v_mul_f64 v[12:13], v[2:3], v[12:13]
	v_fmac_f64_e32 v[12:13], v[4:5], v[10:11]
	v_fma_f64 v[2:3], v[2:3], v[10:11], -v[6:7]
	v_mov_b64_e32 v[4:5], v[12:13]
.LBB9_130:
	v_cmp_ne_u32_e32 vcc, 7, v0
	s_and_saveexec_b64 s[8:9], vcc
	s_cbranch_execz .LBB9_134
; %bb.131:
	v_mov_b32_e32 v7, 0
	v_add_u32_e32 v6, 0xb0, v34
	v_add3_u32 v7, v34, v7, 24
	s_mov_b64 s[10:11], 0
	v_mov_b32_e32 v10, v0
.LBB9_132:                              ; =>This Inner Loop Header: Depth=1
	v_add_u32_e32 v11, -8, v7
	scratch_load_dwordx4 v[44:47], v11, off
	ds_read_b128 v[48:51], v6
	v_add_u32_e32 v10, 1, v10
	v_cmp_lt_u32_e32 vcc, 6, v10
	v_add_u32_e32 v6, 16, v6
	v_add_u32_e32 v7, 16, v7
	s_or_b64 s[10:11], vcc, s[10:11]
	s_waitcnt vmcnt(0) lgkmcnt(0)
	v_mul_f64 v[12:13], v[50:51], v[46:47]
	v_mul_f64 v[46:47], v[48:49], v[46:47]
	v_fma_f64 v[12:13], v[48:49], v[44:45], -v[12:13]
	v_fmac_f64_e32 v[46:47], v[50:51], v[44:45]
	v_add_f64 v[2:3], v[2:3], v[12:13]
	v_add_f64 v[4:5], v[4:5], v[46:47]
	s_andn2_b64 exec, exec, s[10:11]
	s_cbranch_execnz .LBB9_132
; %bb.133:
	s_or_b64 exec, exec, s[10:11]
.LBB9_134:
	s_or_b64 exec, exec, s[8:9]
	v_mov_b32_e32 v6, 0
	ds_read_b128 v[10:13], v6 offset:128
	s_waitcnt lgkmcnt(0)
	v_mul_f64 v[6:7], v[4:5], v[12:13]
	v_mul_f64 v[46:47], v[2:3], v[12:13]
	v_fma_f64 v[44:45], v[2:3], v[10:11], -v[6:7]
	v_fmac_f64_e32 v[46:47], v[4:5], v[10:11]
	scratch_store_dwordx4 off, v[44:47], off offset:128
.LBB9_135:
	s_or_b64 exec, exec, s[6:7]
	scratch_load_dwordx4 v[2:5], v1, off
	v_cmp_ne_u32_e32 vcc, 9, v0
                                        ; implicit-def: $vgpr6_vgpr7
                                        ; implicit-def: $vgpr10
	s_waitcnt vmcnt(0)
	ds_write_b128 v9, v[2:5]
	s_waitcnt lgkmcnt(0)
	; wave barrier
	s_waitcnt lgkmcnt(0)
	s_and_saveexec_b64 s[6:7], vcc
	s_cbranch_execz .LBB9_143
; %bb.136:
	ds_read_b128 v[2:5], v9
	s_and_b64 vcc, exec, s[0:1]
	s_cbranch_vccnz .LBB9_138
; %bb.137:
	scratch_load_dwordx4 v[6:9], v8, off
	s_waitcnt vmcnt(0) lgkmcnt(0)
	v_mul_f64 v[10:11], v[4:5], v[8:9]
	v_mul_f64 v[8:9], v[2:3], v[8:9]
	v_fmac_f64_e32 v[8:9], v[4:5], v[6:7]
	v_fma_f64 v[2:3], v[2:3], v[6:7], -v[10:11]
	v_mov_b64_e32 v[4:5], v[8:9]
.LBB9_138:
	s_and_saveexec_b64 s[0:1], s[2:3]
	s_cbranch_execz .LBB9_142
; %bb.139:
	v_mov_b32_e32 v7, 0
	v_add_u32_e32 v6, 0xb0, v34
	v_add3_u32 v7, v34, v7, 24
	s_mov_b64 s[2:3], 0
.LBB9_140:                              ; =>This Inner Loop Header: Depth=1
	v_add_u32_e32 v8, -8, v7
	scratch_load_dwordx4 v[8:11], v8, off
	ds_read_b128 v[44:47], v6
	v_add_u32_e32 v0, 1, v0
	v_cmp_lt_u32_e32 vcc, 7, v0
	v_add_u32_e32 v6, 16, v6
	v_add_u32_e32 v7, 16, v7
	s_or_b64 s[2:3], vcc, s[2:3]
	s_waitcnt vmcnt(0) lgkmcnt(0)
	v_mul_f64 v[12:13], v[46:47], v[10:11]
	v_mul_f64 v[10:11], v[44:45], v[10:11]
	v_fma_f64 v[12:13], v[44:45], v[8:9], -v[12:13]
	v_fmac_f64_e32 v[10:11], v[46:47], v[8:9]
	v_add_f64 v[2:3], v[2:3], v[12:13]
	v_add_f64 v[4:5], v[4:5], v[10:11]
	s_andn2_b64 exec, exec, s[2:3]
	s_cbranch_execnz .LBB9_140
; %bb.141:
	s_or_b64 exec, exec, s[2:3]
.LBB9_142:
	s_or_b64 exec, exec, s[0:1]
	v_mov_b32_e32 v0, 0
	ds_read_b128 v[44:47], v0 offset:144
	v_mov_b32_e32 v0, 0
	v_add_u32_e32 v10, 0x98, v0
	s_or_b64 s[4:5], s[4:5], exec
	s_waitcnt lgkmcnt(0)
	v_mul_f64 v[8:9], v[4:5], v[46:47]
	v_mul_f64 v[6:7], v[2:3], v[46:47]
	v_fma_f64 v[2:3], v[2:3], v[44:45], -v[8:9]
	v_fmac_f64_e32 v[6:7], v[4:5], v[44:45]
	scratch_store_dwordx2 off, v[2:3], off offset:144
.LBB9_143:
	s_or_b64 exec, exec, s[6:7]
.LBB9_144:
	s_and_saveexec_b64 s[0:1], s[4:5]
	s_cbranch_execz .LBB9_146
; %bb.145:
	scratch_store_dwordx2 v10, v[6:7], off
.LBB9_146:
	s_or_b64 exec, exec, s[0:1]
	scratch_load_dwordx4 v[2:5], off, off
	scratch_load_dwordx4 v[6:9], v39, off
	scratch_load_dwordx4 v[10:13], v36, off
	;; [unrolled: 1-line block ×7, first 2 shown]
                                        ; kill: killed $vgpr39
                                        ; kill: killed $vgpr40
                                        ; kill: killed $vgpr41
                                        ; kill: killed $vgpr42
                                        ; kill: killed $vgpr36
                                        ; kill: killed $vgpr37
                                        ; kill: killed $vgpr38
	s_nop 0
	scratch_load_dwordx4 v[36:39], v35, off
	scratch_load_dwordx4 v[40:43], v1, off
	s_waitcnt vmcnt(9)
	global_store_dwordx4 v[14:15], v[2:5], off
	s_waitcnt vmcnt(9)
	global_store_dwordx4 v[16:17], v[6:9], off
	;; [unrolled: 2-line block ×10, first 2 shown]
.LBB9_147:
	s_endpgm
	.section	.rodata,"a",@progbits
	.p2align	6, 0x0
	.amdhsa_kernel _ZN9rocsolver6v33100L18trti2_kernel_smallILi10E19rocblas_complex_numIdEPS3_EEv13rocblas_fill_17rocblas_diagonal_T1_iil
		.amdhsa_group_segment_fixed_size 320
		.amdhsa_private_segment_fixed_size 176
		.amdhsa_kernarg_size 32
		.amdhsa_user_sgpr_count 2
		.amdhsa_user_sgpr_dispatch_ptr 0
		.amdhsa_user_sgpr_queue_ptr 0
		.amdhsa_user_sgpr_kernarg_segment_ptr 1
		.amdhsa_user_sgpr_dispatch_id 0
		.amdhsa_user_sgpr_kernarg_preload_length 0
		.amdhsa_user_sgpr_kernarg_preload_offset 0
		.amdhsa_user_sgpr_private_segment_size 0
		.amdhsa_uses_dynamic_stack 0
		.amdhsa_enable_private_segment 1
		.amdhsa_system_sgpr_workgroup_id_x 1
		.amdhsa_system_sgpr_workgroup_id_y 0
		.amdhsa_system_sgpr_workgroup_id_z 0
		.amdhsa_system_sgpr_workgroup_info 0
		.amdhsa_system_vgpr_workitem_id 0
		.amdhsa_next_free_vgpr 64
		.amdhsa_next_free_sgpr 12
		.amdhsa_accum_offset 64
		.amdhsa_reserve_vcc 1
		.amdhsa_float_round_mode_32 0
		.amdhsa_float_round_mode_16_64 0
		.amdhsa_float_denorm_mode_32 3
		.amdhsa_float_denorm_mode_16_64 3
		.amdhsa_dx10_clamp 1
		.amdhsa_ieee_mode 1
		.amdhsa_fp16_overflow 0
		.amdhsa_tg_split 0
		.amdhsa_exception_fp_ieee_invalid_op 0
		.amdhsa_exception_fp_denorm_src 0
		.amdhsa_exception_fp_ieee_div_zero 0
		.amdhsa_exception_fp_ieee_overflow 0
		.amdhsa_exception_fp_ieee_underflow 0
		.amdhsa_exception_fp_ieee_inexact 0
		.amdhsa_exception_int_div_zero 0
	.end_amdhsa_kernel
	.section	.text._ZN9rocsolver6v33100L18trti2_kernel_smallILi10E19rocblas_complex_numIdEPS3_EEv13rocblas_fill_17rocblas_diagonal_T1_iil,"axG",@progbits,_ZN9rocsolver6v33100L18trti2_kernel_smallILi10E19rocblas_complex_numIdEPS3_EEv13rocblas_fill_17rocblas_diagonal_T1_iil,comdat
.Lfunc_end9:
	.size	_ZN9rocsolver6v33100L18trti2_kernel_smallILi10E19rocblas_complex_numIdEPS3_EEv13rocblas_fill_17rocblas_diagonal_T1_iil, .Lfunc_end9-_ZN9rocsolver6v33100L18trti2_kernel_smallILi10E19rocblas_complex_numIdEPS3_EEv13rocblas_fill_17rocblas_diagonal_T1_iil
                                        ; -- End function
	.section	.AMDGPU.csdata,"",@progbits
; Kernel info:
; codeLenInByte = 6348
; NumSgprs: 18
; NumVgprs: 64
; NumAgprs: 0
; TotalNumVgprs: 64
; ScratchSize: 176
; MemoryBound: 0
; FloatMode: 240
; IeeeMode: 1
; LDSByteSize: 320 bytes/workgroup (compile time only)
; SGPRBlocks: 2
; VGPRBlocks: 7
; NumSGPRsForWavesPerEU: 18
; NumVGPRsForWavesPerEU: 64
; AccumOffset: 64
; Occupancy: 8
; WaveLimiterHint : 0
; COMPUTE_PGM_RSRC2:SCRATCH_EN: 1
; COMPUTE_PGM_RSRC2:USER_SGPR: 2
; COMPUTE_PGM_RSRC2:TRAP_HANDLER: 0
; COMPUTE_PGM_RSRC2:TGID_X_EN: 1
; COMPUTE_PGM_RSRC2:TGID_Y_EN: 0
; COMPUTE_PGM_RSRC2:TGID_Z_EN: 0
; COMPUTE_PGM_RSRC2:TIDIG_COMP_CNT: 0
; COMPUTE_PGM_RSRC3_GFX90A:ACCUM_OFFSET: 15
; COMPUTE_PGM_RSRC3_GFX90A:TG_SPLIT: 0
	.section	.text._ZN9rocsolver6v33100L18trti2_kernel_smallILi11E19rocblas_complex_numIdEPS3_EEv13rocblas_fill_17rocblas_diagonal_T1_iil,"axG",@progbits,_ZN9rocsolver6v33100L18trti2_kernel_smallILi11E19rocblas_complex_numIdEPS3_EEv13rocblas_fill_17rocblas_diagonal_T1_iil,comdat
	.globl	_ZN9rocsolver6v33100L18trti2_kernel_smallILi11E19rocblas_complex_numIdEPS3_EEv13rocblas_fill_17rocblas_diagonal_T1_iil ; -- Begin function _ZN9rocsolver6v33100L18trti2_kernel_smallILi11E19rocblas_complex_numIdEPS3_EEv13rocblas_fill_17rocblas_diagonal_T1_iil
	.p2align	8
	.type	_ZN9rocsolver6v33100L18trti2_kernel_smallILi11E19rocblas_complex_numIdEPS3_EEv13rocblas_fill_17rocblas_diagonal_T1_iil,@function
_ZN9rocsolver6v33100L18trti2_kernel_smallILi11E19rocblas_complex_numIdEPS3_EEv13rocblas_fill_17rocblas_diagonal_T1_iil: ; @_ZN9rocsolver6v33100L18trti2_kernel_smallILi11E19rocblas_complex_numIdEPS3_EEv13rocblas_fill_17rocblas_diagonal_T1_iil
; %bb.0:
	v_cmp_gt_u32_e32 vcc, 11, v0
	s_and_saveexec_b64 s[4:5], vcc
	s_cbranch_execz .LBB10_163
; %bb.1:
	s_load_dwordx8 s[4:11], s[0:1], 0x0
	s_ashr_i32 s3, s2, 31
	v_lshlrev_b32_e32 v36, 4, v0
	v_mov_b32_e32 v37, 0
	s_waitcnt lgkmcnt(0)
	s_ashr_i32 s1, s8, 31
	s_mov_b32 s0, s8
	s_mul_i32 s8, s2, s11
	s_mul_hi_u32 s11, s2, s10
	s_add_i32 s8, s11, s8
	s_mul_i32 s3, s3, s10
	s_add_i32 s3, s8, s3
	s_mul_i32 s2, s2, s10
	s_lshl_b64 s[2:3], s[2:3], 4
	s_add_u32 s2, s6, s2
	s_addc_u32 s3, s7, s3
	s_lshl_b64 s[0:1], s[0:1], 4
	s_add_u32 s0, s2, s0
	s_addc_u32 s1, s3, s1
	v_lshl_add_u64 v[16:17], s[0:1], 0, v[36:37]
	s_ashr_i32 s3, s9, 31
	s_mov_b32 s2, s9
	global_load_dwordx4 v[2:5], v36, s[0:1]
	v_lshl_add_u64 v[14:15], s[2:3], 4, v[16:17]
	global_load_dwordx4 v[6:9], v[14:15], off
	s_add_i32 s2, s9, s9
	v_add_u32_e32 v20, s2, v0
	v_ashrrev_i32_e32 v21, 31, v20
	v_lshl_add_u64 v[18:19], v[20:21], 4, s[0:1]
	v_add_u32_e32 v20, s9, v20
	v_add_u32_e32 v22, s9, v20
	;; [unrolled: 1-line block ×7, first 2 shown]
	v_ashrrev_i32_e32 v21, 31, v20
	v_ashrrev_i32_e32 v25, 31, v24
	v_add_u32_e32 v34, s9, v32
	v_lshl_add_u64 v[20:21], v[20:21], 4, s[0:1]
	v_ashrrev_i32_e32 v23, 31, v22
	v_lshl_add_u64 v[24:25], v[24:25], 4, s[0:1]
	v_ashrrev_i32_e32 v27, 31, v26
	v_ashrrev_i32_e32 v29, 31, v28
	;; [unrolled: 1-line block ×4, first 2 shown]
	global_load_dwordx4 v[10:13], v[18:19], off
	v_lshl_add_u64 v[22:23], v[22:23], 4, s[0:1]
	global_load_dwordx4 v[38:41], v[20:21], off
	global_load_dwordx4 v[42:45], v[22:23], off
	v_lshl_add_u64 v[26:27], v[26:27], 4, s[0:1]
	global_load_dwordx4 v[46:49], v[24:25], off
	global_load_dwordx4 v[50:53], v[26:27], off
	v_lshl_add_u64 v[28:29], v[28:29], 4, s[0:1]
	v_ashrrev_i32_e32 v31, 31, v30
	v_lshl_add_u64 v[32:33], v[32:33], 4, s[0:1]
	v_lshl_add_u64 v[34:35], v[34:35], 4, s[0:1]
	;; [unrolled: 1-line block ×3, first 2 shown]
	s_cmpk_lg_i32 s5, 0x84
	s_cselect_b64 s[6:7], -1, 0
	s_cmpk_eq_i32 s5, 0x84
	s_waitcnt vmcnt(6)
	scratch_store_dwordx4 off, v[2:5], off
	global_load_dwordx4 v[2:5], v[28:29], off
	s_nop 0
	global_load_dwordx4 v[54:57], v[30:31], off
	global_load_dwordx4 v[58:61], v[34:35], off
	s_waitcnt vmcnt(9)
	scratch_store_dwordx4 off, v[6:9], off offset:16
	global_load_dwordx4 v[6:9], v[32:33], off
	s_waitcnt vmcnt(10)
	scratch_store_dwordx4 off, v[10:13], off offset:32
	s_nop 1
	v_mov_b32_e32 v12, 0
	s_waitcnt vmcnt(10)
	scratch_store_dwordx4 off, v[38:41], off offset:48
	s_waitcnt vmcnt(10)
	scratch_store_dwordx4 off, v[42:45], off offset:64
	;; [unrolled: 2-line block ×7, first 2 shown]
	scratch_store_dwordx4 off, v[58:61], off offset:160
	s_cbranch_scc1 .LBB10_7
; %bb.2:
	scratch_load_dwordx4 v[2:5], v36, off
                                        ; implicit-def: $vgpr10_vgpr11
	s_waitcnt vmcnt(0)
	v_xor_b32_e32 v1, 0x80000000, v3
	v_cmp_gt_f64_e32 vcc, 0, v[2:3]
	v_xor_b32_e32 v8, 0x80000000, v5
	v_mov_b32_e32 v6, v2
	v_cndmask_b32_e32 v7, v3, v1, vcc
	v_cmp_gt_f64_e32 vcc, 0, v[4:5]
	s_nop 1
	v_cndmask_b32_e32 v9, v5, v8, vcc
	v_mov_b32_e32 v8, v4
	v_cmp_ngt_f64_e32 vcc, v[6:7], v[8:9]
                                        ; implicit-def: $vgpr6_vgpr7
	s_and_saveexec_b64 s[0:1], vcc
	s_xor_b64 s[0:1], exec, s[0:1]
	s_cbranch_execz .LBB10_4
; %bb.3:
	v_div_scale_f64 v[6:7], s[2:3], v[4:5], v[4:5], v[2:3]
	v_rcp_f64_e32 v[8:9], v[6:7]
	v_div_scale_f64 v[10:11], vcc, v[2:3], v[4:5], v[2:3]
	v_fma_f64 v[38:39], -v[6:7], v[8:9], 1.0
	v_fmac_f64_e32 v[8:9], v[8:9], v[38:39]
	v_fma_f64 v[38:39], -v[6:7], v[8:9], 1.0
	v_fmac_f64_e32 v[8:9], v[8:9], v[38:39]
	v_mul_f64 v[38:39], v[10:11], v[8:9]
	v_fma_f64 v[6:7], -v[6:7], v[38:39], v[10:11]
	v_div_fmas_f64 v[6:7], v[6:7], v[8:9], v[38:39]
	v_div_fixup_f64 v[6:7], v[6:7], v[4:5], v[2:3]
	v_fmac_f64_e32 v[4:5], v[2:3], v[6:7]
	v_div_scale_f64 v[2:3], s[2:3], v[4:5], v[4:5], 1.0
	v_rcp_f64_e32 v[8:9], v[2:3]
	s_nop 0
	v_fma_f64 v[10:11], -v[2:3], v[8:9], 1.0
	v_fmac_f64_e32 v[8:9], v[8:9], v[10:11]
	v_fma_f64 v[10:11], -v[2:3], v[8:9], 1.0
	v_fmac_f64_e32 v[8:9], v[8:9], v[10:11]
	v_div_scale_f64 v[10:11], vcc, 1.0, v[4:5], 1.0
	v_mul_f64 v[38:39], v[10:11], v[8:9]
	v_fma_f64 v[2:3], -v[2:3], v[38:39], v[10:11]
	s_nop 1
	v_div_fmas_f64 v[2:3], v[2:3], v[8:9], v[38:39]
	v_div_fixup_f64 v[8:9], v[2:3], v[4:5], 1.0
	v_mul_f64 v[6:7], v[6:7], v[8:9]
	v_xor_b32_e32 v9, 0x80000000, v9
	v_xor_b32_e32 v11, 0x80000000, v7
	v_mov_b32_e32 v10, v6
                                        ; implicit-def: $vgpr2_vgpr3
.LBB10_4:
	s_or_saveexec_b64 s[0:1], s[0:1]
	v_add_u32_e32 v1, 0, v36
	s_xor_b64 exec, exec, s[0:1]
	s_cbranch_execz .LBB10_6
; %bb.5:
	v_div_scale_f64 v[6:7], s[2:3], v[2:3], v[2:3], v[4:5]
	v_rcp_f64_e32 v[8:9], v[6:7]
	v_div_scale_f64 v[10:11], vcc, v[4:5], v[2:3], v[4:5]
	v_fma_f64 v[38:39], -v[6:7], v[8:9], 1.0
	v_fmac_f64_e32 v[8:9], v[8:9], v[38:39]
	v_fma_f64 v[38:39], -v[6:7], v[8:9], 1.0
	v_fmac_f64_e32 v[8:9], v[8:9], v[38:39]
	v_mul_f64 v[38:39], v[10:11], v[8:9]
	v_fma_f64 v[6:7], -v[6:7], v[38:39], v[10:11]
	v_div_fmas_f64 v[6:7], v[6:7], v[8:9], v[38:39]
	v_div_fixup_f64 v[8:9], v[6:7], v[2:3], v[4:5]
	v_fmac_f64_e32 v[2:3], v[4:5], v[8:9]
	v_div_scale_f64 v[4:5], s[2:3], v[2:3], v[2:3], 1.0
	v_rcp_f64_e32 v[6:7], v[4:5]
	s_nop 0
	v_fma_f64 v[10:11], -v[4:5], v[6:7], 1.0
	v_fmac_f64_e32 v[6:7], v[6:7], v[10:11]
	v_fma_f64 v[10:11], -v[4:5], v[6:7], 1.0
	v_fmac_f64_e32 v[6:7], v[6:7], v[10:11]
	v_div_scale_f64 v[10:11], vcc, 1.0, v[2:3], 1.0
	v_mul_f64 v[38:39], v[10:11], v[6:7]
	v_fma_f64 v[4:5], -v[4:5], v[38:39], v[10:11]
	s_nop 1
	v_div_fmas_f64 v[4:5], v[4:5], v[6:7], v[38:39]
	v_div_fixup_f64 v[6:7], v[4:5], v[2:3], 1.0
	v_xor_b32_e32 v11, 0x80000000, v7
	v_mov_b32_e32 v10, v6
	v_mul_f64 v[8:9], v[8:9], -v[6:7]
.LBB10_6:
	s_or_b64 exec, exec, s[0:1]
	scratch_store_dwordx4 v1, v[6:9], off
	s_nop 1
	v_xor_b32_e32 v9, 0x80000000, v9
	s_branch .LBB10_8
.LBB10_7:
	v_mov_b64_e32 v[8:9], 0
	v_mov_b64_e32 v[10:11], -1.0
.LBB10_8:
	v_add_u32_e32 v38, 16, v12
	v_add_u32_e32 v41, 32, v12
	;; [unrolled: 1-line block ×10, first 2 shown]
	v_mov_b32_e32 v12, v8
	v_mov_b32_e32 v13, v9
	s_cmpk_eq_i32 s4, 0x79
	v_add_u32_e32 v9, 0xb0, v36
	v_add_u32_e32 v8, 0, v36
	ds_write_b128 v36, v[10:13]
	s_cbranch_scc1 .LBB10_84
; %bb.9:
	scratch_load_dwordx4 v[2:5], v1, off
	v_cmp_eq_u32_e64 s[0:1], 10, v0
	s_waitcnt vmcnt(0)
	ds_write_b128 v9, v[2:5]
	s_waitcnt lgkmcnt(0)
	; wave barrier
	s_waitcnt lgkmcnt(0)
	s_and_saveexec_b64 s[2:3], s[0:1]
	s_cbranch_execz .LBB10_13
; %bb.10:
	ds_read_b128 v[2:5], v9
	s_andn2_b64 vcc, exec, s[6:7]
	s_cbranch_vccnz .LBB10_12
; %bb.11:
	scratch_load_dwordx4 v[10:13], v8, off
	s_waitcnt vmcnt(0) lgkmcnt(0)
	v_mul_f64 v[6:7], v[4:5], v[12:13]
	v_mul_f64 v[12:13], v[2:3], v[12:13]
	v_fmac_f64_e32 v[12:13], v[4:5], v[10:11]
	v_fma_f64 v[2:3], v[2:3], v[10:11], -v[6:7]
	v_mov_b64_e32 v[4:5], v[12:13]
.LBB10_12:
	v_mov_b32_e32 v6, 0
	ds_read_b128 v[10:13], v6 offset:144
	s_waitcnt lgkmcnt(0)
	v_mul_f64 v[6:7], v[4:5], v[12:13]
	v_mul_f64 v[48:49], v[2:3], v[12:13]
	v_fma_f64 v[46:47], v[2:3], v[10:11], -v[6:7]
	v_fmac_f64_e32 v[48:49], v[4:5], v[10:11]
	scratch_store_dwordx4 off, v[46:49], off offset:144
.LBB10_13:
	s_or_b64 exec, exec, s[2:3]
	scratch_load_dwordx4 v[2:5], v40, off
	v_cmp_lt_u32_e64 s[2:3], 8, v0
	s_waitcnt vmcnt(0)
	ds_write_b128 v9, v[2:5]
	s_waitcnt lgkmcnt(0)
	; wave barrier
	s_waitcnt lgkmcnt(0)
	s_and_saveexec_b64 s[4:5], s[2:3]
	s_cbranch_execz .LBB10_19
; %bb.14:
	ds_read_b128 v[2:5], v9
	s_andn2_b64 vcc, exec, s[6:7]
	s_cbranch_vccnz .LBB10_16
; %bb.15:
	scratch_load_dwordx4 v[10:13], v8, off
	s_waitcnt vmcnt(0) lgkmcnt(0)
	v_mul_f64 v[6:7], v[4:5], v[12:13]
	v_mul_f64 v[12:13], v[2:3], v[12:13]
	v_fmac_f64_e32 v[12:13], v[4:5], v[10:11]
	v_fma_f64 v[2:3], v[2:3], v[10:11], -v[6:7]
	v_mov_b64_e32 v[4:5], v[12:13]
.LBB10_16:
	s_and_saveexec_b64 s[8:9], s[0:1]
	s_cbranch_execz .LBB10_18
; %bb.17:
	scratch_load_dwordx4 v[10:13], off, off offset:144
	v_mov_b32_e32 v6, 0
	ds_read_b128 v[46:49], v6 offset:320
	s_waitcnt vmcnt(0) lgkmcnt(0)
	v_mul_f64 v[6:7], v[46:47], v[12:13]
	v_mul_f64 v[12:13], v[48:49], v[12:13]
	v_fmac_f64_e32 v[6:7], v[48:49], v[10:11]
	v_fma_f64 v[10:11], v[46:47], v[10:11], -v[12:13]
	v_add_f64 v[4:5], v[4:5], v[6:7]
	v_add_f64 v[2:3], v[2:3], v[10:11]
.LBB10_18:
	s_or_b64 exec, exec, s[8:9]
	v_mov_b32_e32 v6, 0
	ds_read_b128 v[10:13], v6 offset:128
	s_waitcnt lgkmcnt(0)
	v_mul_f64 v[6:7], v[4:5], v[12:13]
	v_mul_f64 v[48:49], v[2:3], v[12:13]
	v_fma_f64 v[46:47], v[2:3], v[10:11], -v[6:7]
	v_fmac_f64_e32 v[48:49], v[4:5], v[10:11]
	scratch_store_dwordx4 off, v[46:49], off offset:128
.LBB10_19:
	s_or_b64 exec, exec, s[4:5]
	scratch_load_dwordx4 v[2:5], v45, off
	v_cmp_lt_u32_e64 s[0:1], 7, v0
	s_waitcnt vmcnt(0)
	ds_write_b128 v9, v[2:5]
	s_waitcnt lgkmcnt(0)
	; wave barrier
	s_waitcnt lgkmcnt(0)
	s_and_saveexec_b64 s[4:5], s[0:1]
	s_cbranch_execz .LBB10_27
; %bb.20:
	ds_read_b128 v[2:5], v9
	s_andn2_b64 vcc, exec, s[6:7]
	s_cbranch_vccnz .LBB10_22
; %bb.21:
	scratch_load_dwordx4 v[10:13], v8, off
	s_waitcnt vmcnt(0) lgkmcnt(0)
	v_mul_f64 v[6:7], v[4:5], v[12:13]
	v_mul_f64 v[12:13], v[2:3], v[12:13]
	v_fmac_f64_e32 v[12:13], v[4:5], v[10:11]
	v_fma_f64 v[2:3], v[2:3], v[10:11], -v[6:7]
	v_mov_b64_e32 v[4:5], v[12:13]
.LBB10_22:
	s_and_saveexec_b64 s[8:9], s[2:3]
	s_cbranch_execz .LBB10_26
; %bb.23:
	v_mov_b32_e32 v7, 0
	v_add_u32_e32 v6, -8, v0
	v_add_u32_e32 v7, 0x88, v7
	s_movk_i32 s10, 0x130
	s_mov_b64 s[2:3], 0
.LBB10_24:                              ; =>This Inner Loop Header: Depth=1
	v_add_u32_e32 v10, -8, v7
	scratch_load_dwordx4 v[10:13], v10, off
	v_mov_b32_e32 v46, s10
	ds_read_b128 v[46:49], v46
	v_add_u32_e32 v6, -1, v6
	s_add_i32 s10, s10, 16
	v_cmp_eq_u32_e32 vcc, 0, v6
	v_add_u32_e32 v7, 16, v7
	s_or_b64 s[2:3], vcc, s[2:3]
	s_waitcnt vmcnt(0) lgkmcnt(0)
	v_mul_f64 v[50:51], v[48:49], v[12:13]
	v_mul_f64 v[12:13], v[46:47], v[12:13]
	v_fma_f64 v[46:47], v[46:47], v[10:11], -v[50:51]
	v_fmac_f64_e32 v[12:13], v[48:49], v[10:11]
	v_add_f64 v[2:3], v[2:3], v[46:47]
	v_add_f64 v[4:5], v[4:5], v[12:13]
	s_andn2_b64 exec, exec, s[2:3]
	s_cbranch_execnz .LBB10_24
; %bb.25:
	s_or_b64 exec, exec, s[2:3]
.LBB10_26:
	s_or_b64 exec, exec, s[8:9]
	v_mov_b32_e32 v6, 0
	ds_read_b128 v[10:13], v6 offset:112
	s_waitcnt lgkmcnt(0)
	v_mul_f64 v[6:7], v[4:5], v[12:13]
	v_mul_f64 v[48:49], v[2:3], v[12:13]
	v_fma_f64 v[46:47], v[2:3], v[10:11], -v[6:7]
	v_fmac_f64_e32 v[48:49], v[4:5], v[10:11]
	scratch_store_dwordx4 off, v[46:49], off offset:112
.LBB10_27:
	s_or_b64 exec, exec, s[4:5]
	scratch_load_dwordx4 v[2:5], v43, off
	v_cmp_lt_u32_e64 s[2:3], 6, v0
	s_waitcnt vmcnt(0)
	ds_write_b128 v9, v[2:5]
	s_waitcnt lgkmcnt(0)
	; wave barrier
	s_waitcnt lgkmcnt(0)
	s_and_saveexec_b64 s[4:5], s[2:3]
	s_cbranch_execz .LBB10_35
; %bb.28:
	ds_read_b128 v[2:5], v9
	s_andn2_b64 vcc, exec, s[6:7]
	s_cbranch_vccnz .LBB10_30
; %bb.29:
	scratch_load_dwordx4 v[10:13], v8, off
	s_waitcnt vmcnt(0) lgkmcnt(0)
	v_mul_f64 v[6:7], v[4:5], v[12:13]
	v_mul_f64 v[12:13], v[2:3], v[12:13]
	v_fmac_f64_e32 v[12:13], v[4:5], v[10:11]
	v_fma_f64 v[2:3], v[2:3], v[10:11], -v[6:7]
	v_mov_b64_e32 v[4:5], v[12:13]
.LBB10_30:
	s_and_saveexec_b64 s[8:9], s[0:1]
	s_cbranch_execz .LBB10_34
; %bb.31:
	v_mov_b32_e32 v7, 0
	v_add_u32_e32 v6, -7, v0
	v_add_u32_e32 v7, 0x78, v7
	s_movk_i32 s10, 0x120
	s_mov_b64 s[0:1], 0
.LBB10_32:                              ; =>This Inner Loop Header: Depth=1
	v_add_u32_e32 v10, -8, v7
	scratch_load_dwordx4 v[10:13], v10, off
	v_mov_b32_e32 v46, s10
	ds_read_b128 v[46:49], v46
	v_add_u32_e32 v6, -1, v6
	s_add_i32 s10, s10, 16
	v_cmp_eq_u32_e32 vcc, 0, v6
	v_add_u32_e32 v7, 16, v7
	s_or_b64 s[0:1], vcc, s[0:1]
	s_waitcnt vmcnt(0) lgkmcnt(0)
	v_mul_f64 v[50:51], v[48:49], v[12:13]
	v_mul_f64 v[12:13], v[46:47], v[12:13]
	v_fma_f64 v[46:47], v[46:47], v[10:11], -v[50:51]
	v_fmac_f64_e32 v[12:13], v[48:49], v[10:11]
	v_add_f64 v[2:3], v[2:3], v[46:47]
	v_add_f64 v[4:5], v[4:5], v[12:13]
	s_andn2_b64 exec, exec, s[0:1]
	s_cbranch_execnz .LBB10_32
; %bb.33:
	s_or_b64 exec, exec, s[0:1]
.LBB10_34:
	s_or_b64 exec, exec, s[8:9]
	v_mov_b32_e32 v6, 0
	ds_read_b128 v[10:13], v6 offset:96
	s_waitcnt lgkmcnt(0)
	v_mul_f64 v[6:7], v[4:5], v[12:13]
	v_mul_f64 v[48:49], v[2:3], v[12:13]
	v_fma_f64 v[46:47], v[2:3], v[10:11], -v[6:7]
	v_fmac_f64_e32 v[48:49], v[4:5], v[10:11]
	scratch_store_dwordx4 off, v[46:49], off offset:96
.LBB10_35:
	;; [unrolled: 63-line block ×7, first 2 shown]
	s_or_b64 exec, exec, s[4:5]
	scratch_load_dwordx4 v[2:5], off, off
	v_cmp_ne_u32_e32 vcc, 0, v0
	s_mov_b64 s[2:3], 0
	s_mov_b64 s[4:5], 0
                                        ; implicit-def: $vgpr6_vgpr7
                                        ; implicit-def: $vgpr10
	s_waitcnt vmcnt(0)
	ds_write_b128 v9, v[2:5]
	s_waitcnt lgkmcnt(0)
	; wave barrier
	s_waitcnt lgkmcnt(0)
	s_and_saveexec_b64 s[8:9], vcc
	s_cbranch_execz .LBB10_83
; %bb.76:
	ds_read_b128 v[2:5], v9
	s_andn2_b64 vcc, exec, s[6:7]
	s_cbranch_vccnz .LBB10_78
; %bb.77:
	scratch_load_dwordx4 v[10:13], v8, off
	s_waitcnt vmcnt(0) lgkmcnt(0)
	v_mul_f64 v[6:7], v[4:5], v[12:13]
	v_mul_f64 v[12:13], v[2:3], v[12:13]
	v_fmac_f64_e32 v[12:13], v[4:5], v[10:11]
	v_fma_f64 v[2:3], v[2:3], v[10:11], -v[6:7]
	v_mov_b64_e32 v[4:5], v[12:13]
.LBB10_78:
	s_and_saveexec_b64 s[4:5], s[0:1]
	s_cbranch_execz .LBB10_82
; %bb.79:
	v_mov_b32_e32 v7, 0
	v_add_u32_e32 v6, -1, v0
	v_add_u32_e32 v7, 24, v7
	s_movk_i32 s10, 0xc0
	s_mov_b64 s[0:1], 0
.LBB10_80:                              ; =>This Inner Loop Header: Depth=1
	v_add_u32_e32 v10, -8, v7
	scratch_load_dwordx4 v[10:13], v10, off
	v_mov_b32_e32 v46, s10
	ds_read_b128 v[46:49], v46
	v_add_u32_e32 v6, -1, v6
	s_add_i32 s10, s10, 16
	v_cmp_eq_u32_e32 vcc, 0, v6
	v_add_u32_e32 v7, 16, v7
	s_or_b64 s[0:1], vcc, s[0:1]
	s_waitcnt vmcnt(0) lgkmcnt(0)
	v_mul_f64 v[50:51], v[48:49], v[12:13]
	v_mul_f64 v[12:13], v[46:47], v[12:13]
	v_fma_f64 v[46:47], v[46:47], v[10:11], -v[50:51]
	v_fmac_f64_e32 v[12:13], v[48:49], v[10:11]
	v_add_f64 v[2:3], v[2:3], v[46:47]
	v_add_f64 v[4:5], v[4:5], v[12:13]
	s_andn2_b64 exec, exec, s[0:1]
	s_cbranch_execnz .LBB10_80
; %bb.81:
	s_or_b64 exec, exec, s[0:1]
.LBB10_82:
	s_or_b64 exec, exec, s[4:5]
	v_mov_b32_e32 v6, 0
	ds_read_b128 v[46:49], v6
	v_mov_b32_e32 v6, 0
	v_or_b32_e32 v10, 8, v6
	s_mov_b64 s[4:5], exec
	s_waitcnt lgkmcnt(0)
	v_mul_f64 v[12:13], v[4:5], v[48:49]
	v_mul_f64 v[6:7], v[2:3], v[48:49]
	v_fma_f64 v[2:3], v[2:3], v[46:47], -v[12:13]
	v_fmac_f64_e32 v[6:7], v[4:5], v[46:47]
	scratch_store_dwordx2 off, v[2:3], off
.LBB10_83:
	s_or_b64 exec, exec, s[8:9]
	s_and_b64 vcc, exec, s[2:3]
	s_cbranch_vccnz .LBB10_85
	s_branch .LBB10_160
.LBB10_84:
	s_mov_b64 s[4:5], 0
                                        ; implicit-def: $vgpr6_vgpr7
                                        ; implicit-def: $vgpr10
	s_cbranch_execz .LBB10_160
.LBB10_85:
	scratch_load_dwordx4 v[2:5], v38, off
	v_cndmask_b32_e64 v6, 0, 1, s[6:7]
	v_cmp_eq_u32_e64 s[2:3], 0, v0
	v_cmp_ne_u32_e64 s[0:1], 1, v6
	s_waitcnt vmcnt(0)
	ds_write_b128 v9, v[2:5]
	s_waitcnt lgkmcnt(0)
	; wave barrier
	s_waitcnt lgkmcnt(0)
	s_and_saveexec_b64 s[6:7], s[2:3]
	s_cbranch_execz .LBB10_89
; %bb.86:
	ds_read_b128 v[2:5], v9
	s_and_b64 vcc, exec, s[0:1]
	s_cbranch_vccnz .LBB10_88
; %bb.87:
	scratch_load_dwordx4 v[10:13], v8, off
	s_waitcnt vmcnt(0) lgkmcnt(0)
	v_mul_f64 v[6:7], v[4:5], v[12:13]
	v_mul_f64 v[12:13], v[2:3], v[12:13]
	v_fmac_f64_e32 v[12:13], v[4:5], v[10:11]
	v_fma_f64 v[2:3], v[2:3], v[10:11], -v[6:7]
	v_mov_b64_e32 v[4:5], v[12:13]
.LBB10_88:
	v_mov_b32_e32 v6, 0
	ds_read_b128 v[10:13], v6 offset:16
	s_waitcnt lgkmcnt(0)
	v_mul_f64 v[6:7], v[4:5], v[12:13]
	v_mul_f64 v[48:49], v[2:3], v[12:13]
	v_fma_f64 v[46:47], v[2:3], v[10:11], -v[6:7]
	v_fmac_f64_e32 v[48:49], v[4:5], v[10:11]
	scratch_store_dwordx4 off, v[46:49], off offset:16
.LBB10_89:
	s_or_b64 exec, exec, s[6:7]
	scratch_load_dwordx4 v[2:5], v41, off
	v_cmp_gt_u32_e32 vcc, 2, v0
	s_waitcnt vmcnt(0)
	ds_write_b128 v9, v[2:5]
	s_waitcnt lgkmcnt(0)
	; wave barrier
	s_waitcnt lgkmcnt(0)
	s_and_saveexec_b64 s[6:7], vcc
	s_cbranch_execz .LBB10_95
; %bb.90:
	ds_read_b128 v[2:5], v9
	s_and_b64 vcc, exec, s[0:1]
	s_cbranch_vccnz .LBB10_92
; %bb.91:
	scratch_load_dwordx4 v[10:13], v8, off
	s_waitcnt vmcnt(0) lgkmcnt(0)
	v_mul_f64 v[6:7], v[4:5], v[12:13]
	v_mul_f64 v[12:13], v[2:3], v[12:13]
	v_fmac_f64_e32 v[12:13], v[4:5], v[10:11]
	v_fma_f64 v[2:3], v[2:3], v[10:11], -v[6:7]
	v_mov_b64_e32 v[4:5], v[12:13]
.LBB10_92:
	s_and_saveexec_b64 s[8:9], s[2:3]
	s_cbranch_execz .LBB10_94
; %bb.93:
	scratch_load_dwordx4 v[10:13], v8, off offset:16
	ds_read_b128 v[46:49], v9 offset:16
	s_waitcnt vmcnt(0) lgkmcnt(0)
	v_mul_f64 v[6:7], v[48:49], v[12:13]
	v_mul_f64 v[12:13], v[46:47], v[12:13]
	v_fma_f64 v[6:7], v[46:47], v[10:11], -v[6:7]
	v_fmac_f64_e32 v[12:13], v[48:49], v[10:11]
	v_add_f64 v[2:3], v[2:3], v[6:7]
	v_add_f64 v[4:5], v[4:5], v[12:13]
.LBB10_94:
	s_or_b64 exec, exec, s[8:9]
	v_mov_b32_e32 v6, 0
	ds_read_b128 v[10:13], v6 offset:32
	s_waitcnt lgkmcnt(0)
	v_mul_f64 v[6:7], v[4:5], v[12:13]
	v_mul_f64 v[48:49], v[2:3], v[12:13]
	v_fma_f64 v[46:47], v[2:3], v[10:11], -v[6:7]
	v_fmac_f64_e32 v[48:49], v[4:5], v[10:11]
	scratch_store_dwordx4 off, v[46:49], off offset:32
.LBB10_95:
	s_or_b64 exec, exec, s[6:7]
	scratch_load_dwordx4 v[2:5], v39, off
	v_cmp_gt_u32_e32 vcc, 3, v0
	s_waitcnt vmcnt(0)
	ds_write_b128 v9, v[2:5]
	s_waitcnt lgkmcnt(0)
	; wave barrier
	s_waitcnt lgkmcnt(0)
	s_and_saveexec_b64 s[6:7], vcc
	s_cbranch_execz .LBB10_103
; %bb.96:
	ds_read_b128 v[2:5], v9
	s_and_b64 vcc, exec, s[0:1]
	s_cbranch_vccnz .LBB10_98
; %bb.97:
	scratch_load_dwordx4 v[10:13], v8, off
	s_waitcnt vmcnt(0) lgkmcnt(0)
	v_mul_f64 v[6:7], v[4:5], v[12:13]
	v_mul_f64 v[12:13], v[2:3], v[12:13]
	v_fmac_f64_e32 v[12:13], v[4:5], v[10:11]
	v_fma_f64 v[2:3], v[2:3], v[10:11], -v[6:7]
	v_mov_b64_e32 v[4:5], v[12:13]
.LBB10_98:
	v_cmp_ne_u32_e32 vcc, 2, v0
	s_and_saveexec_b64 s[8:9], vcc
	s_cbranch_execz .LBB10_102
; %bb.99:
	scratch_load_dwordx4 v[10:13], v8, off offset:16
	ds_read_b128 v[46:49], v9 offset:16
	s_waitcnt vmcnt(0) lgkmcnt(0)
	v_mul_f64 v[6:7], v[48:49], v[12:13]
	v_mul_f64 v[12:13], v[46:47], v[12:13]
	v_fma_f64 v[6:7], v[46:47], v[10:11], -v[6:7]
	v_fmac_f64_e32 v[12:13], v[48:49], v[10:11]
	v_add_f64 v[2:3], v[2:3], v[6:7]
	v_add_f64 v[4:5], v[4:5], v[12:13]
	s_and_saveexec_b64 s[10:11], s[2:3]
	s_cbranch_execz .LBB10_101
; %bb.100:
	scratch_load_dwordx4 v[10:13], off, off offset:32
	v_mov_b32_e32 v6, 0
	ds_read_b128 v[46:49], v6 offset:208
	s_waitcnt vmcnt(0) lgkmcnt(0)
	v_mul_f64 v[6:7], v[46:47], v[12:13]
	v_mul_f64 v[12:13], v[48:49], v[12:13]
	v_fmac_f64_e32 v[6:7], v[48:49], v[10:11]
	v_fma_f64 v[10:11], v[46:47], v[10:11], -v[12:13]
	v_add_f64 v[4:5], v[4:5], v[6:7]
	v_add_f64 v[2:3], v[2:3], v[10:11]
.LBB10_101:
	s_or_b64 exec, exec, s[10:11]
.LBB10_102:
	s_or_b64 exec, exec, s[8:9]
	v_mov_b32_e32 v6, 0
	ds_read_b128 v[10:13], v6 offset:48
	s_waitcnt lgkmcnt(0)
	v_mul_f64 v[6:7], v[4:5], v[12:13]
	v_mul_f64 v[48:49], v[2:3], v[12:13]
	v_fma_f64 v[46:47], v[2:3], v[10:11], -v[6:7]
	v_fmac_f64_e32 v[48:49], v[4:5], v[10:11]
	scratch_store_dwordx4 off, v[46:49], off offset:48
.LBB10_103:
	s_or_b64 exec, exec, s[6:7]
	scratch_load_dwordx4 v[2:5], v42, off
	v_cmp_gt_u32_e32 vcc, 4, v0
	s_waitcnt vmcnt(0)
	ds_write_b128 v9, v[2:5]
	s_waitcnt lgkmcnt(0)
	; wave barrier
	s_waitcnt lgkmcnt(0)
	s_and_saveexec_b64 s[2:3], vcc
	s_cbranch_execz .LBB10_111
; %bb.104:
	ds_read_b128 v[2:5], v9
	s_and_b64 vcc, exec, s[0:1]
	s_cbranch_vccnz .LBB10_106
; %bb.105:
	scratch_load_dwordx4 v[10:13], v8, off
	s_waitcnt vmcnt(0) lgkmcnt(0)
	v_mul_f64 v[6:7], v[4:5], v[12:13]
	v_mul_f64 v[12:13], v[2:3], v[12:13]
	v_fmac_f64_e32 v[12:13], v[4:5], v[10:11]
	v_fma_f64 v[2:3], v[2:3], v[10:11], -v[6:7]
	v_mov_b64_e32 v[4:5], v[12:13]
.LBB10_106:
	v_cmp_ne_u32_e32 vcc, 3, v0
	s_and_saveexec_b64 s[6:7], vcc
	s_cbranch_execz .LBB10_110
; %bb.107:
	v_mov_b32_e32 v7, 0
	v_add_u32_e32 v6, 0xc0, v36
	v_add3_u32 v7, v36, v7, 24
	s_mov_b64 s[8:9], 0
	v_mov_b32_e32 v10, v0
.LBB10_108:                             ; =>This Inner Loop Header: Depth=1
	v_add_u32_e32 v11, -8, v7
	scratch_load_dwordx4 v[46:49], v11, off
	ds_read_b128 v[50:53], v6
	v_add_u32_e32 v10, 1, v10
	v_cmp_lt_u32_e32 vcc, 2, v10
	v_add_u32_e32 v6, 16, v6
	v_add_u32_e32 v7, 16, v7
	s_or_b64 s[8:9], vcc, s[8:9]
	s_waitcnt vmcnt(0) lgkmcnt(0)
	v_mul_f64 v[12:13], v[52:53], v[48:49]
	v_mul_f64 v[48:49], v[50:51], v[48:49]
	v_fma_f64 v[12:13], v[50:51], v[46:47], -v[12:13]
	v_fmac_f64_e32 v[48:49], v[52:53], v[46:47]
	v_add_f64 v[2:3], v[2:3], v[12:13]
	v_add_f64 v[4:5], v[4:5], v[48:49]
	s_andn2_b64 exec, exec, s[8:9]
	s_cbranch_execnz .LBB10_108
; %bb.109:
	s_or_b64 exec, exec, s[8:9]
.LBB10_110:
	s_or_b64 exec, exec, s[6:7]
	v_mov_b32_e32 v6, 0
	ds_read_b128 v[10:13], v6 offset:64
	s_waitcnt lgkmcnt(0)
	v_mul_f64 v[6:7], v[4:5], v[12:13]
	v_mul_f64 v[48:49], v[2:3], v[12:13]
	v_fma_f64 v[46:47], v[2:3], v[10:11], -v[6:7]
	v_fmac_f64_e32 v[48:49], v[4:5], v[10:11]
	scratch_store_dwordx4 off, v[46:49], off offset:64
.LBB10_111:
	s_or_b64 exec, exec, s[2:3]
	scratch_load_dwordx4 v[2:5], v44, off
	v_cmp_gt_u32_e32 vcc, 5, v0
	s_waitcnt vmcnt(0)
	ds_write_b128 v9, v[2:5]
	s_waitcnt lgkmcnt(0)
	; wave barrier
	s_waitcnt lgkmcnt(0)
	s_and_saveexec_b64 s[2:3], vcc
	s_cbranch_execz .LBB10_119
; %bb.112:
	ds_read_b128 v[2:5], v9
	s_and_b64 vcc, exec, s[0:1]
	s_cbranch_vccnz .LBB10_114
; %bb.113:
	scratch_load_dwordx4 v[10:13], v8, off
	s_waitcnt vmcnt(0) lgkmcnt(0)
	v_mul_f64 v[6:7], v[4:5], v[12:13]
	v_mul_f64 v[12:13], v[2:3], v[12:13]
	v_fmac_f64_e32 v[12:13], v[4:5], v[10:11]
	v_fma_f64 v[2:3], v[2:3], v[10:11], -v[6:7]
	v_mov_b64_e32 v[4:5], v[12:13]
.LBB10_114:
	v_cmp_ne_u32_e32 vcc, 4, v0
	s_and_saveexec_b64 s[6:7], vcc
	s_cbranch_execz .LBB10_118
; %bb.115:
	v_mov_b32_e32 v7, 0
	v_add_u32_e32 v6, 0xc0, v36
	v_add3_u32 v7, v36, v7, 24
	s_mov_b64 s[8:9], 0
	v_mov_b32_e32 v10, v0
.LBB10_116:                             ; =>This Inner Loop Header: Depth=1
	v_add_u32_e32 v11, -8, v7
	scratch_load_dwordx4 v[46:49], v11, off
	ds_read_b128 v[50:53], v6
	v_add_u32_e32 v10, 1, v10
	v_cmp_lt_u32_e32 vcc, 3, v10
	v_add_u32_e32 v6, 16, v6
	v_add_u32_e32 v7, 16, v7
	s_or_b64 s[8:9], vcc, s[8:9]
	s_waitcnt vmcnt(0) lgkmcnt(0)
	v_mul_f64 v[12:13], v[52:53], v[48:49]
	v_mul_f64 v[48:49], v[50:51], v[48:49]
	v_fma_f64 v[12:13], v[50:51], v[46:47], -v[12:13]
	v_fmac_f64_e32 v[48:49], v[52:53], v[46:47]
	v_add_f64 v[2:3], v[2:3], v[12:13]
	v_add_f64 v[4:5], v[4:5], v[48:49]
	s_andn2_b64 exec, exec, s[8:9]
	s_cbranch_execnz .LBB10_116
; %bb.117:
	s_or_b64 exec, exec, s[8:9]
.LBB10_118:
	s_or_b64 exec, exec, s[6:7]
	v_mov_b32_e32 v6, 0
	ds_read_b128 v[10:13], v6 offset:80
	s_waitcnt lgkmcnt(0)
	v_mul_f64 v[6:7], v[4:5], v[12:13]
	v_mul_f64 v[48:49], v[2:3], v[12:13]
	v_fma_f64 v[46:47], v[2:3], v[10:11], -v[6:7]
	v_fmac_f64_e32 v[48:49], v[4:5], v[10:11]
	scratch_store_dwordx4 off, v[46:49], off offset:80
.LBB10_119:
	;; [unrolled: 63-line block ×5, first 2 shown]
	s_or_b64 exec, exec, s[2:3]
	scratch_load_dwordx4 v[2:5], v1, off
	v_cmp_gt_u32_e64 s[2:3], 9, v0
	s_waitcnt vmcnt(0)
	ds_write_b128 v9, v[2:5]
	s_waitcnt lgkmcnt(0)
	; wave barrier
	s_waitcnt lgkmcnt(0)
	s_and_saveexec_b64 s[6:7], s[2:3]
	s_cbranch_execz .LBB10_151
; %bb.144:
	ds_read_b128 v[2:5], v9
	s_and_b64 vcc, exec, s[0:1]
	s_cbranch_vccnz .LBB10_146
; %bb.145:
	scratch_load_dwordx4 v[10:13], v8, off
	s_waitcnt vmcnt(0) lgkmcnt(0)
	v_mul_f64 v[6:7], v[4:5], v[12:13]
	v_mul_f64 v[12:13], v[2:3], v[12:13]
	v_fmac_f64_e32 v[12:13], v[4:5], v[10:11]
	v_fma_f64 v[2:3], v[2:3], v[10:11], -v[6:7]
	v_mov_b64_e32 v[4:5], v[12:13]
.LBB10_146:
	v_cmp_ne_u32_e32 vcc, 8, v0
	s_and_saveexec_b64 s[8:9], vcc
	s_cbranch_execz .LBB10_150
; %bb.147:
	v_mov_b32_e32 v7, 0
	v_add_u32_e32 v6, 0xc0, v36
	v_add3_u32 v7, v36, v7, 24
	s_mov_b64 s[10:11], 0
	v_mov_b32_e32 v10, v0
.LBB10_148:                             ; =>This Inner Loop Header: Depth=1
	v_add_u32_e32 v11, -8, v7
	scratch_load_dwordx4 v[46:49], v11, off
	ds_read_b128 v[50:53], v6
	v_add_u32_e32 v10, 1, v10
	v_cmp_lt_u32_e32 vcc, 7, v10
	v_add_u32_e32 v6, 16, v6
	v_add_u32_e32 v7, 16, v7
	s_or_b64 s[10:11], vcc, s[10:11]
	s_waitcnt vmcnt(0) lgkmcnt(0)
	v_mul_f64 v[12:13], v[52:53], v[48:49]
	v_mul_f64 v[48:49], v[50:51], v[48:49]
	v_fma_f64 v[12:13], v[50:51], v[46:47], -v[12:13]
	v_fmac_f64_e32 v[48:49], v[52:53], v[46:47]
	v_add_f64 v[2:3], v[2:3], v[12:13]
	v_add_f64 v[4:5], v[4:5], v[48:49]
	s_andn2_b64 exec, exec, s[10:11]
	s_cbranch_execnz .LBB10_148
; %bb.149:
	s_or_b64 exec, exec, s[10:11]
.LBB10_150:
	s_or_b64 exec, exec, s[8:9]
	v_mov_b32_e32 v6, 0
	ds_read_b128 v[10:13], v6 offset:144
	s_waitcnt lgkmcnt(0)
	v_mul_f64 v[6:7], v[4:5], v[12:13]
	v_mul_f64 v[48:49], v[2:3], v[12:13]
	v_fma_f64 v[46:47], v[2:3], v[10:11], -v[6:7]
	v_fmac_f64_e32 v[48:49], v[4:5], v[10:11]
	scratch_store_dwordx4 off, v[46:49], off offset:144
.LBB10_151:
	s_or_b64 exec, exec, s[6:7]
	scratch_load_dwordx4 v[2:5], v37, off
	v_cmp_ne_u32_e32 vcc, 10, v0
                                        ; implicit-def: $vgpr6_vgpr7
                                        ; implicit-def: $vgpr10
	s_waitcnt vmcnt(0)
	ds_write_b128 v9, v[2:5]
	s_waitcnt lgkmcnt(0)
	; wave barrier
	s_waitcnt lgkmcnt(0)
	s_and_saveexec_b64 s[6:7], vcc
	s_cbranch_execz .LBB10_159
; %bb.152:
	ds_read_b128 v[2:5], v9
	s_and_b64 vcc, exec, s[0:1]
	s_cbranch_vccnz .LBB10_154
; %bb.153:
	scratch_load_dwordx4 v[6:9], v8, off
	s_waitcnt vmcnt(0) lgkmcnt(0)
	v_mul_f64 v[10:11], v[4:5], v[8:9]
	v_mul_f64 v[8:9], v[2:3], v[8:9]
	v_fmac_f64_e32 v[8:9], v[4:5], v[6:7]
	v_fma_f64 v[2:3], v[2:3], v[6:7], -v[10:11]
	v_mov_b64_e32 v[4:5], v[8:9]
.LBB10_154:
	s_and_saveexec_b64 s[0:1], s[2:3]
	s_cbranch_execz .LBB10_158
; %bb.155:
	v_mov_b32_e32 v7, 0
	v_add_u32_e32 v6, 0xc0, v36
	v_add3_u32 v7, v36, v7, 24
	s_mov_b64 s[2:3], 0
.LBB10_156:                             ; =>This Inner Loop Header: Depth=1
	v_add_u32_e32 v8, -8, v7
	scratch_load_dwordx4 v[8:11], v8, off
	ds_read_b128 v[46:49], v6
	v_add_u32_e32 v0, 1, v0
	v_cmp_lt_u32_e32 vcc, 8, v0
	v_add_u32_e32 v6, 16, v6
	v_add_u32_e32 v7, 16, v7
	s_or_b64 s[2:3], vcc, s[2:3]
	s_waitcnt vmcnt(0) lgkmcnt(0)
	v_mul_f64 v[12:13], v[48:49], v[10:11]
	v_mul_f64 v[10:11], v[46:47], v[10:11]
	v_fma_f64 v[12:13], v[46:47], v[8:9], -v[12:13]
	v_fmac_f64_e32 v[10:11], v[48:49], v[8:9]
	v_add_f64 v[2:3], v[2:3], v[12:13]
	v_add_f64 v[4:5], v[4:5], v[10:11]
	s_andn2_b64 exec, exec, s[2:3]
	s_cbranch_execnz .LBB10_156
; %bb.157:
	s_or_b64 exec, exec, s[2:3]
.LBB10_158:
	s_or_b64 exec, exec, s[0:1]
	v_mov_b32_e32 v0, 0
	ds_read_b128 v[46:49], v0 offset:160
	v_mov_b32_e32 v0, 0
	v_add_u32_e32 v10, 0xa8, v0
	s_or_b64 s[4:5], s[4:5], exec
	s_waitcnt lgkmcnt(0)
	v_mul_f64 v[8:9], v[4:5], v[48:49]
	v_mul_f64 v[6:7], v[2:3], v[48:49]
	v_fma_f64 v[2:3], v[2:3], v[46:47], -v[8:9]
	v_fmac_f64_e32 v[6:7], v[4:5], v[46:47]
	scratch_store_dwordx2 off, v[2:3], off offset:160
.LBB10_159:
	s_or_b64 exec, exec, s[6:7]
.LBB10_160:
	s_and_saveexec_b64 s[0:1], s[4:5]
	s_cbranch_execz .LBB10_162
; %bb.161:
	scratch_store_dwordx2 v10, v[6:7], off
.LBB10_162:
	s_or_b64 exec, exec, s[0:1]
	scratch_load_dwordx4 v[2:5], off, off
	scratch_load_dwordx4 v[6:9], v38, off
	scratch_load_dwordx4 v[10:13], v41, off
	scratch_load_dwordx4 v[46:49], v39, off
	scratch_load_dwordx4 v[50:53], v42, off
	scratch_load_dwordx4 v[54:57], v44, off
	scratch_load_dwordx4 v[58:61], v43, off
	scratch_load_dwordx4 v[62:65], v45, off
                                        ; kill: killed $vgpr44
                                        ; kill: killed $vgpr45
                                        ; kill: killed $vgpr41
                                        ; kill: killed $vgpr42
                                        ; kill: killed $vgpr43
                                        ; kill: killed $vgpr38
                                        ; kill: killed $vgpr39
	s_nop 0
	scratch_load_dwordx4 v[38:41], v40, off
	s_waitcnt vmcnt(8)
	global_store_dwordx4 v[16:17], v[2:5], off
	scratch_load_dwordx4 v[2:5], v1, off
	s_nop 0
	scratch_load_dwordx4 v[42:45], v37, off
	s_waitcnt vmcnt(10)
	global_store_dwordx4 v[14:15], v[6:9], off
	s_waitcnt vmcnt(10)
	global_store_dwordx4 v[18:19], v[10:13], off
	;; [unrolled: 2-line block ×10, first 2 shown]
.LBB10_163:
	s_endpgm
	.section	.rodata,"a",@progbits
	.p2align	6, 0x0
	.amdhsa_kernel _ZN9rocsolver6v33100L18trti2_kernel_smallILi11E19rocblas_complex_numIdEPS3_EEv13rocblas_fill_17rocblas_diagonal_T1_iil
		.amdhsa_group_segment_fixed_size 352
		.amdhsa_private_segment_fixed_size 192
		.amdhsa_kernarg_size 32
		.amdhsa_user_sgpr_count 2
		.amdhsa_user_sgpr_dispatch_ptr 0
		.amdhsa_user_sgpr_queue_ptr 0
		.amdhsa_user_sgpr_kernarg_segment_ptr 1
		.amdhsa_user_sgpr_dispatch_id 0
		.amdhsa_user_sgpr_kernarg_preload_length 0
		.amdhsa_user_sgpr_kernarg_preload_offset 0
		.amdhsa_user_sgpr_private_segment_size 0
		.amdhsa_uses_dynamic_stack 0
		.amdhsa_enable_private_segment 1
		.amdhsa_system_sgpr_workgroup_id_x 1
		.amdhsa_system_sgpr_workgroup_id_y 0
		.amdhsa_system_sgpr_workgroup_id_z 0
		.amdhsa_system_sgpr_workgroup_info 0
		.amdhsa_system_vgpr_workitem_id 0
		.amdhsa_next_free_vgpr 66
		.amdhsa_next_free_sgpr 12
		.amdhsa_accum_offset 68
		.amdhsa_reserve_vcc 1
		.amdhsa_float_round_mode_32 0
		.amdhsa_float_round_mode_16_64 0
		.amdhsa_float_denorm_mode_32 3
		.amdhsa_float_denorm_mode_16_64 3
		.amdhsa_dx10_clamp 1
		.amdhsa_ieee_mode 1
		.amdhsa_fp16_overflow 0
		.amdhsa_tg_split 0
		.amdhsa_exception_fp_ieee_invalid_op 0
		.amdhsa_exception_fp_denorm_src 0
		.amdhsa_exception_fp_ieee_div_zero 0
		.amdhsa_exception_fp_ieee_overflow 0
		.amdhsa_exception_fp_ieee_underflow 0
		.amdhsa_exception_fp_ieee_inexact 0
		.amdhsa_exception_int_div_zero 0
	.end_amdhsa_kernel
	.section	.text._ZN9rocsolver6v33100L18trti2_kernel_smallILi11E19rocblas_complex_numIdEPS3_EEv13rocblas_fill_17rocblas_diagonal_T1_iil,"axG",@progbits,_ZN9rocsolver6v33100L18trti2_kernel_smallILi11E19rocblas_complex_numIdEPS3_EEv13rocblas_fill_17rocblas_diagonal_T1_iil,comdat
.Lfunc_end10:
	.size	_ZN9rocsolver6v33100L18trti2_kernel_smallILi11E19rocblas_complex_numIdEPS3_EEv13rocblas_fill_17rocblas_diagonal_T1_iil, .Lfunc_end10-_ZN9rocsolver6v33100L18trti2_kernel_smallILi11E19rocblas_complex_numIdEPS3_EEv13rocblas_fill_17rocblas_diagonal_T1_iil
                                        ; -- End function
	.section	.AMDGPU.csdata,"",@progbits
; Kernel info:
; codeLenInByte = 7020
; NumSgprs: 18
; NumVgprs: 66
; NumAgprs: 0
; TotalNumVgprs: 66
; ScratchSize: 192
; MemoryBound: 0
; FloatMode: 240
; IeeeMode: 1
; LDSByteSize: 352 bytes/workgroup (compile time only)
; SGPRBlocks: 2
; VGPRBlocks: 8
; NumSGPRsForWavesPerEU: 18
; NumVGPRsForWavesPerEU: 66
; AccumOffset: 68
; Occupancy: 7
; WaveLimiterHint : 0
; COMPUTE_PGM_RSRC2:SCRATCH_EN: 1
; COMPUTE_PGM_RSRC2:USER_SGPR: 2
; COMPUTE_PGM_RSRC2:TRAP_HANDLER: 0
; COMPUTE_PGM_RSRC2:TGID_X_EN: 1
; COMPUTE_PGM_RSRC2:TGID_Y_EN: 0
; COMPUTE_PGM_RSRC2:TGID_Z_EN: 0
; COMPUTE_PGM_RSRC2:TIDIG_COMP_CNT: 0
; COMPUTE_PGM_RSRC3_GFX90A:ACCUM_OFFSET: 16
; COMPUTE_PGM_RSRC3_GFX90A:TG_SPLIT: 0
	.section	.text._ZN9rocsolver6v33100L18trti2_kernel_smallILi12E19rocblas_complex_numIdEPS3_EEv13rocblas_fill_17rocblas_diagonal_T1_iil,"axG",@progbits,_ZN9rocsolver6v33100L18trti2_kernel_smallILi12E19rocblas_complex_numIdEPS3_EEv13rocblas_fill_17rocblas_diagonal_T1_iil,comdat
	.globl	_ZN9rocsolver6v33100L18trti2_kernel_smallILi12E19rocblas_complex_numIdEPS3_EEv13rocblas_fill_17rocblas_diagonal_T1_iil ; -- Begin function _ZN9rocsolver6v33100L18trti2_kernel_smallILi12E19rocblas_complex_numIdEPS3_EEv13rocblas_fill_17rocblas_diagonal_T1_iil
	.p2align	8
	.type	_ZN9rocsolver6v33100L18trti2_kernel_smallILi12E19rocblas_complex_numIdEPS3_EEv13rocblas_fill_17rocblas_diagonal_T1_iil,@function
_ZN9rocsolver6v33100L18trti2_kernel_smallILi12E19rocblas_complex_numIdEPS3_EEv13rocblas_fill_17rocblas_diagonal_T1_iil: ; @_ZN9rocsolver6v33100L18trti2_kernel_smallILi12E19rocblas_complex_numIdEPS3_EEv13rocblas_fill_17rocblas_diagonal_T1_iil
; %bb.0:
	v_cmp_gt_u32_e32 vcc, 12, v0
	s_and_saveexec_b64 s[4:5], vcc
	s_cbranch_execz .LBB11_179
; %bb.1:
	s_load_dwordx8 s[4:11], s[0:1], 0x0
	s_ashr_i32 s3, s2, 31
	v_lshlrev_b32_e32 v38, 4, v0
	v_mov_b32_e32 v39, 0
	s_waitcnt lgkmcnt(0)
	s_ashr_i32 s1, s8, 31
	s_mov_b32 s0, s8
	s_mul_i32 s8, s2, s11
	s_mul_hi_u32 s11, s2, s10
	s_add_i32 s8, s11, s8
	s_mul_i32 s3, s3, s10
	s_add_i32 s3, s8, s3
	s_mul_i32 s2, s2, s10
	s_lshl_b64 s[2:3], s[2:3], 4
	s_add_u32 s2, s6, s2
	s_addc_u32 s3, s7, s3
	s_lshl_b64 s[0:1], s[0:1], 4
	s_add_u32 s0, s2, s0
	s_addc_u32 s1, s3, s1
	v_lshl_add_u64 v[16:17], s[0:1], 0, v[38:39]
	s_ashr_i32 s3, s9, 31
	s_mov_b32 s2, s9
	v_lshl_add_u64 v[14:15], s[2:3], 4, v[16:17]
	s_add_i32 s2, s9, s9
	v_add_u32_e32 v20, s2, v0
	v_ashrrev_i32_e32 v21, 31, v20
	v_add_u32_e32 v22, s9, v20
	global_load_dwordx4 v[2:5], v38, s[0:1]
	global_load_dwordx4 v[6:9], v[14:15], off
	v_lshl_add_u64 v[18:19], v[20:21], 4, s[0:1]
	v_ashrrev_i32_e32 v23, 31, v22
	global_load_dwordx4 v[10:13], v[18:19], off
	v_lshl_add_u64 v[20:21], v[22:23], 4, s[0:1]
	global_load_dwordx4 v[40:43], v[20:21], off
	v_add_u32_e32 v22, s9, v22
	v_add_u32_e32 v24, s9, v22
	;; [unrolled: 1-line block ×8, first 2 shown]
	v_ashrrev_i32_e32 v23, 31, v22
	v_ashrrev_i32_e32 v25, 31, v24
	;; [unrolled: 1-line block ×3, first 2 shown]
	v_lshl_add_u64 v[22:23], v[22:23], 4, s[0:1]
	v_lshl_add_u64 v[24:25], v[24:25], 4, s[0:1]
	v_ashrrev_i32_e32 v27, 31, v26
	v_ashrrev_i32_e32 v29, 31, v28
	v_lshl_add_u64 v[32:33], v[32:33], 4, s[0:1]
	global_load_dwordx4 v[44:47], v[22:23], off
	v_lshl_add_u64 v[26:27], v[26:27], 4, s[0:1]
	global_load_dwordx4 v[48:51], v[24:25], off
	global_load_dwordx4 v[52:55], v[26:27], off
	v_lshl_add_u64 v[28:29], v[28:29], 4, s[0:1]
	v_ashrrev_i32_e32 v31, 31, v30
	v_ashrrev_i32_e32 v35, 31, v34
	global_load_dwordx4 v[56:59], v[32:33], off
	v_lshl_add_u64 v[30:31], v[30:31], 4, s[0:1]
	v_lshl_add_u64 v[34:35], v[34:35], 4, s[0:1]
	v_ashrrev_i32_e32 v37, 31, v36
	v_lshl_add_u64 v[36:37], v[36:37], 4, s[0:1]
	s_cmpk_lg_i32 s5, 0x84
	s_cselect_b64 s[6:7], -1, 0
	s_cmpk_eq_i32 s5, 0x84
	s_waitcnt vmcnt(7)
	scratch_store_dwordx4 off, v[2:5], off
	s_waitcnt vmcnt(7)
	scratch_store_dwordx4 off, v[6:9], off offset:16
	global_load_dwordx4 v[2:5], v[28:29], off
	s_nop 0
	global_load_dwordx4 v[6:9], v[30:31], off
	s_waitcnt vmcnt(9)
	scratch_store_dwordx4 off, v[10:13], off offset:32
	s_waitcnt vmcnt(9)
	scratch_store_dwordx4 off, v[40:43], off offset:48
	global_load_dwordx4 v[40:43], v[34:35], off
	s_nop 0
	global_load_dwordx4 v[60:63], v[36:37], off
	v_mov_b32_e32 v12, 0
	s_waitcnt vmcnt(11)
	scratch_store_dwordx4 off, v[44:47], off offset:64
	s_waitcnt vmcnt(11)
	scratch_store_dwordx4 off, v[48:51], off offset:80
	;; [unrolled: 2-line block ×7, first 2 shown]
	scratch_store_dwordx4 off, v[56:59], off offset:176
	s_cbranch_scc1 .LBB11_7
; %bb.2:
	scratch_load_dwordx4 v[2:5], v38, off
                                        ; implicit-def: $vgpr10_vgpr11
	s_waitcnt vmcnt(0)
	v_xor_b32_e32 v1, 0x80000000, v3
	v_cmp_gt_f64_e32 vcc, 0, v[2:3]
	v_xor_b32_e32 v8, 0x80000000, v5
	v_mov_b32_e32 v6, v2
	v_cndmask_b32_e32 v7, v3, v1, vcc
	v_cmp_gt_f64_e32 vcc, 0, v[4:5]
	s_nop 1
	v_cndmask_b32_e32 v9, v5, v8, vcc
	v_mov_b32_e32 v8, v4
	v_cmp_ngt_f64_e32 vcc, v[6:7], v[8:9]
                                        ; implicit-def: $vgpr6_vgpr7
	s_and_saveexec_b64 s[0:1], vcc
	s_xor_b64 s[0:1], exec, s[0:1]
	s_cbranch_execz .LBB11_4
; %bb.3:
	v_div_scale_f64 v[6:7], s[2:3], v[4:5], v[4:5], v[2:3]
	v_rcp_f64_e32 v[8:9], v[6:7]
	v_div_scale_f64 v[10:11], vcc, v[2:3], v[4:5], v[2:3]
	v_fma_f64 v[40:41], -v[6:7], v[8:9], 1.0
	v_fmac_f64_e32 v[8:9], v[8:9], v[40:41]
	v_fma_f64 v[40:41], -v[6:7], v[8:9], 1.0
	v_fmac_f64_e32 v[8:9], v[8:9], v[40:41]
	v_mul_f64 v[40:41], v[10:11], v[8:9]
	v_fma_f64 v[6:7], -v[6:7], v[40:41], v[10:11]
	v_div_fmas_f64 v[6:7], v[6:7], v[8:9], v[40:41]
	v_div_fixup_f64 v[6:7], v[6:7], v[4:5], v[2:3]
	v_fmac_f64_e32 v[4:5], v[2:3], v[6:7]
	v_div_scale_f64 v[2:3], s[2:3], v[4:5], v[4:5], 1.0
	v_rcp_f64_e32 v[8:9], v[2:3]
	s_nop 0
	v_fma_f64 v[10:11], -v[2:3], v[8:9], 1.0
	v_fmac_f64_e32 v[8:9], v[8:9], v[10:11]
	v_fma_f64 v[10:11], -v[2:3], v[8:9], 1.0
	v_fmac_f64_e32 v[8:9], v[8:9], v[10:11]
	v_div_scale_f64 v[10:11], vcc, 1.0, v[4:5], 1.0
	v_mul_f64 v[40:41], v[10:11], v[8:9]
	v_fma_f64 v[2:3], -v[2:3], v[40:41], v[10:11]
	s_nop 1
	v_div_fmas_f64 v[2:3], v[2:3], v[8:9], v[40:41]
	v_div_fixup_f64 v[8:9], v[2:3], v[4:5], 1.0
	v_mul_f64 v[6:7], v[6:7], v[8:9]
	v_xor_b32_e32 v9, 0x80000000, v9
	v_xor_b32_e32 v11, 0x80000000, v7
	v_mov_b32_e32 v10, v6
                                        ; implicit-def: $vgpr2_vgpr3
.LBB11_4:
	s_or_saveexec_b64 s[0:1], s[0:1]
	v_add_u32_e32 v1, 0, v38
	s_xor_b64 exec, exec, s[0:1]
	s_cbranch_execz .LBB11_6
; %bb.5:
	v_div_scale_f64 v[6:7], s[2:3], v[2:3], v[2:3], v[4:5]
	v_rcp_f64_e32 v[8:9], v[6:7]
	v_div_scale_f64 v[10:11], vcc, v[4:5], v[2:3], v[4:5]
	v_fma_f64 v[40:41], -v[6:7], v[8:9], 1.0
	v_fmac_f64_e32 v[8:9], v[8:9], v[40:41]
	v_fma_f64 v[40:41], -v[6:7], v[8:9], 1.0
	v_fmac_f64_e32 v[8:9], v[8:9], v[40:41]
	v_mul_f64 v[40:41], v[10:11], v[8:9]
	v_fma_f64 v[6:7], -v[6:7], v[40:41], v[10:11]
	v_div_fmas_f64 v[6:7], v[6:7], v[8:9], v[40:41]
	v_div_fixup_f64 v[8:9], v[6:7], v[2:3], v[4:5]
	v_fmac_f64_e32 v[2:3], v[4:5], v[8:9]
	v_div_scale_f64 v[4:5], s[2:3], v[2:3], v[2:3], 1.0
	v_rcp_f64_e32 v[6:7], v[4:5]
	s_nop 0
	v_fma_f64 v[10:11], -v[4:5], v[6:7], 1.0
	v_fmac_f64_e32 v[6:7], v[6:7], v[10:11]
	v_fma_f64 v[10:11], -v[4:5], v[6:7], 1.0
	v_fmac_f64_e32 v[6:7], v[6:7], v[10:11]
	v_div_scale_f64 v[10:11], vcc, 1.0, v[2:3], 1.0
	v_mul_f64 v[40:41], v[10:11], v[6:7]
	v_fma_f64 v[4:5], -v[4:5], v[40:41], v[10:11]
	s_nop 1
	v_div_fmas_f64 v[4:5], v[4:5], v[6:7], v[40:41]
	v_div_fixup_f64 v[6:7], v[4:5], v[2:3], 1.0
	v_xor_b32_e32 v11, 0x80000000, v7
	v_mov_b32_e32 v10, v6
	v_mul_f64 v[8:9], v[8:9], -v[6:7]
.LBB11_6:
	s_or_b64 exec, exec, s[0:1]
	scratch_store_dwordx4 v1, v[6:9], off
	s_nop 1
	v_xor_b32_e32 v9, 0x80000000, v9
	s_branch .LBB11_8
.LBB11_7:
	v_mov_b64_e32 v[8:9], 0
	v_mov_b64_e32 v[10:11], -1.0
.LBB11_8:
	v_add_u32_e32 v42, 16, v12
	v_add_u32_e32 v46, 32, v12
	;; [unrolled: 1-line block ×11, first 2 shown]
	v_mov_b32_e32 v12, v8
	v_mov_b32_e32 v13, v9
	s_cmpk_eq_i32 s4, 0x79
	v_add_u32_e32 v9, 0xc0, v38
	v_add_u32_e32 v8, 0, v38
	ds_write_b128 v38, v[10:13]
	s_cbranch_scc1 .LBB11_92
; %bb.9:
	scratch_load_dwordx4 v[2:5], v1, off
	v_cmp_eq_u32_e64 s[0:1], 11, v0
	s_waitcnt vmcnt(0)
	ds_write_b128 v9, v[2:5]
	s_waitcnt lgkmcnt(0)
	; wave barrier
	s_waitcnt lgkmcnt(0)
	s_and_saveexec_b64 s[2:3], s[0:1]
	s_cbranch_execz .LBB11_13
; %bb.10:
	ds_read_b128 v[2:5], v9
	s_andn2_b64 vcc, exec, s[6:7]
	s_cbranch_vccnz .LBB11_12
; %bb.11:
	scratch_load_dwordx4 v[10:13], v8, off
	s_waitcnt vmcnt(0) lgkmcnt(0)
	v_mul_f64 v[6:7], v[4:5], v[12:13]
	v_mul_f64 v[12:13], v[2:3], v[12:13]
	v_fmac_f64_e32 v[12:13], v[4:5], v[10:11]
	v_fma_f64 v[2:3], v[2:3], v[10:11], -v[6:7]
	v_mov_b64_e32 v[4:5], v[12:13]
.LBB11_12:
	v_mov_b32_e32 v6, 0
	ds_read_b128 v[10:13], v6 offset:160
	s_waitcnt lgkmcnt(0)
	v_mul_f64 v[6:7], v[4:5], v[12:13]
	v_mul_f64 v[52:53], v[2:3], v[12:13]
	v_fma_f64 v[50:51], v[2:3], v[10:11], -v[6:7]
	v_fmac_f64_e32 v[52:53], v[4:5], v[10:11]
	scratch_store_dwordx4 off, v[50:53], off offset:160
.LBB11_13:
	s_or_b64 exec, exec, s[2:3]
	scratch_load_dwordx4 v[2:5], v41, off
	v_cmp_lt_u32_e64 s[2:3], 9, v0
	s_waitcnt vmcnt(0)
	ds_write_b128 v9, v[2:5]
	s_waitcnt lgkmcnt(0)
	; wave barrier
	s_waitcnt lgkmcnt(0)
	s_and_saveexec_b64 s[4:5], s[2:3]
	s_cbranch_execz .LBB11_19
; %bb.14:
	ds_read_b128 v[2:5], v9
	s_andn2_b64 vcc, exec, s[6:7]
	s_cbranch_vccnz .LBB11_16
; %bb.15:
	scratch_load_dwordx4 v[10:13], v8, off
	s_waitcnt vmcnt(0) lgkmcnt(0)
	v_mul_f64 v[6:7], v[4:5], v[12:13]
	v_mul_f64 v[12:13], v[2:3], v[12:13]
	v_fmac_f64_e32 v[12:13], v[4:5], v[10:11]
	v_fma_f64 v[2:3], v[2:3], v[10:11], -v[6:7]
	v_mov_b64_e32 v[4:5], v[12:13]
.LBB11_16:
	s_and_saveexec_b64 s[8:9], s[0:1]
	s_cbranch_execz .LBB11_18
; %bb.17:
	scratch_load_dwordx4 v[10:13], off, off offset:160
	v_mov_b32_e32 v6, 0
	ds_read_b128 v[50:53], v6 offset:352
	s_waitcnt vmcnt(0) lgkmcnt(0)
	v_mul_f64 v[6:7], v[50:51], v[12:13]
	v_mul_f64 v[12:13], v[52:53], v[12:13]
	v_fmac_f64_e32 v[6:7], v[52:53], v[10:11]
	v_fma_f64 v[10:11], v[50:51], v[10:11], -v[12:13]
	v_add_f64 v[4:5], v[4:5], v[6:7]
	v_add_f64 v[2:3], v[2:3], v[10:11]
.LBB11_18:
	s_or_b64 exec, exec, s[8:9]
	v_mov_b32_e32 v6, 0
	ds_read_b128 v[10:13], v6 offset:144
	s_waitcnt lgkmcnt(0)
	v_mul_f64 v[6:7], v[4:5], v[12:13]
	v_mul_f64 v[52:53], v[2:3], v[12:13]
	v_fma_f64 v[50:51], v[2:3], v[10:11], -v[6:7]
	v_fmac_f64_e32 v[52:53], v[4:5], v[10:11]
	scratch_store_dwordx4 off, v[50:53], off offset:144
.LBB11_19:
	s_or_b64 exec, exec, s[4:5]
	scratch_load_dwordx4 v[2:5], v40, off
	v_cmp_lt_u32_e64 s[0:1], 8, v0
	s_waitcnt vmcnt(0)
	ds_write_b128 v9, v[2:5]
	s_waitcnt lgkmcnt(0)
	; wave barrier
	s_waitcnt lgkmcnt(0)
	s_and_saveexec_b64 s[4:5], s[0:1]
	s_cbranch_execz .LBB11_27
; %bb.20:
	ds_read_b128 v[2:5], v9
	s_andn2_b64 vcc, exec, s[6:7]
	s_cbranch_vccnz .LBB11_22
; %bb.21:
	scratch_load_dwordx4 v[10:13], v8, off
	s_waitcnt vmcnt(0) lgkmcnt(0)
	v_mul_f64 v[6:7], v[4:5], v[12:13]
	v_mul_f64 v[12:13], v[2:3], v[12:13]
	v_fmac_f64_e32 v[12:13], v[4:5], v[10:11]
	v_fma_f64 v[2:3], v[2:3], v[10:11], -v[6:7]
	v_mov_b64_e32 v[4:5], v[12:13]
.LBB11_22:
	s_and_saveexec_b64 s[8:9], s[2:3]
	s_cbranch_execz .LBB11_26
; %bb.23:
	v_mov_b32_e32 v7, 0
	v_add_u32_e32 v6, -9, v0
	v_add_u32_e32 v7, 0x98, v7
	s_movk_i32 s10, 0x150
	s_mov_b64 s[2:3], 0
.LBB11_24:                              ; =>This Inner Loop Header: Depth=1
	v_add_u32_e32 v10, -8, v7
	scratch_load_dwordx4 v[10:13], v10, off
	v_mov_b32_e32 v49, s10
	ds_read_b128 v[50:53], v49
	v_add_u32_e32 v6, -1, v6
	s_add_i32 s10, s10, 16
	v_cmp_eq_u32_e32 vcc, 0, v6
	v_add_u32_e32 v7, 16, v7
	s_or_b64 s[2:3], vcc, s[2:3]
	s_waitcnt vmcnt(0) lgkmcnt(0)
	v_mul_f64 v[54:55], v[52:53], v[12:13]
	v_mul_f64 v[12:13], v[50:51], v[12:13]
	v_fma_f64 v[50:51], v[50:51], v[10:11], -v[54:55]
	v_fmac_f64_e32 v[12:13], v[52:53], v[10:11]
	v_add_f64 v[2:3], v[2:3], v[50:51]
	v_add_f64 v[4:5], v[4:5], v[12:13]
	s_andn2_b64 exec, exec, s[2:3]
	s_cbranch_execnz .LBB11_24
; %bb.25:
	s_or_b64 exec, exec, s[2:3]
.LBB11_26:
	s_or_b64 exec, exec, s[8:9]
	v_mov_b32_e32 v6, 0
	ds_read_b128 v[10:13], v6 offset:128
	s_waitcnt lgkmcnt(0)
	v_mul_f64 v[6:7], v[4:5], v[12:13]
	v_mul_f64 v[52:53], v[2:3], v[12:13]
	v_fma_f64 v[50:51], v[2:3], v[10:11], -v[6:7]
	v_fmac_f64_e32 v[52:53], v[4:5], v[10:11]
	scratch_store_dwordx4 off, v[50:53], off offset:128
.LBB11_27:
	s_or_b64 exec, exec, s[4:5]
	scratch_load_dwordx4 v[2:5], v44, off
	v_cmp_lt_u32_e64 s[2:3], 7, v0
	s_waitcnt vmcnt(0)
	ds_write_b128 v9, v[2:5]
	s_waitcnt lgkmcnt(0)
	; wave barrier
	s_waitcnt lgkmcnt(0)
	s_and_saveexec_b64 s[4:5], s[2:3]
	s_cbranch_execz .LBB11_35
; %bb.28:
	ds_read_b128 v[2:5], v9
	s_andn2_b64 vcc, exec, s[6:7]
	s_cbranch_vccnz .LBB11_30
; %bb.29:
	scratch_load_dwordx4 v[10:13], v8, off
	s_waitcnt vmcnt(0) lgkmcnt(0)
	v_mul_f64 v[6:7], v[4:5], v[12:13]
	v_mul_f64 v[12:13], v[2:3], v[12:13]
	v_fmac_f64_e32 v[12:13], v[4:5], v[10:11]
	v_fma_f64 v[2:3], v[2:3], v[10:11], -v[6:7]
	v_mov_b64_e32 v[4:5], v[12:13]
.LBB11_30:
	s_and_saveexec_b64 s[8:9], s[0:1]
	s_cbranch_execz .LBB11_34
; %bb.31:
	v_mov_b32_e32 v7, 0
	v_add_u32_e32 v6, -8, v0
	v_add_u32_e32 v7, 0x88, v7
	s_movk_i32 s10, 0x140
	s_mov_b64 s[0:1], 0
.LBB11_32:                              ; =>This Inner Loop Header: Depth=1
	v_add_u32_e32 v10, -8, v7
	scratch_load_dwordx4 v[10:13], v10, off
	v_mov_b32_e32 v49, s10
	ds_read_b128 v[50:53], v49
	v_add_u32_e32 v6, -1, v6
	s_add_i32 s10, s10, 16
	v_cmp_eq_u32_e32 vcc, 0, v6
	v_add_u32_e32 v7, 16, v7
	s_or_b64 s[0:1], vcc, s[0:1]
	s_waitcnt vmcnt(0) lgkmcnt(0)
	v_mul_f64 v[54:55], v[52:53], v[12:13]
	v_mul_f64 v[12:13], v[50:51], v[12:13]
	v_fma_f64 v[50:51], v[50:51], v[10:11], -v[54:55]
	v_fmac_f64_e32 v[12:13], v[52:53], v[10:11]
	v_add_f64 v[2:3], v[2:3], v[50:51]
	v_add_f64 v[4:5], v[4:5], v[12:13]
	s_andn2_b64 exec, exec, s[0:1]
	s_cbranch_execnz .LBB11_32
; %bb.33:
	s_or_b64 exec, exec, s[0:1]
.LBB11_34:
	s_or_b64 exec, exec, s[8:9]
	v_mov_b32_e32 v6, 0
	ds_read_b128 v[10:13], v6 offset:112
	s_waitcnt lgkmcnt(0)
	v_mul_f64 v[6:7], v[4:5], v[12:13]
	v_mul_f64 v[52:53], v[2:3], v[12:13]
	v_fma_f64 v[50:51], v[2:3], v[10:11], -v[6:7]
	v_fmac_f64_e32 v[52:53], v[4:5], v[10:11]
	scratch_store_dwordx4 off, v[50:53], off offset:112
.LBB11_35:
	;; [unrolled: 63-line block ×8, first 2 shown]
	s_or_b64 exec, exec, s[2:3]
	scratch_load_dwordx4 v[2:5], off, off
	v_cmp_ne_u32_e32 vcc, 0, v0
	s_mov_b64 s[2:3], 0
	s_mov_b64 s[4:5], 0
                                        ; implicit-def: $vgpr6_vgpr7
                                        ; implicit-def: $vgpr10
	s_waitcnt vmcnt(0)
	ds_write_b128 v9, v[2:5]
	s_waitcnt lgkmcnt(0)
	; wave barrier
	s_waitcnt lgkmcnt(0)
	s_and_saveexec_b64 s[8:9], vcc
	s_cbranch_execz .LBB11_91
; %bb.84:
	ds_read_b128 v[2:5], v9
	s_andn2_b64 vcc, exec, s[6:7]
	s_cbranch_vccnz .LBB11_86
; %bb.85:
	scratch_load_dwordx4 v[10:13], v8, off
	s_waitcnt vmcnt(0) lgkmcnt(0)
	v_mul_f64 v[6:7], v[4:5], v[12:13]
	v_mul_f64 v[12:13], v[2:3], v[12:13]
	v_fmac_f64_e32 v[12:13], v[4:5], v[10:11]
	v_fma_f64 v[2:3], v[2:3], v[10:11], -v[6:7]
	v_mov_b64_e32 v[4:5], v[12:13]
.LBB11_86:
	s_and_saveexec_b64 s[4:5], s[0:1]
	s_cbranch_execz .LBB11_90
; %bb.87:
	v_mov_b32_e32 v7, 0
	v_add_u32_e32 v6, -1, v0
	v_add_u32_e32 v7, 24, v7
	s_movk_i32 s10, 0xd0
	s_mov_b64 s[0:1], 0
.LBB11_88:                              ; =>This Inner Loop Header: Depth=1
	v_add_u32_e32 v10, -8, v7
	scratch_load_dwordx4 v[10:13], v10, off
	v_mov_b32_e32 v49, s10
	ds_read_b128 v[50:53], v49
	v_add_u32_e32 v6, -1, v6
	s_add_i32 s10, s10, 16
	v_cmp_eq_u32_e32 vcc, 0, v6
	v_add_u32_e32 v7, 16, v7
	s_or_b64 s[0:1], vcc, s[0:1]
	s_waitcnt vmcnt(0) lgkmcnt(0)
	v_mul_f64 v[54:55], v[52:53], v[12:13]
	v_mul_f64 v[12:13], v[50:51], v[12:13]
	v_fma_f64 v[50:51], v[50:51], v[10:11], -v[54:55]
	v_fmac_f64_e32 v[12:13], v[52:53], v[10:11]
	v_add_f64 v[2:3], v[2:3], v[50:51]
	v_add_f64 v[4:5], v[4:5], v[12:13]
	s_andn2_b64 exec, exec, s[0:1]
	s_cbranch_execnz .LBB11_88
; %bb.89:
	s_or_b64 exec, exec, s[0:1]
.LBB11_90:
	s_or_b64 exec, exec, s[4:5]
	v_mov_b32_e32 v6, 0
	ds_read_b128 v[50:53], v6
	v_mov_b32_e32 v6, 0
	v_or_b32_e32 v10, 8, v6
	s_mov_b64 s[4:5], exec
	s_waitcnt lgkmcnt(0)
	v_mul_f64 v[12:13], v[4:5], v[52:53]
	v_mul_f64 v[6:7], v[2:3], v[52:53]
	v_fma_f64 v[2:3], v[2:3], v[50:51], -v[12:13]
	v_fmac_f64_e32 v[6:7], v[4:5], v[50:51]
	scratch_store_dwordx2 off, v[2:3], off
.LBB11_91:
	s_or_b64 exec, exec, s[8:9]
	s_and_b64 vcc, exec, s[2:3]
	s_cbranch_vccnz .LBB11_93
	s_branch .LBB11_176
.LBB11_92:
	s_mov_b64 s[4:5], 0
                                        ; implicit-def: $vgpr6_vgpr7
                                        ; implicit-def: $vgpr10
	s_cbranch_execz .LBB11_176
.LBB11_93:
	scratch_load_dwordx4 v[2:5], v42, off
	v_cndmask_b32_e64 v6, 0, 1, s[6:7]
	v_cmp_eq_u32_e64 s[2:3], 0, v0
	v_cmp_ne_u32_e64 s[0:1], 1, v6
	s_waitcnt vmcnt(0)
	ds_write_b128 v9, v[2:5]
	s_waitcnt lgkmcnt(0)
	; wave barrier
	s_waitcnt lgkmcnt(0)
	s_and_saveexec_b64 s[6:7], s[2:3]
	s_cbranch_execz .LBB11_97
; %bb.94:
	ds_read_b128 v[2:5], v9
	s_and_b64 vcc, exec, s[0:1]
	s_cbranch_vccnz .LBB11_96
; %bb.95:
	scratch_load_dwordx4 v[10:13], v8, off
	s_waitcnt vmcnt(0) lgkmcnt(0)
	v_mul_f64 v[6:7], v[4:5], v[12:13]
	v_mul_f64 v[12:13], v[2:3], v[12:13]
	v_fmac_f64_e32 v[12:13], v[4:5], v[10:11]
	v_fma_f64 v[2:3], v[2:3], v[10:11], -v[6:7]
	v_mov_b64_e32 v[4:5], v[12:13]
.LBB11_96:
	v_mov_b32_e32 v6, 0
	ds_read_b128 v[10:13], v6 offset:16
	s_waitcnt lgkmcnt(0)
	v_mul_f64 v[6:7], v[4:5], v[12:13]
	v_mul_f64 v[52:53], v[2:3], v[12:13]
	v_fma_f64 v[50:51], v[2:3], v[10:11], -v[6:7]
	v_fmac_f64_e32 v[52:53], v[4:5], v[10:11]
	scratch_store_dwordx4 off, v[50:53], off offset:16
.LBB11_97:
	s_or_b64 exec, exec, s[6:7]
	scratch_load_dwordx4 v[2:5], v46, off
	v_cmp_gt_u32_e32 vcc, 2, v0
	s_waitcnt vmcnt(0)
	ds_write_b128 v9, v[2:5]
	s_waitcnt lgkmcnt(0)
	; wave barrier
	s_waitcnt lgkmcnt(0)
	s_and_saveexec_b64 s[6:7], vcc
	s_cbranch_execz .LBB11_103
; %bb.98:
	ds_read_b128 v[2:5], v9
	s_and_b64 vcc, exec, s[0:1]
	s_cbranch_vccnz .LBB11_100
; %bb.99:
	scratch_load_dwordx4 v[10:13], v8, off
	s_waitcnt vmcnt(0) lgkmcnt(0)
	v_mul_f64 v[6:7], v[4:5], v[12:13]
	v_mul_f64 v[12:13], v[2:3], v[12:13]
	v_fmac_f64_e32 v[12:13], v[4:5], v[10:11]
	v_fma_f64 v[2:3], v[2:3], v[10:11], -v[6:7]
	v_mov_b64_e32 v[4:5], v[12:13]
.LBB11_100:
	s_and_saveexec_b64 s[8:9], s[2:3]
	s_cbranch_execz .LBB11_102
; %bb.101:
	scratch_load_dwordx4 v[10:13], v8, off offset:16
	ds_read_b128 v[50:53], v9 offset:16
	s_waitcnt vmcnt(0) lgkmcnt(0)
	v_mul_f64 v[6:7], v[52:53], v[12:13]
	v_mul_f64 v[12:13], v[50:51], v[12:13]
	v_fma_f64 v[6:7], v[50:51], v[10:11], -v[6:7]
	v_fmac_f64_e32 v[12:13], v[52:53], v[10:11]
	v_add_f64 v[2:3], v[2:3], v[6:7]
	v_add_f64 v[4:5], v[4:5], v[12:13]
.LBB11_102:
	s_or_b64 exec, exec, s[8:9]
	v_mov_b32_e32 v6, 0
	ds_read_b128 v[10:13], v6 offset:32
	s_waitcnt lgkmcnt(0)
	v_mul_f64 v[6:7], v[4:5], v[12:13]
	v_mul_f64 v[52:53], v[2:3], v[12:13]
	v_fma_f64 v[50:51], v[2:3], v[10:11], -v[6:7]
	v_fmac_f64_e32 v[52:53], v[4:5], v[10:11]
	scratch_store_dwordx4 off, v[50:53], off offset:32
.LBB11_103:
	s_or_b64 exec, exec, s[6:7]
	scratch_load_dwordx4 v[2:5], v43, off
	v_cmp_gt_u32_e32 vcc, 3, v0
	s_waitcnt vmcnt(0)
	ds_write_b128 v9, v[2:5]
	s_waitcnt lgkmcnt(0)
	; wave barrier
	s_waitcnt lgkmcnt(0)
	s_and_saveexec_b64 s[6:7], vcc
	s_cbranch_execz .LBB11_111
; %bb.104:
	ds_read_b128 v[2:5], v9
	s_and_b64 vcc, exec, s[0:1]
	s_cbranch_vccnz .LBB11_106
; %bb.105:
	scratch_load_dwordx4 v[10:13], v8, off
	s_waitcnt vmcnt(0) lgkmcnt(0)
	v_mul_f64 v[6:7], v[4:5], v[12:13]
	v_mul_f64 v[12:13], v[2:3], v[12:13]
	v_fmac_f64_e32 v[12:13], v[4:5], v[10:11]
	v_fma_f64 v[2:3], v[2:3], v[10:11], -v[6:7]
	v_mov_b64_e32 v[4:5], v[12:13]
.LBB11_106:
	v_cmp_ne_u32_e32 vcc, 2, v0
	s_and_saveexec_b64 s[8:9], vcc
	s_cbranch_execz .LBB11_110
; %bb.107:
	scratch_load_dwordx4 v[10:13], v8, off offset:16
	ds_read_b128 v[50:53], v9 offset:16
	s_waitcnt vmcnt(0) lgkmcnt(0)
	v_mul_f64 v[6:7], v[52:53], v[12:13]
	v_mul_f64 v[12:13], v[50:51], v[12:13]
	v_fma_f64 v[6:7], v[50:51], v[10:11], -v[6:7]
	v_fmac_f64_e32 v[12:13], v[52:53], v[10:11]
	v_add_f64 v[2:3], v[2:3], v[6:7]
	v_add_f64 v[4:5], v[4:5], v[12:13]
	s_and_saveexec_b64 s[10:11], s[2:3]
	s_cbranch_execz .LBB11_109
; %bb.108:
	scratch_load_dwordx4 v[10:13], off, off offset:32
	v_mov_b32_e32 v6, 0
	ds_read_b128 v[50:53], v6 offset:224
	s_waitcnt vmcnt(0) lgkmcnt(0)
	v_mul_f64 v[6:7], v[50:51], v[12:13]
	v_mul_f64 v[12:13], v[52:53], v[12:13]
	v_fmac_f64_e32 v[6:7], v[52:53], v[10:11]
	v_fma_f64 v[10:11], v[50:51], v[10:11], -v[12:13]
	v_add_f64 v[4:5], v[4:5], v[6:7]
	v_add_f64 v[2:3], v[2:3], v[10:11]
.LBB11_109:
	s_or_b64 exec, exec, s[10:11]
.LBB11_110:
	s_or_b64 exec, exec, s[8:9]
	v_mov_b32_e32 v6, 0
	ds_read_b128 v[10:13], v6 offset:48
	s_waitcnt lgkmcnt(0)
	v_mul_f64 v[6:7], v[4:5], v[12:13]
	v_mul_f64 v[52:53], v[2:3], v[12:13]
	v_fma_f64 v[50:51], v[2:3], v[10:11], -v[6:7]
	v_fmac_f64_e32 v[52:53], v[4:5], v[10:11]
	scratch_store_dwordx4 off, v[50:53], off offset:48
.LBB11_111:
	s_or_b64 exec, exec, s[6:7]
	scratch_load_dwordx4 v[2:5], v47, off
	v_cmp_gt_u32_e32 vcc, 4, v0
	s_waitcnt vmcnt(0)
	ds_write_b128 v9, v[2:5]
	s_waitcnt lgkmcnt(0)
	; wave barrier
	s_waitcnt lgkmcnt(0)
	s_and_saveexec_b64 s[2:3], vcc
	s_cbranch_execz .LBB11_119
; %bb.112:
	ds_read_b128 v[2:5], v9
	s_and_b64 vcc, exec, s[0:1]
	s_cbranch_vccnz .LBB11_114
; %bb.113:
	scratch_load_dwordx4 v[10:13], v8, off
	s_waitcnt vmcnt(0) lgkmcnt(0)
	v_mul_f64 v[6:7], v[4:5], v[12:13]
	v_mul_f64 v[12:13], v[2:3], v[12:13]
	v_fmac_f64_e32 v[12:13], v[4:5], v[10:11]
	v_fma_f64 v[2:3], v[2:3], v[10:11], -v[6:7]
	v_mov_b64_e32 v[4:5], v[12:13]
.LBB11_114:
	v_cmp_ne_u32_e32 vcc, 3, v0
	s_and_saveexec_b64 s[6:7], vcc
	s_cbranch_execz .LBB11_118
; %bb.115:
	v_mov_b32_e32 v7, 0
	v_add_u32_e32 v6, 0xd0, v38
	v_add3_u32 v7, v38, v7, 24
	s_mov_b64 s[8:9], 0
	v_mov_b32_e32 v10, v0
.LBB11_116:                             ; =>This Inner Loop Header: Depth=1
	v_add_u32_e32 v11, -8, v7
	scratch_load_dwordx4 v[50:53], v11, off
	ds_read_b128 v[54:57], v6
	v_add_u32_e32 v10, 1, v10
	v_cmp_lt_u32_e32 vcc, 2, v10
	v_add_u32_e32 v6, 16, v6
	v_add_u32_e32 v7, 16, v7
	s_or_b64 s[8:9], vcc, s[8:9]
	s_waitcnt vmcnt(0) lgkmcnt(0)
	v_mul_f64 v[12:13], v[56:57], v[52:53]
	v_mul_f64 v[52:53], v[54:55], v[52:53]
	v_fma_f64 v[12:13], v[54:55], v[50:51], -v[12:13]
	v_fmac_f64_e32 v[52:53], v[56:57], v[50:51]
	v_add_f64 v[2:3], v[2:3], v[12:13]
	v_add_f64 v[4:5], v[4:5], v[52:53]
	s_andn2_b64 exec, exec, s[8:9]
	s_cbranch_execnz .LBB11_116
; %bb.117:
	s_or_b64 exec, exec, s[8:9]
.LBB11_118:
	s_or_b64 exec, exec, s[6:7]
	v_mov_b32_e32 v6, 0
	ds_read_b128 v[10:13], v6 offset:64
	s_waitcnt lgkmcnt(0)
	v_mul_f64 v[6:7], v[4:5], v[12:13]
	v_mul_f64 v[52:53], v[2:3], v[12:13]
	v_fma_f64 v[50:51], v[2:3], v[10:11], -v[6:7]
	v_fmac_f64_e32 v[52:53], v[4:5], v[10:11]
	scratch_store_dwordx4 off, v[50:53], off offset:64
.LBB11_119:
	s_or_b64 exec, exec, s[2:3]
	scratch_load_dwordx4 v[2:5], v45, off
	v_cmp_gt_u32_e32 vcc, 5, v0
	s_waitcnt vmcnt(0)
	ds_write_b128 v9, v[2:5]
	s_waitcnt lgkmcnt(0)
	; wave barrier
	s_waitcnt lgkmcnt(0)
	s_and_saveexec_b64 s[2:3], vcc
	s_cbranch_execz .LBB11_127
; %bb.120:
	ds_read_b128 v[2:5], v9
	s_and_b64 vcc, exec, s[0:1]
	s_cbranch_vccnz .LBB11_122
; %bb.121:
	scratch_load_dwordx4 v[10:13], v8, off
	s_waitcnt vmcnt(0) lgkmcnt(0)
	v_mul_f64 v[6:7], v[4:5], v[12:13]
	v_mul_f64 v[12:13], v[2:3], v[12:13]
	v_fmac_f64_e32 v[12:13], v[4:5], v[10:11]
	v_fma_f64 v[2:3], v[2:3], v[10:11], -v[6:7]
	v_mov_b64_e32 v[4:5], v[12:13]
.LBB11_122:
	v_cmp_ne_u32_e32 vcc, 4, v0
	s_and_saveexec_b64 s[6:7], vcc
	s_cbranch_execz .LBB11_126
; %bb.123:
	v_mov_b32_e32 v7, 0
	v_add_u32_e32 v6, 0xd0, v38
	v_add3_u32 v7, v38, v7, 24
	s_mov_b64 s[8:9], 0
	v_mov_b32_e32 v10, v0
.LBB11_124:                             ; =>This Inner Loop Header: Depth=1
	v_add_u32_e32 v11, -8, v7
	scratch_load_dwordx4 v[50:53], v11, off
	ds_read_b128 v[54:57], v6
	v_add_u32_e32 v10, 1, v10
	v_cmp_lt_u32_e32 vcc, 3, v10
	v_add_u32_e32 v6, 16, v6
	v_add_u32_e32 v7, 16, v7
	s_or_b64 s[8:9], vcc, s[8:9]
	s_waitcnt vmcnt(0) lgkmcnt(0)
	v_mul_f64 v[12:13], v[56:57], v[52:53]
	v_mul_f64 v[52:53], v[54:55], v[52:53]
	v_fma_f64 v[12:13], v[54:55], v[50:51], -v[12:13]
	v_fmac_f64_e32 v[52:53], v[56:57], v[50:51]
	v_add_f64 v[2:3], v[2:3], v[12:13]
	v_add_f64 v[4:5], v[4:5], v[52:53]
	s_andn2_b64 exec, exec, s[8:9]
	s_cbranch_execnz .LBB11_124
; %bb.125:
	s_or_b64 exec, exec, s[8:9]
.LBB11_126:
	s_or_b64 exec, exec, s[6:7]
	v_mov_b32_e32 v6, 0
	ds_read_b128 v[10:13], v6 offset:80
	s_waitcnt lgkmcnt(0)
	v_mul_f64 v[6:7], v[4:5], v[12:13]
	v_mul_f64 v[52:53], v[2:3], v[12:13]
	v_fma_f64 v[50:51], v[2:3], v[10:11], -v[6:7]
	v_fmac_f64_e32 v[52:53], v[4:5], v[10:11]
	scratch_store_dwordx4 off, v[50:53], off offset:80
.LBB11_127:
	;; [unrolled: 63-line block ×6, first 2 shown]
	s_or_b64 exec, exec, s[2:3]
	scratch_load_dwordx4 v[2:5], v1, off
	v_cmp_gt_u32_e64 s[2:3], 10, v0
	s_waitcnt vmcnt(0)
	ds_write_b128 v9, v[2:5]
	s_waitcnt lgkmcnt(0)
	; wave barrier
	s_waitcnt lgkmcnt(0)
	s_and_saveexec_b64 s[6:7], s[2:3]
	s_cbranch_execz .LBB11_167
; %bb.160:
	ds_read_b128 v[2:5], v9
	s_and_b64 vcc, exec, s[0:1]
	s_cbranch_vccnz .LBB11_162
; %bb.161:
	scratch_load_dwordx4 v[10:13], v8, off
	s_waitcnt vmcnt(0) lgkmcnt(0)
	v_mul_f64 v[6:7], v[4:5], v[12:13]
	v_mul_f64 v[12:13], v[2:3], v[12:13]
	v_fmac_f64_e32 v[12:13], v[4:5], v[10:11]
	v_fma_f64 v[2:3], v[2:3], v[10:11], -v[6:7]
	v_mov_b64_e32 v[4:5], v[12:13]
.LBB11_162:
	v_cmp_ne_u32_e32 vcc, 9, v0
	s_and_saveexec_b64 s[8:9], vcc
	s_cbranch_execz .LBB11_166
; %bb.163:
	v_mov_b32_e32 v7, 0
	v_add_u32_e32 v6, 0xd0, v38
	v_add3_u32 v7, v38, v7, 24
	s_mov_b64 s[10:11], 0
	v_mov_b32_e32 v10, v0
.LBB11_164:                             ; =>This Inner Loop Header: Depth=1
	v_add_u32_e32 v11, -8, v7
	scratch_load_dwordx4 v[50:53], v11, off
	ds_read_b128 v[54:57], v6
	v_add_u32_e32 v10, 1, v10
	v_cmp_lt_u32_e32 vcc, 8, v10
	v_add_u32_e32 v6, 16, v6
	v_add_u32_e32 v7, 16, v7
	s_or_b64 s[10:11], vcc, s[10:11]
	s_waitcnt vmcnt(0) lgkmcnt(0)
	v_mul_f64 v[12:13], v[56:57], v[52:53]
	v_mul_f64 v[52:53], v[54:55], v[52:53]
	v_fma_f64 v[12:13], v[54:55], v[50:51], -v[12:13]
	v_fmac_f64_e32 v[52:53], v[56:57], v[50:51]
	v_add_f64 v[2:3], v[2:3], v[12:13]
	v_add_f64 v[4:5], v[4:5], v[52:53]
	s_andn2_b64 exec, exec, s[10:11]
	s_cbranch_execnz .LBB11_164
; %bb.165:
	s_or_b64 exec, exec, s[10:11]
.LBB11_166:
	s_or_b64 exec, exec, s[8:9]
	v_mov_b32_e32 v6, 0
	ds_read_b128 v[10:13], v6 offset:160
	s_waitcnt lgkmcnt(0)
	v_mul_f64 v[6:7], v[4:5], v[12:13]
	v_mul_f64 v[52:53], v[2:3], v[12:13]
	v_fma_f64 v[50:51], v[2:3], v[10:11], -v[6:7]
	v_fmac_f64_e32 v[52:53], v[4:5], v[10:11]
	scratch_store_dwordx4 off, v[50:53], off offset:160
.LBB11_167:
	s_or_b64 exec, exec, s[6:7]
	scratch_load_dwordx4 v[2:5], v39, off
	v_cmp_ne_u32_e32 vcc, 11, v0
                                        ; implicit-def: $vgpr6_vgpr7
                                        ; implicit-def: $vgpr10
	s_waitcnt vmcnt(0)
	ds_write_b128 v9, v[2:5]
	s_waitcnt lgkmcnt(0)
	; wave barrier
	s_waitcnt lgkmcnt(0)
	s_and_saveexec_b64 s[6:7], vcc
	s_cbranch_execz .LBB11_175
; %bb.168:
	ds_read_b128 v[2:5], v9
	s_and_b64 vcc, exec, s[0:1]
	s_cbranch_vccnz .LBB11_170
; %bb.169:
	scratch_load_dwordx4 v[6:9], v8, off
	s_waitcnt vmcnt(0) lgkmcnt(0)
	v_mul_f64 v[10:11], v[4:5], v[8:9]
	v_mul_f64 v[8:9], v[2:3], v[8:9]
	v_fmac_f64_e32 v[8:9], v[4:5], v[6:7]
	v_fma_f64 v[2:3], v[2:3], v[6:7], -v[10:11]
	v_mov_b64_e32 v[4:5], v[8:9]
.LBB11_170:
	s_and_saveexec_b64 s[0:1], s[2:3]
	s_cbranch_execz .LBB11_174
; %bb.171:
	v_mov_b32_e32 v7, 0
	v_add_u32_e32 v6, 0xd0, v38
	v_add3_u32 v7, v38, v7, 24
	s_mov_b64 s[2:3], 0
.LBB11_172:                             ; =>This Inner Loop Header: Depth=1
	v_add_u32_e32 v8, -8, v7
	scratch_load_dwordx4 v[8:11], v8, off
	ds_read_b128 v[50:53], v6
	v_add_u32_e32 v0, 1, v0
	v_cmp_lt_u32_e32 vcc, 9, v0
	v_add_u32_e32 v6, 16, v6
	v_add_u32_e32 v7, 16, v7
	s_or_b64 s[2:3], vcc, s[2:3]
	s_waitcnt vmcnt(0) lgkmcnt(0)
	v_mul_f64 v[12:13], v[52:53], v[10:11]
	v_mul_f64 v[10:11], v[50:51], v[10:11]
	v_fma_f64 v[12:13], v[50:51], v[8:9], -v[12:13]
	v_fmac_f64_e32 v[10:11], v[52:53], v[8:9]
	v_add_f64 v[2:3], v[2:3], v[12:13]
	v_add_f64 v[4:5], v[4:5], v[10:11]
	s_andn2_b64 exec, exec, s[2:3]
	s_cbranch_execnz .LBB11_172
; %bb.173:
	s_or_b64 exec, exec, s[2:3]
.LBB11_174:
	s_or_b64 exec, exec, s[0:1]
	v_mov_b32_e32 v0, 0
	ds_read_b128 v[50:53], v0 offset:176
	v_mov_b32_e32 v0, 0
	v_add_u32_e32 v10, 0xb8, v0
	s_or_b64 s[4:5], s[4:5], exec
	s_waitcnt lgkmcnt(0)
	v_mul_f64 v[8:9], v[4:5], v[52:53]
	v_mul_f64 v[6:7], v[2:3], v[52:53]
	v_fma_f64 v[2:3], v[2:3], v[50:51], -v[8:9]
	v_fmac_f64_e32 v[6:7], v[4:5], v[50:51]
	scratch_store_dwordx2 off, v[2:3], off offset:176
.LBB11_175:
	s_or_b64 exec, exec, s[6:7]
.LBB11_176:
	s_and_saveexec_b64 s[0:1], s[4:5]
	s_cbranch_execz .LBB11_178
; %bb.177:
	scratch_store_dwordx2 v10, v[6:7], off
.LBB11_178:
	s_or_b64 exec, exec, s[0:1]
	scratch_load_dwordx4 v[2:5], off, off
	scratch_load_dwordx4 v[6:9], v42, off
	scratch_load_dwordx4 v[10:13], v46, off
	;; [unrolled: 1-line block ×6, first 2 shown]
                                        ; kill: killed $vgpr46
                                        ; kill: killed $vgpr47
                                        ; kill: killed $vgpr48
                                        ; kill: killed $vgpr42
                                        ; kill: killed $vgpr43
                                        ; kill: killed $vgpr45
	s_nop 0
	scratch_load_dwordx4 v[42:45], v44, off
	s_waitcnt vmcnt(7)
	global_store_dwordx4 v[16:17], v[2:5], off
	scratch_load_dwordx4 v[2:5], v40, off
	s_nop 0
	scratch_load_dwordx4 v[46:49], v41, off
	s_waitcnt vmcnt(9)
	global_store_dwordx4 v[14:15], v[6:9], off
	scratch_load_dwordx4 v[6:9], v1, off
	s_nop 0
	scratch_load_dwordx4 v[14:17], v39, off
	s_waitcnt vmcnt(11)
	global_store_dwordx4 v[18:19], v[10:13], off
	s_waitcnt vmcnt(11)
	global_store_dwordx4 v[20:21], v[50:53], off
	;; [unrolled: 2-line block ×10, first 2 shown]
.LBB11_179:
	s_endpgm
	.section	.rodata,"a",@progbits
	.p2align	6, 0x0
	.amdhsa_kernel _ZN9rocsolver6v33100L18trti2_kernel_smallILi12E19rocblas_complex_numIdEPS3_EEv13rocblas_fill_17rocblas_diagonal_T1_iil
		.amdhsa_group_segment_fixed_size 384
		.amdhsa_private_segment_fixed_size 208
		.amdhsa_kernarg_size 32
		.amdhsa_user_sgpr_count 2
		.amdhsa_user_sgpr_dispatch_ptr 0
		.amdhsa_user_sgpr_queue_ptr 0
		.amdhsa_user_sgpr_kernarg_segment_ptr 1
		.amdhsa_user_sgpr_dispatch_id 0
		.amdhsa_user_sgpr_kernarg_preload_length 0
		.amdhsa_user_sgpr_kernarg_preload_offset 0
		.amdhsa_user_sgpr_private_segment_size 0
		.amdhsa_uses_dynamic_stack 0
		.amdhsa_enable_private_segment 1
		.amdhsa_system_sgpr_workgroup_id_x 1
		.amdhsa_system_sgpr_workgroup_id_y 0
		.amdhsa_system_sgpr_workgroup_id_z 0
		.amdhsa_system_sgpr_workgroup_info 0
		.amdhsa_system_vgpr_workitem_id 0
		.amdhsa_next_free_vgpr 66
		.amdhsa_next_free_sgpr 12
		.amdhsa_accum_offset 68
		.amdhsa_reserve_vcc 1
		.amdhsa_float_round_mode_32 0
		.amdhsa_float_round_mode_16_64 0
		.amdhsa_float_denorm_mode_32 3
		.amdhsa_float_denorm_mode_16_64 3
		.amdhsa_dx10_clamp 1
		.amdhsa_ieee_mode 1
		.amdhsa_fp16_overflow 0
		.amdhsa_tg_split 0
		.amdhsa_exception_fp_ieee_invalid_op 0
		.amdhsa_exception_fp_denorm_src 0
		.amdhsa_exception_fp_ieee_div_zero 0
		.amdhsa_exception_fp_ieee_overflow 0
		.amdhsa_exception_fp_ieee_underflow 0
		.amdhsa_exception_fp_ieee_inexact 0
		.amdhsa_exception_int_div_zero 0
	.end_amdhsa_kernel
	.section	.text._ZN9rocsolver6v33100L18trti2_kernel_smallILi12E19rocblas_complex_numIdEPS3_EEv13rocblas_fill_17rocblas_diagonal_T1_iil,"axG",@progbits,_ZN9rocsolver6v33100L18trti2_kernel_smallILi12E19rocblas_complex_numIdEPS3_EEv13rocblas_fill_17rocblas_diagonal_T1_iil,comdat
.Lfunc_end11:
	.size	_ZN9rocsolver6v33100L18trti2_kernel_smallILi12E19rocblas_complex_numIdEPS3_EEv13rocblas_fill_17rocblas_diagonal_T1_iil, .Lfunc_end11-_ZN9rocsolver6v33100L18trti2_kernel_smallILi12E19rocblas_complex_numIdEPS3_EEv13rocblas_fill_17rocblas_diagonal_T1_iil
                                        ; -- End function
	.section	.AMDGPU.csdata,"",@progbits
; Kernel info:
; codeLenInByte = 7688
; NumSgprs: 18
; NumVgprs: 66
; NumAgprs: 0
; TotalNumVgprs: 66
; ScratchSize: 208
; MemoryBound: 0
; FloatMode: 240
; IeeeMode: 1
; LDSByteSize: 384 bytes/workgroup (compile time only)
; SGPRBlocks: 2
; VGPRBlocks: 8
; NumSGPRsForWavesPerEU: 18
; NumVGPRsForWavesPerEU: 66
; AccumOffset: 68
; Occupancy: 7
; WaveLimiterHint : 0
; COMPUTE_PGM_RSRC2:SCRATCH_EN: 1
; COMPUTE_PGM_RSRC2:USER_SGPR: 2
; COMPUTE_PGM_RSRC2:TRAP_HANDLER: 0
; COMPUTE_PGM_RSRC2:TGID_X_EN: 1
; COMPUTE_PGM_RSRC2:TGID_Y_EN: 0
; COMPUTE_PGM_RSRC2:TGID_Z_EN: 0
; COMPUTE_PGM_RSRC2:TIDIG_COMP_CNT: 0
; COMPUTE_PGM_RSRC3_GFX90A:ACCUM_OFFSET: 16
; COMPUTE_PGM_RSRC3_GFX90A:TG_SPLIT: 0
	.section	.text._ZN9rocsolver6v33100L18trti2_kernel_smallILi13E19rocblas_complex_numIdEPS3_EEv13rocblas_fill_17rocblas_diagonal_T1_iil,"axG",@progbits,_ZN9rocsolver6v33100L18trti2_kernel_smallILi13E19rocblas_complex_numIdEPS3_EEv13rocblas_fill_17rocblas_diagonal_T1_iil,comdat
	.globl	_ZN9rocsolver6v33100L18trti2_kernel_smallILi13E19rocblas_complex_numIdEPS3_EEv13rocblas_fill_17rocblas_diagonal_T1_iil ; -- Begin function _ZN9rocsolver6v33100L18trti2_kernel_smallILi13E19rocblas_complex_numIdEPS3_EEv13rocblas_fill_17rocblas_diagonal_T1_iil
	.p2align	8
	.type	_ZN9rocsolver6v33100L18trti2_kernel_smallILi13E19rocblas_complex_numIdEPS3_EEv13rocblas_fill_17rocblas_diagonal_T1_iil,@function
_ZN9rocsolver6v33100L18trti2_kernel_smallILi13E19rocblas_complex_numIdEPS3_EEv13rocblas_fill_17rocblas_diagonal_T1_iil: ; @_ZN9rocsolver6v33100L18trti2_kernel_smallILi13E19rocblas_complex_numIdEPS3_EEv13rocblas_fill_17rocblas_diagonal_T1_iil
; %bb.0:
	v_cmp_gt_u32_e32 vcc, 13, v0
	s_and_saveexec_b64 s[4:5], vcc
	s_cbranch_execz .LBB12_195
; %bb.1:
	s_load_dwordx8 s[4:11], s[0:1], 0x0
	s_ashr_i32 s3, s2, 31
	v_lshlrev_b32_e32 v40, 4, v0
	v_mov_b32_e32 v41, 0
	v_mov_b32_e32 v1, 0
	s_waitcnt lgkmcnt(0)
	s_ashr_i32 s1, s8, 31
	s_mov_b32 s0, s8
	s_mul_i32 s8, s2, s11
	s_mul_hi_u32 s11, s2, s10
	s_add_i32 s8, s11, s8
	s_mul_i32 s3, s3, s10
	s_add_i32 s3, s8, s3
	s_mul_i32 s2, s2, s10
	s_lshl_b64 s[2:3], s[2:3], 4
	s_add_u32 s2, s6, s2
	s_addc_u32 s3, s7, s3
	s_lshl_b64 s[0:1], s[0:1], 4
	s_add_u32 s0, s2, s0
	s_addc_u32 s1, s3, s1
	v_lshl_add_u64 v[16:17], s[0:1], 0, v[40:41]
	s_ashr_i32 s3, s9, 31
	s_mov_b32 s2, s9
	v_lshl_add_u64 v[14:15], s[2:3], 4, v[16:17]
	s_add_i32 s2, s9, s9
	v_add_u32_e32 v20, s2, v0
	v_add_u32_e32 v22, s9, v20
	;; [unrolled: 1-line block ×4, first 2 shown]
	global_load_dwordx4 v[2:5], v40, s[0:1]
	v_ashrrev_i32_e32 v21, 31, v20
	v_ashrrev_i32_e32 v23, 31, v22
	;; [unrolled: 1-line block ×4, first 2 shown]
	v_lshl_add_u64 v[18:19], v[20:21], 4, s[0:1]
	global_load_dwordx4 v[6:9], v[14:15], off
	global_load_dwordx4 v[10:13], v[18:19], off
	v_lshl_add_u64 v[20:21], v[22:23], 4, s[0:1]
	v_lshl_add_u64 v[22:23], v[24:25], 4, s[0:1]
	;; [unrolled: 1-line block ×3, first 2 shown]
	global_load_dwordx4 v[36:39], v[20:21], off
	global_load_dwordx4 v[42:45], v[22:23], off
	;; [unrolled: 1-line block ×3, first 2 shown]
	v_add_u32_e32 v26, s9, v26
	v_add_u32_e32 v28, s9, v26
	;; [unrolled: 1-line block ×6, first 2 shown]
	v_ashrrev_i32_e32 v27, 31, v26
	v_ashrrev_i32_e32 v29, 31, v28
	v_add_u32_e32 v60, s9, v58
	v_lshl_add_u64 v[26:27], v[26:27], 4, s[0:1]
	global_load_dwordx4 v[50:53], v[26:27], off
	v_lshl_add_u64 v[28:29], v[28:29], 4, s[0:1]
	v_ashrrev_i32_e32 v31, 31, v30
	v_ashrrev_i32_e32 v33, 31, v32
	;; [unrolled: 1-line block ×4, first 2 shown]
	v_lshl_add_u64 v[30:31], v[30:31], 4, s[0:1]
	v_lshl_add_u64 v[32:33], v[32:33], 4, s[0:1]
	v_ashrrev_i32_e32 v35, 31, v34
	v_lshl_add_u64 v[34:35], v[34:35], 4, s[0:1]
	s_cmpk_lg_i32 s5, 0x84
	s_cselect_b64 s[6:7], -1, 0
	s_cmpk_eq_i32 s5, 0x84
	s_waitcnt vmcnt(6)
	scratch_store_dwordx4 off, v[2:5], off
	global_load_dwordx4 v[2:5], v[28:29], off
	s_nop 0
	global_load_dwordx4 v[54:57], v[30:31], off
	s_waitcnt vmcnt(8)
	scratch_store_dwordx4 off, v[6:9], off offset:16
	s_waitcnt vmcnt(8)
	scratch_store_dwordx4 off, v[10:13], off offset:32
	;; [unrolled: 2-line block ×3, first 2 shown]
	s_nop 1
	v_lshl_add_u64 v[36:37], v[58:59], 4, s[0:1]
	v_lshl_add_u64 v[38:39], v[60:61], 4, s[0:1]
	global_load_dwordx4 v[6:9], v[32:33], off
	global_load_dwordx4 v[10:13], v[34:35], off
	s_waitcnt vmcnt(10)
	scratch_store_dwordx4 off, v[42:45], off offset:64
	global_load_dwordx4 v[42:45], v[36:37], off
	s_waitcnt vmcnt(11)
	scratch_store_dwordx4 off, v[46:49], off offset:80
	;; [unrolled: 3-line block ×3, first 2 shown]
	s_waitcnt vmcnt(11)
	scratch_store_dwordx4 off, v[2:5], off offset:112
	s_waitcnt vmcnt(11)
	scratch_store_dwordx4 off, v[54:57], off offset:128
	;; [unrolled: 2-line block ×6, first 2 shown]
	s_cbranch_scc1 .LBB12_7
; %bb.2:
	scratch_load_dwordx4 v[2:5], v40, off
                                        ; implicit-def: $vgpr10_vgpr11
	s_waitcnt vmcnt(0)
	v_xor_b32_e32 v7, 0x80000000, v3
	v_cmp_gt_f64_e32 vcc, 0, v[2:3]
	v_xor_b32_e32 v8, 0x80000000, v5
	v_mov_b32_e32 v6, v2
	v_cndmask_b32_e32 v7, v3, v7, vcc
	v_cmp_gt_f64_e32 vcc, 0, v[4:5]
	s_nop 1
	v_cndmask_b32_e32 v9, v5, v8, vcc
	v_mov_b32_e32 v8, v4
	v_cmp_ngt_f64_e32 vcc, v[6:7], v[8:9]
                                        ; implicit-def: $vgpr6_vgpr7
	s_and_saveexec_b64 s[0:1], vcc
	s_xor_b64 s[0:1], exec, s[0:1]
	s_cbranch_execz .LBB12_4
; %bb.3:
	v_div_scale_f64 v[6:7], s[2:3], v[4:5], v[4:5], v[2:3]
	v_rcp_f64_e32 v[8:9], v[6:7]
	v_div_scale_f64 v[10:11], vcc, v[2:3], v[4:5], v[2:3]
	v_fma_f64 v[12:13], -v[6:7], v[8:9], 1.0
	v_fmac_f64_e32 v[8:9], v[8:9], v[12:13]
	v_fma_f64 v[12:13], -v[6:7], v[8:9], 1.0
	v_fmac_f64_e32 v[8:9], v[8:9], v[12:13]
	v_mul_f64 v[12:13], v[10:11], v[8:9]
	v_fma_f64 v[6:7], -v[6:7], v[12:13], v[10:11]
	v_div_fmas_f64 v[6:7], v[6:7], v[8:9], v[12:13]
	v_div_fixup_f64 v[6:7], v[6:7], v[4:5], v[2:3]
	v_fmac_f64_e32 v[4:5], v[2:3], v[6:7]
	v_div_scale_f64 v[2:3], s[2:3], v[4:5], v[4:5], 1.0
	v_rcp_f64_e32 v[8:9], v[2:3]
	s_nop 0
	v_fma_f64 v[10:11], -v[2:3], v[8:9], 1.0
	v_fmac_f64_e32 v[8:9], v[8:9], v[10:11]
	v_fma_f64 v[10:11], -v[2:3], v[8:9], 1.0
	v_fmac_f64_e32 v[8:9], v[8:9], v[10:11]
	v_div_scale_f64 v[10:11], vcc, 1.0, v[4:5], 1.0
	v_mul_f64 v[12:13], v[10:11], v[8:9]
	v_fma_f64 v[2:3], -v[2:3], v[12:13], v[10:11]
	s_nop 1
	v_div_fmas_f64 v[2:3], v[2:3], v[8:9], v[12:13]
	v_div_fixup_f64 v[8:9], v[2:3], v[4:5], 1.0
	v_mul_f64 v[6:7], v[6:7], v[8:9]
	v_xor_b32_e32 v9, 0x80000000, v9
	v_xor_b32_e32 v11, 0x80000000, v7
	v_mov_b32_e32 v10, v6
                                        ; implicit-def: $vgpr2_vgpr3
.LBB12_4:
	s_or_saveexec_b64 s[0:1], s[0:1]
	v_add_u32_e32 v12, 0, v40
	s_xor_b64 exec, exec, s[0:1]
	s_cbranch_execz .LBB12_6
; %bb.5:
	v_div_scale_f64 v[6:7], s[2:3], v[2:3], v[2:3], v[4:5]
	v_rcp_f64_e32 v[8:9], v[6:7]
	v_div_scale_f64 v[10:11], vcc, v[4:5], v[2:3], v[4:5]
	v_fma_f64 v[42:43], -v[6:7], v[8:9], 1.0
	v_fmac_f64_e32 v[8:9], v[8:9], v[42:43]
	v_fma_f64 v[42:43], -v[6:7], v[8:9], 1.0
	v_fmac_f64_e32 v[8:9], v[8:9], v[42:43]
	v_mul_f64 v[42:43], v[10:11], v[8:9]
	v_fma_f64 v[6:7], -v[6:7], v[42:43], v[10:11]
	v_div_fmas_f64 v[6:7], v[6:7], v[8:9], v[42:43]
	v_div_fixup_f64 v[8:9], v[6:7], v[2:3], v[4:5]
	v_fmac_f64_e32 v[2:3], v[4:5], v[8:9]
	v_div_scale_f64 v[4:5], s[2:3], v[2:3], v[2:3], 1.0
	v_rcp_f64_e32 v[6:7], v[4:5]
	s_nop 0
	v_fma_f64 v[10:11], -v[4:5], v[6:7], 1.0
	v_fmac_f64_e32 v[6:7], v[6:7], v[10:11]
	v_fma_f64 v[10:11], -v[4:5], v[6:7], 1.0
	v_fmac_f64_e32 v[6:7], v[6:7], v[10:11]
	v_div_scale_f64 v[10:11], vcc, 1.0, v[2:3], 1.0
	v_mul_f64 v[42:43], v[10:11], v[6:7]
	v_fma_f64 v[4:5], -v[4:5], v[42:43], v[10:11]
	s_nop 1
	v_div_fmas_f64 v[4:5], v[4:5], v[6:7], v[42:43]
	v_div_fixup_f64 v[6:7], v[4:5], v[2:3], 1.0
	v_xor_b32_e32 v11, 0x80000000, v7
	v_mov_b32_e32 v10, v6
	v_mul_f64 v[8:9], v[8:9], -v[6:7]
.LBB12_6:
	s_or_b64 exec, exec, s[0:1]
	scratch_store_dwordx4 v12, v[6:9], off
	s_nop 1
	v_xor_b32_e32 v9, 0x80000000, v9
	s_branch .LBB12_8
.LBB12_7:
	v_mov_b64_e32 v[8:9], 0
	v_mov_b64_e32 v[10:11], -1.0
.LBB12_8:
	v_add_u32_e32 v48, 16, v1
	v_add_u32_e32 v46, 32, v1
	;; [unrolled: 1-line block ×12, first 2 shown]
	v_mov_b32_e32 v12, v8
	v_mov_b32_e32 v13, v9
	s_cmpk_eq_i32 s4, 0x79
	v_add_u32_e32 v9, 0xd0, v40
	v_add_u32_e32 v8, 0, v40
	ds_write_b128 v40, v[10:13]
	s_cbranch_scc1 .LBB12_100
; %bb.9:
	scratch_load_dwordx4 v[2:5], v41, off
	v_cmp_eq_u32_e64 s[0:1], 12, v0
	s_waitcnt vmcnt(0)
	ds_write_b128 v9, v[2:5]
	s_waitcnt lgkmcnt(0)
	; wave barrier
	s_waitcnt lgkmcnt(0)
	s_and_saveexec_b64 s[2:3], s[0:1]
	s_cbranch_execz .LBB12_13
; %bb.10:
	ds_read_b128 v[2:5], v9
	s_andn2_b64 vcc, exec, s[6:7]
	s_cbranch_vccnz .LBB12_12
; %bb.11:
	scratch_load_dwordx4 v[10:13], v8, off
	s_waitcnt vmcnt(0) lgkmcnt(0)
	v_mul_f64 v[6:7], v[4:5], v[12:13]
	v_mul_f64 v[12:13], v[2:3], v[12:13]
	v_fmac_f64_e32 v[12:13], v[4:5], v[10:11]
	v_fma_f64 v[2:3], v[2:3], v[10:11], -v[6:7]
	v_mov_b64_e32 v[4:5], v[12:13]
.LBB12_12:
	v_mov_b32_e32 v6, 0
	ds_read_b128 v[10:13], v6 offset:176
	s_waitcnt lgkmcnt(0)
	v_mul_f64 v[6:7], v[4:5], v[12:13]
	v_mul_f64 v[54:55], v[2:3], v[12:13]
	v_fma_f64 v[52:53], v[2:3], v[10:11], -v[6:7]
	v_fmac_f64_e32 v[54:55], v[4:5], v[10:11]
	scratch_store_dwordx4 off, v[52:55], off offset:176
.LBB12_13:
	s_or_b64 exec, exec, s[2:3]
	scratch_load_dwordx4 v[2:5], v43, off
	v_cmp_lt_u32_e64 s[2:3], 10, v0
	s_waitcnt vmcnt(0)
	ds_write_b128 v9, v[2:5]
	s_waitcnt lgkmcnt(0)
	; wave barrier
	s_waitcnt lgkmcnt(0)
	s_and_saveexec_b64 s[4:5], s[2:3]
	s_cbranch_execz .LBB12_19
; %bb.14:
	ds_read_b128 v[2:5], v9
	s_andn2_b64 vcc, exec, s[6:7]
	s_cbranch_vccnz .LBB12_16
; %bb.15:
	scratch_load_dwordx4 v[10:13], v8, off
	s_waitcnt vmcnt(0) lgkmcnt(0)
	v_mul_f64 v[6:7], v[4:5], v[12:13]
	v_mul_f64 v[12:13], v[2:3], v[12:13]
	v_fmac_f64_e32 v[12:13], v[4:5], v[10:11]
	v_fma_f64 v[2:3], v[2:3], v[10:11], -v[6:7]
	v_mov_b64_e32 v[4:5], v[12:13]
.LBB12_16:
	s_and_saveexec_b64 s[8:9], s[0:1]
	s_cbranch_execz .LBB12_18
; %bb.17:
	scratch_load_dwordx4 v[10:13], off, off offset:176
	v_mov_b32_e32 v6, 0
	ds_read_b128 v[52:55], v6 offset:384
	s_waitcnt vmcnt(0) lgkmcnt(0)
	v_mul_f64 v[6:7], v[52:53], v[12:13]
	v_mul_f64 v[12:13], v[54:55], v[12:13]
	v_fmac_f64_e32 v[6:7], v[54:55], v[10:11]
	v_fma_f64 v[10:11], v[52:53], v[10:11], -v[12:13]
	v_add_f64 v[4:5], v[4:5], v[6:7]
	v_add_f64 v[2:3], v[2:3], v[10:11]
.LBB12_18:
	s_or_b64 exec, exec, s[8:9]
	v_mov_b32_e32 v6, 0
	ds_read_b128 v[10:13], v6 offset:160
	s_waitcnt lgkmcnt(0)
	v_mul_f64 v[6:7], v[4:5], v[12:13]
	v_mul_f64 v[54:55], v[2:3], v[12:13]
	v_fma_f64 v[52:53], v[2:3], v[10:11], -v[6:7]
	v_fmac_f64_e32 v[54:55], v[4:5], v[10:11]
	scratch_store_dwordx4 off, v[52:55], off offset:160
.LBB12_19:
	s_or_b64 exec, exec, s[4:5]
	scratch_load_dwordx4 v[2:5], v42, off
	v_cmp_lt_u32_e64 s[0:1], 9, v0
	s_waitcnt vmcnt(0)
	ds_write_b128 v9, v[2:5]
	s_waitcnt lgkmcnt(0)
	; wave barrier
	s_waitcnt lgkmcnt(0)
	s_and_saveexec_b64 s[4:5], s[0:1]
	s_cbranch_execz .LBB12_27
; %bb.20:
	ds_read_b128 v[2:5], v9
	s_andn2_b64 vcc, exec, s[6:7]
	s_cbranch_vccnz .LBB12_22
; %bb.21:
	scratch_load_dwordx4 v[10:13], v8, off
	s_waitcnt vmcnt(0) lgkmcnt(0)
	v_mul_f64 v[6:7], v[4:5], v[12:13]
	v_mul_f64 v[12:13], v[2:3], v[12:13]
	v_fmac_f64_e32 v[12:13], v[4:5], v[10:11]
	v_fma_f64 v[2:3], v[2:3], v[10:11], -v[6:7]
	v_mov_b64_e32 v[4:5], v[12:13]
.LBB12_22:
	s_and_saveexec_b64 s[8:9], s[2:3]
	s_cbranch_execz .LBB12_26
; %bb.23:
	v_mov_b32_e32 v7, 0
	v_add_u32_e32 v6, -10, v0
	v_add_u32_e32 v7, 0xa8, v7
	s_movk_i32 s10, 0x170
	s_mov_b64 s[2:3], 0
.LBB12_24:                              ; =>This Inner Loop Header: Depth=1
	v_add_u32_e32 v10, -8, v7
	scratch_load_dwordx4 v[10:13], v10, off
	v_mov_b32_e32 v52, s10
	ds_read_b128 v[52:55], v52
	v_add_u32_e32 v6, -1, v6
	s_add_i32 s10, s10, 16
	v_cmp_eq_u32_e32 vcc, 0, v6
	v_add_u32_e32 v7, 16, v7
	s_or_b64 s[2:3], vcc, s[2:3]
	s_waitcnt vmcnt(0) lgkmcnt(0)
	v_mul_f64 v[56:57], v[54:55], v[12:13]
	v_mul_f64 v[12:13], v[52:53], v[12:13]
	v_fma_f64 v[52:53], v[52:53], v[10:11], -v[56:57]
	v_fmac_f64_e32 v[12:13], v[54:55], v[10:11]
	v_add_f64 v[2:3], v[2:3], v[52:53]
	v_add_f64 v[4:5], v[4:5], v[12:13]
	s_andn2_b64 exec, exec, s[2:3]
	s_cbranch_execnz .LBB12_24
; %bb.25:
	s_or_b64 exec, exec, s[2:3]
.LBB12_26:
	s_or_b64 exec, exec, s[8:9]
	v_mov_b32_e32 v6, 0
	ds_read_b128 v[10:13], v6 offset:144
	s_waitcnt lgkmcnt(0)
	v_mul_f64 v[6:7], v[4:5], v[12:13]
	v_mul_f64 v[54:55], v[2:3], v[12:13]
	v_fma_f64 v[52:53], v[2:3], v[10:11], -v[6:7]
	v_fmac_f64_e32 v[54:55], v[4:5], v[10:11]
	scratch_store_dwordx4 off, v[52:55], off offset:144
.LBB12_27:
	s_or_b64 exec, exec, s[4:5]
	scratch_load_dwordx4 v[2:5], v45, off
	v_cmp_lt_u32_e64 s[2:3], 8, v0
	s_waitcnt vmcnt(0)
	ds_write_b128 v9, v[2:5]
	s_waitcnt lgkmcnt(0)
	; wave barrier
	s_waitcnt lgkmcnt(0)
	s_and_saveexec_b64 s[4:5], s[2:3]
	s_cbranch_execz .LBB12_35
; %bb.28:
	ds_read_b128 v[2:5], v9
	s_andn2_b64 vcc, exec, s[6:7]
	s_cbranch_vccnz .LBB12_30
; %bb.29:
	scratch_load_dwordx4 v[10:13], v8, off
	s_waitcnt vmcnt(0) lgkmcnt(0)
	v_mul_f64 v[6:7], v[4:5], v[12:13]
	v_mul_f64 v[12:13], v[2:3], v[12:13]
	v_fmac_f64_e32 v[12:13], v[4:5], v[10:11]
	v_fma_f64 v[2:3], v[2:3], v[10:11], -v[6:7]
	v_mov_b64_e32 v[4:5], v[12:13]
.LBB12_30:
	s_and_saveexec_b64 s[8:9], s[0:1]
	s_cbranch_execz .LBB12_34
; %bb.31:
	v_mov_b32_e32 v7, 0
	v_add_u32_e32 v6, -9, v0
	v_add_u32_e32 v7, 0x98, v7
	s_movk_i32 s10, 0x160
	s_mov_b64 s[0:1], 0
.LBB12_32:                              ; =>This Inner Loop Header: Depth=1
	v_add_u32_e32 v10, -8, v7
	scratch_load_dwordx4 v[10:13], v10, off
	v_mov_b32_e32 v52, s10
	ds_read_b128 v[52:55], v52
	v_add_u32_e32 v6, -1, v6
	s_add_i32 s10, s10, 16
	v_cmp_eq_u32_e32 vcc, 0, v6
	v_add_u32_e32 v7, 16, v7
	s_or_b64 s[0:1], vcc, s[0:1]
	s_waitcnt vmcnt(0) lgkmcnt(0)
	v_mul_f64 v[56:57], v[54:55], v[12:13]
	v_mul_f64 v[12:13], v[52:53], v[12:13]
	v_fma_f64 v[52:53], v[52:53], v[10:11], -v[56:57]
	v_fmac_f64_e32 v[12:13], v[54:55], v[10:11]
	v_add_f64 v[2:3], v[2:3], v[52:53]
	v_add_f64 v[4:5], v[4:5], v[12:13]
	s_andn2_b64 exec, exec, s[0:1]
	s_cbranch_execnz .LBB12_32
; %bb.33:
	s_or_b64 exec, exec, s[0:1]
.LBB12_34:
	s_or_b64 exec, exec, s[8:9]
	v_mov_b32_e32 v6, 0
	ds_read_b128 v[10:13], v6 offset:128
	s_waitcnt lgkmcnt(0)
	v_mul_f64 v[6:7], v[4:5], v[12:13]
	v_mul_f64 v[54:55], v[2:3], v[12:13]
	v_fma_f64 v[52:53], v[2:3], v[10:11], -v[6:7]
	v_fmac_f64_e32 v[54:55], v[4:5], v[10:11]
	scratch_store_dwordx4 off, v[52:55], off offset:128
.LBB12_35:
	;; [unrolled: 63-line block ×9, first 2 shown]
	s_or_b64 exec, exec, s[4:5]
	scratch_load_dwordx4 v[2:5], off, off
	v_cmp_ne_u32_e32 vcc, 0, v0
	s_mov_b64 s[2:3], 0
	s_mov_b64 s[4:5], 0
                                        ; implicit-def: $vgpr6_vgpr7
                                        ; implicit-def: $vgpr10
	s_waitcnt vmcnt(0)
	ds_write_b128 v9, v[2:5]
	s_waitcnt lgkmcnt(0)
	; wave barrier
	s_waitcnt lgkmcnt(0)
	s_and_saveexec_b64 s[8:9], vcc
	s_cbranch_execz .LBB12_99
; %bb.92:
	ds_read_b128 v[2:5], v9
	s_andn2_b64 vcc, exec, s[6:7]
	s_cbranch_vccnz .LBB12_94
; %bb.93:
	scratch_load_dwordx4 v[10:13], v8, off
	s_waitcnt vmcnt(0) lgkmcnt(0)
	v_mul_f64 v[6:7], v[4:5], v[12:13]
	v_mul_f64 v[12:13], v[2:3], v[12:13]
	v_fmac_f64_e32 v[12:13], v[4:5], v[10:11]
	v_fma_f64 v[2:3], v[2:3], v[10:11], -v[6:7]
	v_mov_b64_e32 v[4:5], v[12:13]
.LBB12_94:
	s_and_saveexec_b64 s[4:5], s[0:1]
	s_cbranch_execz .LBB12_98
; %bb.95:
	v_mov_b32_e32 v7, 0
	v_add_u32_e32 v6, -1, v0
	v_add_u32_e32 v7, 24, v7
	s_movk_i32 s10, 0xe0
	s_mov_b64 s[0:1], 0
.LBB12_96:                              ; =>This Inner Loop Header: Depth=1
	v_add_u32_e32 v10, -8, v7
	scratch_load_dwordx4 v[10:13], v10, off
	v_mov_b32_e32 v52, s10
	ds_read_b128 v[52:55], v52
	v_add_u32_e32 v6, -1, v6
	s_add_i32 s10, s10, 16
	v_cmp_eq_u32_e32 vcc, 0, v6
	v_add_u32_e32 v7, 16, v7
	s_or_b64 s[0:1], vcc, s[0:1]
	s_waitcnt vmcnt(0) lgkmcnt(0)
	v_mul_f64 v[56:57], v[54:55], v[12:13]
	v_mul_f64 v[12:13], v[52:53], v[12:13]
	v_fma_f64 v[52:53], v[52:53], v[10:11], -v[56:57]
	v_fmac_f64_e32 v[12:13], v[54:55], v[10:11]
	v_add_f64 v[2:3], v[2:3], v[52:53]
	v_add_f64 v[4:5], v[4:5], v[12:13]
	s_andn2_b64 exec, exec, s[0:1]
	s_cbranch_execnz .LBB12_96
; %bb.97:
	s_or_b64 exec, exec, s[0:1]
.LBB12_98:
	s_or_b64 exec, exec, s[4:5]
	v_mov_b32_e32 v6, 0
	ds_read_b128 v[52:55], v6
	v_mov_b32_e32 v6, 0
	v_or_b32_e32 v10, 8, v6
	s_mov_b64 s[4:5], exec
	s_waitcnt lgkmcnt(0)
	v_mul_f64 v[12:13], v[4:5], v[54:55]
	v_mul_f64 v[6:7], v[2:3], v[54:55]
	v_fma_f64 v[2:3], v[2:3], v[52:53], -v[12:13]
	v_fmac_f64_e32 v[6:7], v[4:5], v[52:53]
	scratch_store_dwordx2 off, v[2:3], off
.LBB12_99:
	s_or_b64 exec, exec, s[8:9]
	s_and_b64 vcc, exec, s[2:3]
	s_cbranch_vccnz .LBB12_101
	s_branch .LBB12_192
.LBB12_100:
	s_mov_b64 s[4:5], 0
                                        ; implicit-def: $vgpr6_vgpr7
                                        ; implicit-def: $vgpr10
	s_cbranch_execz .LBB12_192
.LBB12_101:
	scratch_load_dwordx4 v[2:5], v48, off
	v_cndmask_b32_e64 v6, 0, 1, s[6:7]
	v_cmp_eq_u32_e64 s[2:3], 0, v0
	v_cmp_ne_u32_e64 s[0:1], 1, v6
	s_waitcnt vmcnt(0)
	ds_write_b128 v9, v[2:5]
	s_waitcnt lgkmcnt(0)
	; wave barrier
	s_waitcnt lgkmcnt(0)
	s_and_saveexec_b64 s[6:7], s[2:3]
	s_cbranch_execz .LBB12_105
; %bb.102:
	ds_read_b128 v[2:5], v9
	s_and_b64 vcc, exec, s[0:1]
	s_cbranch_vccnz .LBB12_104
; %bb.103:
	scratch_load_dwordx4 v[10:13], v8, off
	s_waitcnt vmcnt(0) lgkmcnt(0)
	v_mul_f64 v[6:7], v[4:5], v[12:13]
	v_mul_f64 v[12:13], v[2:3], v[12:13]
	v_fmac_f64_e32 v[12:13], v[4:5], v[10:11]
	v_fma_f64 v[2:3], v[2:3], v[10:11], -v[6:7]
	v_mov_b64_e32 v[4:5], v[12:13]
.LBB12_104:
	v_mov_b32_e32 v6, 0
	ds_read_b128 v[10:13], v6 offset:16
	s_waitcnt lgkmcnt(0)
	v_mul_f64 v[6:7], v[4:5], v[12:13]
	v_mul_f64 v[54:55], v[2:3], v[12:13]
	v_fma_f64 v[52:53], v[2:3], v[10:11], -v[6:7]
	v_fmac_f64_e32 v[54:55], v[4:5], v[10:11]
	scratch_store_dwordx4 off, v[52:55], off offset:16
.LBB12_105:
	s_or_b64 exec, exec, s[6:7]
	scratch_load_dwordx4 v[2:5], v46, off
	v_cmp_gt_u32_e32 vcc, 2, v0
	s_waitcnt vmcnt(0)
	ds_write_b128 v9, v[2:5]
	s_waitcnt lgkmcnt(0)
	; wave barrier
	s_waitcnt lgkmcnt(0)
	s_and_saveexec_b64 s[6:7], vcc
	s_cbranch_execz .LBB12_111
; %bb.106:
	ds_read_b128 v[2:5], v9
	s_and_b64 vcc, exec, s[0:1]
	s_cbranch_vccnz .LBB12_108
; %bb.107:
	scratch_load_dwordx4 v[10:13], v8, off
	s_waitcnt vmcnt(0) lgkmcnt(0)
	v_mul_f64 v[6:7], v[4:5], v[12:13]
	v_mul_f64 v[12:13], v[2:3], v[12:13]
	v_fmac_f64_e32 v[12:13], v[4:5], v[10:11]
	v_fma_f64 v[2:3], v[2:3], v[10:11], -v[6:7]
	v_mov_b64_e32 v[4:5], v[12:13]
.LBB12_108:
	s_and_saveexec_b64 s[8:9], s[2:3]
	s_cbranch_execz .LBB12_110
; %bb.109:
	scratch_load_dwordx4 v[10:13], v8, off offset:16
	ds_read_b128 v[52:55], v9 offset:16
	s_waitcnt vmcnt(0) lgkmcnt(0)
	v_mul_f64 v[6:7], v[54:55], v[12:13]
	v_mul_f64 v[12:13], v[52:53], v[12:13]
	v_fma_f64 v[6:7], v[52:53], v[10:11], -v[6:7]
	v_fmac_f64_e32 v[12:13], v[54:55], v[10:11]
	v_add_f64 v[2:3], v[2:3], v[6:7]
	v_add_f64 v[4:5], v[4:5], v[12:13]
.LBB12_110:
	s_or_b64 exec, exec, s[8:9]
	v_mov_b32_e32 v6, 0
	ds_read_b128 v[10:13], v6 offset:32
	s_waitcnt lgkmcnt(0)
	v_mul_f64 v[6:7], v[4:5], v[12:13]
	v_mul_f64 v[54:55], v[2:3], v[12:13]
	v_fma_f64 v[52:53], v[2:3], v[10:11], -v[6:7]
	v_fmac_f64_e32 v[54:55], v[4:5], v[10:11]
	scratch_store_dwordx4 off, v[52:55], off offset:32
.LBB12_111:
	s_or_b64 exec, exec, s[6:7]
	scratch_load_dwordx4 v[2:5], v49, off
	v_cmp_gt_u32_e32 vcc, 3, v0
	s_waitcnt vmcnt(0)
	ds_write_b128 v9, v[2:5]
	s_waitcnt lgkmcnt(0)
	; wave barrier
	s_waitcnt lgkmcnt(0)
	s_and_saveexec_b64 s[6:7], vcc
	s_cbranch_execz .LBB12_119
; %bb.112:
	ds_read_b128 v[2:5], v9
	s_and_b64 vcc, exec, s[0:1]
	s_cbranch_vccnz .LBB12_114
; %bb.113:
	scratch_load_dwordx4 v[10:13], v8, off
	s_waitcnt vmcnt(0) lgkmcnt(0)
	v_mul_f64 v[6:7], v[4:5], v[12:13]
	v_mul_f64 v[12:13], v[2:3], v[12:13]
	v_fmac_f64_e32 v[12:13], v[4:5], v[10:11]
	v_fma_f64 v[2:3], v[2:3], v[10:11], -v[6:7]
	v_mov_b64_e32 v[4:5], v[12:13]
.LBB12_114:
	v_cmp_ne_u32_e32 vcc, 2, v0
	s_and_saveexec_b64 s[8:9], vcc
	s_cbranch_execz .LBB12_118
; %bb.115:
	scratch_load_dwordx4 v[10:13], v8, off offset:16
	ds_read_b128 v[52:55], v9 offset:16
	s_waitcnt vmcnt(0) lgkmcnt(0)
	v_mul_f64 v[6:7], v[54:55], v[12:13]
	v_mul_f64 v[12:13], v[52:53], v[12:13]
	v_fma_f64 v[6:7], v[52:53], v[10:11], -v[6:7]
	v_fmac_f64_e32 v[12:13], v[54:55], v[10:11]
	v_add_f64 v[2:3], v[2:3], v[6:7]
	v_add_f64 v[4:5], v[4:5], v[12:13]
	s_and_saveexec_b64 s[10:11], s[2:3]
	s_cbranch_execz .LBB12_117
; %bb.116:
	scratch_load_dwordx4 v[10:13], off, off offset:32
	v_mov_b32_e32 v6, 0
	ds_read_b128 v[52:55], v6 offset:240
	s_waitcnt vmcnt(0) lgkmcnt(0)
	v_mul_f64 v[6:7], v[52:53], v[12:13]
	v_mul_f64 v[12:13], v[54:55], v[12:13]
	v_fmac_f64_e32 v[6:7], v[54:55], v[10:11]
	v_fma_f64 v[10:11], v[52:53], v[10:11], -v[12:13]
	v_add_f64 v[4:5], v[4:5], v[6:7]
	v_add_f64 v[2:3], v[2:3], v[10:11]
.LBB12_117:
	s_or_b64 exec, exec, s[10:11]
.LBB12_118:
	s_or_b64 exec, exec, s[8:9]
	v_mov_b32_e32 v6, 0
	ds_read_b128 v[10:13], v6 offset:48
	s_waitcnt lgkmcnt(0)
	v_mul_f64 v[6:7], v[4:5], v[12:13]
	v_mul_f64 v[54:55], v[2:3], v[12:13]
	v_fma_f64 v[52:53], v[2:3], v[10:11], -v[6:7]
	v_fmac_f64_e32 v[54:55], v[4:5], v[10:11]
	scratch_store_dwordx4 off, v[52:55], off offset:48
.LBB12_119:
	s_or_b64 exec, exec, s[6:7]
	scratch_load_dwordx4 v[2:5], v51, off
	v_cmp_gt_u32_e32 vcc, 4, v0
	s_waitcnt vmcnt(0)
	ds_write_b128 v9, v[2:5]
	s_waitcnt lgkmcnt(0)
	; wave barrier
	s_waitcnt lgkmcnt(0)
	s_and_saveexec_b64 s[2:3], vcc
	s_cbranch_execz .LBB12_127
; %bb.120:
	ds_read_b128 v[2:5], v9
	s_and_b64 vcc, exec, s[0:1]
	s_cbranch_vccnz .LBB12_122
; %bb.121:
	scratch_load_dwordx4 v[10:13], v8, off
	s_waitcnt vmcnt(0) lgkmcnt(0)
	v_mul_f64 v[6:7], v[4:5], v[12:13]
	v_mul_f64 v[12:13], v[2:3], v[12:13]
	v_fmac_f64_e32 v[12:13], v[4:5], v[10:11]
	v_fma_f64 v[2:3], v[2:3], v[10:11], -v[6:7]
	v_mov_b64_e32 v[4:5], v[12:13]
.LBB12_122:
	v_cmp_ne_u32_e32 vcc, 3, v0
	s_and_saveexec_b64 s[6:7], vcc
	s_cbranch_execz .LBB12_126
; %bb.123:
	v_mov_b32_e32 v7, 0
	v_add_u32_e32 v6, 0xe0, v40
	v_add3_u32 v7, v40, v7, 24
	s_mov_b64 s[8:9], 0
	v_mov_b32_e32 v10, v0
.LBB12_124:                             ; =>This Inner Loop Header: Depth=1
	v_add_u32_e32 v11, -8, v7
	scratch_load_dwordx4 v[52:55], v11, off
	ds_read_b128 v[56:59], v6
	v_add_u32_e32 v10, 1, v10
	v_cmp_lt_u32_e32 vcc, 2, v10
	v_add_u32_e32 v6, 16, v6
	v_add_u32_e32 v7, 16, v7
	s_or_b64 s[8:9], vcc, s[8:9]
	s_waitcnt vmcnt(0) lgkmcnt(0)
	v_mul_f64 v[12:13], v[58:59], v[54:55]
	v_mul_f64 v[54:55], v[56:57], v[54:55]
	v_fma_f64 v[12:13], v[56:57], v[52:53], -v[12:13]
	v_fmac_f64_e32 v[54:55], v[58:59], v[52:53]
	v_add_f64 v[2:3], v[2:3], v[12:13]
	v_add_f64 v[4:5], v[4:5], v[54:55]
	s_andn2_b64 exec, exec, s[8:9]
	s_cbranch_execnz .LBB12_124
; %bb.125:
	s_or_b64 exec, exec, s[8:9]
.LBB12_126:
	s_or_b64 exec, exec, s[6:7]
	v_mov_b32_e32 v6, 0
	ds_read_b128 v[10:13], v6 offset:64
	s_waitcnt lgkmcnt(0)
	v_mul_f64 v[6:7], v[4:5], v[12:13]
	v_mul_f64 v[54:55], v[2:3], v[12:13]
	v_fma_f64 v[52:53], v[2:3], v[10:11], -v[6:7]
	v_fmac_f64_e32 v[54:55], v[4:5], v[10:11]
	scratch_store_dwordx4 off, v[52:55], off offset:64
.LBB12_127:
	s_or_b64 exec, exec, s[2:3]
	scratch_load_dwordx4 v[2:5], v50, off
	v_cmp_gt_u32_e32 vcc, 5, v0
	s_waitcnt vmcnt(0)
	ds_write_b128 v9, v[2:5]
	s_waitcnt lgkmcnt(0)
	; wave barrier
	s_waitcnt lgkmcnt(0)
	s_and_saveexec_b64 s[2:3], vcc
	s_cbranch_execz .LBB12_135
; %bb.128:
	ds_read_b128 v[2:5], v9
	s_and_b64 vcc, exec, s[0:1]
	s_cbranch_vccnz .LBB12_130
; %bb.129:
	scratch_load_dwordx4 v[10:13], v8, off
	s_waitcnt vmcnt(0) lgkmcnt(0)
	v_mul_f64 v[6:7], v[4:5], v[12:13]
	v_mul_f64 v[12:13], v[2:3], v[12:13]
	v_fmac_f64_e32 v[12:13], v[4:5], v[10:11]
	v_fma_f64 v[2:3], v[2:3], v[10:11], -v[6:7]
	v_mov_b64_e32 v[4:5], v[12:13]
.LBB12_130:
	v_cmp_ne_u32_e32 vcc, 4, v0
	s_and_saveexec_b64 s[6:7], vcc
	s_cbranch_execz .LBB12_134
; %bb.131:
	v_mov_b32_e32 v7, 0
	v_add_u32_e32 v6, 0xe0, v40
	v_add3_u32 v7, v40, v7, 24
	s_mov_b64 s[8:9], 0
	v_mov_b32_e32 v10, v0
.LBB12_132:                             ; =>This Inner Loop Header: Depth=1
	v_add_u32_e32 v11, -8, v7
	scratch_load_dwordx4 v[52:55], v11, off
	ds_read_b128 v[56:59], v6
	v_add_u32_e32 v10, 1, v10
	v_cmp_lt_u32_e32 vcc, 3, v10
	v_add_u32_e32 v6, 16, v6
	v_add_u32_e32 v7, 16, v7
	s_or_b64 s[8:9], vcc, s[8:9]
	s_waitcnt vmcnt(0) lgkmcnt(0)
	v_mul_f64 v[12:13], v[58:59], v[54:55]
	v_mul_f64 v[54:55], v[56:57], v[54:55]
	v_fma_f64 v[12:13], v[56:57], v[52:53], -v[12:13]
	v_fmac_f64_e32 v[54:55], v[58:59], v[52:53]
	v_add_f64 v[2:3], v[2:3], v[12:13]
	v_add_f64 v[4:5], v[4:5], v[54:55]
	s_andn2_b64 exec, exec, s[8:9]
	s_cbranch_execnz .LBB12_132
; %bb.133:
	s_or_b64 exec, exec, s[8:9]
.LBB12_134:
	s_or_b64 exec, exec, s[6:7]
	v_mov_b32_e32 v6, 0
	ds_read_b128 v[10:13], v6 offset:80
	s_waitcnt lgkmcnt(0)
	v_mul_f64 v[6:7], v[4:5], v[12:13]
	v_mul_f64 v[54:55], v[2:3], v[12:13]
	v_fma_f64 v[52:53], v[2:3], v[10:11], -v[6:7]
	v_fmac_f64_e32 v[54:55], v[4:5], v[10:11]
	scratch_store_dwordx4 off, v[52:55], off offset:80
.LBB12_135:
	;; [unrolled: 63-line block ×7, first 2 shown]
	s_or_b64 exec, exec, s[2:3]
	scratch_load_dwordx4 v[2:5], v41, off
	v_cmp_gt_u32_e64 s[2:3], 11, v0
	s_waitcnt vmcnt(0)
	ds_write_b128 v9, v[2:5]
	s_waitcnt lgkmcnt(0)
	; wave barrier
	s_waitcnt lgkmcnt(0)
	s_and_saveexec_b64 s[6:7], s[2:3]
	s_cbranch_execz .LBB12_183
; %bb.176:
	ds_read_b128 v[2:5], v9
	s_and_b64 vcc, exec, s[0:1]
	s_cbranch_vccnz .LBB12_178
; %bb.177:
	scratch_load_dwordx4 v[10:13], v8, off
	s_waitcnt vmcnt(0) lgkmcnt(0)
	v_mul_f64 v[6:7], v[4:5], v[12:13]
	v_mul_f64 v[12:13], v[2:3], v[12:13]
	v_fmac_f64_e32 v[12:13], v[4:5], v[10:11]
	v_fma_f64 v[2:3], v[2:3], v[10:11], -v[6:7]
	v_mov_b64_e32 v[4:5], v[12:13]
.LBB12_178:
	v_cmp_ne_u32_e32 vcc, 10, v0
	s_and_saveexec_b64 s[8:9], vcc
	s_cbranch_execz .LBB12_182
; %bb.179:
	v_mov_b32_e32 v7, 0
	v_add_u32_e32 v6, 0xe0, v40
	v_add3_u32 v7, v40, v7, 24
	s_mov_b64 s[10:11], 0
	v_mov_b32_e32 v10, v0
.LBB12_180:                             ; =>This Inner Loop Header: Depth=1
	v_add_u32_e32 v11, -8, v7
	scratch_load_dwordx4 v[52:55], v11, off
	ds_read_b128 v[56:59], v6
	v_add_u32_e32 v10, 1, v10
	v_cmp_lt_u32_e32 vcc, 9, v10
	v_add_u32_e32 v6, 16, v6
	v_add_u32_e32 v7, 16, v7
	s_or_b64 s[10:11], vcc, s[10:11]
	s_waitcnt vmcnt(0) lgkmcnt(0)
	v_mul_f64 v[12:13], v[58:59], v[54:55]
	v_mul_f64 v[54:55], v[56:57], v[54:55]
	v_fma_f64 v[12:13], v[56:57], v[52:53], -v[12:13]
	v_fmac_f64_e32 v[54:55], v[58:59], v[52:53]
	v_add_f64 v[2:3], v[2:3], v[12:13]
	v_add_f64 v[4:5], v[4:5], v[54:55]
	s_andn2_b64 exec, exec, s[10:11]
	s_cbranch_execnz .LBB12_180
; %bb.181:
	s_or_b64 exec, exec, s[10:11]
.LBB12_182:
	s_or_b64 exec, exec, s[8:9]
	v_mov_b32_e32 v6, 0
	ds_read_b128 v[10:13], v6 offset:176
	s_waitcnt lgkmcnt(0)
	v_mul_f64 v[6:7], v[4:5], v[12:13]
	v_mul_f64 v[54:55], v[2:3], v[12:13]
	v_fma_f64 v[52:53], v[2:3], v[10:11], -v[6:7]
	v_fmac_f64_e32 v[54:55], v[4:5], v[10:11]
	scratch_store_dwordx4 off, v[52:55], off offset:176
.LBB12_183:
	s_or_b64 exec, exec, s[6:7]
	scratch_load_dwordx4 v[2:5], v1, off
	v_cmp_ne_u32_e32 vcc, 12, v0
                                        ; implicit-def: $vgpr6_vgpr7
                                        ; implicit-def: $vgpr10
	s_waitcnt vmcnt(0)
	ds_write_b128 v9, v[2:5]
	s_waitcnt lgkmcnt(0)
	; wave barrier
	s_waitcnt lgkmcnt(0)
	s_and_saveexec_b64 s[6:7], vcc
	s_cbranch_execz .LBB12_191
; %bb.184:
	ds_read_b128 v[2:5], v9
	s_and_b64 vcc, exec, s[0:1]
	s_cbranch_vccnz .LBB12_186
; %bb.185:
	scratch_load_dwordx4 v[6:9], v8, off
	s_waitcnt vmcnt(0) lgkmcnt(0)
	v_mul_f64 v[10:11], v[4:5], v[8:9]
	v_mul_f64 v[8:9], v[2:3], v[8:9]
	v_fmac_f64_e32 v[8:9], v[4:5], v[6:7]
	v_fma_f64 v[2:3], v[2:3], v[6:7], -v[10:11]
	v_mov_b64_e32 v[4:5], v[8:9]
.LBB12_186:
	s_and_saveexec_b64 s[0:1], s[2:3]
	s_cbranch_execz .LBB12_190
; %bb.187:
	v_mov_b32_e32 v7, 0
	v_add_u32_e32 v6, 0xe0, v40
	v_add3_u32 v7, v40, v7, 24
	s_mov_b64 s[2:3], 0
.LBB12_188:                             ; =>This Inner Loop Header: Depth=1
	v_add_u32_e32 v8, -8, v7
	scratch_load_dwordx4 v[8:11], v8, off
	ds_read_b128 v[52:55], v6
	v_add_u32_e32 v0, 1, v0
	v_cmp_lt_u32_e32 vcc, 10, v0
	v_add_u32_e32 v6, 16, v6
	v_add_u32_e32 v7, 16, v7
	s_or_b64 s[2:3], vcc, s[2:3]
	s_waitcnt vmcnt(0) lgkmcnt(0)
	v_mul_f64 v[12:13], v[54:55], v[10:11]
	v_mul_f64 v[10:11], v[52:53], v[10:11]
	v_fma_f64 v[12:13], v[52:53], v[8:9], -v[12:13]
	v_fmac_f64_e32 v[10:11], v[54:55], v[8:9]
	v_add_f64 v[2:3], v[2:3], v[12:13]
	v_add_f64 v[4:5], v[4:5], v[10:11]
	s_andn2_b64 exec, exec, s[2:3]
	s_cbranch_execnz .LBB12_188
; %bb.189:
	s_or_b64 exec, exec, s[2:3]
.LBB12_190:
	s_or_b64 exec, exec, s[0:1]
	v_mov_b32_e32 v0, 0
	ds_read_b128 v[52:55], v0 offset:192
	v_mov_b32_e32 v0, 0
	v_add_u32_e32 v10, 0xc8, v0
	s_or_b64 s[4:5], s[4:5], exec
	s_waitcnt lgkmcnt(0)
	v_mul_f64 v[8:9], v[4:5], v[54:55]
	v_mul_f64 v[6:7], v[2:3], v[54:55]
	v_fma_f64 v[2:3], v[2:3], v[52:53], -v[8:9]
	v_fmac_f64_e32 v[6:7], v[4:5], v[52:53]
	scratch_store_dwordx2 off, v[2:3], off offset:192
.LBB12_191:
	s_or_b64 exec, exec, s[6:7]
.LBB12_192:
	s_and_saveexec_b64 s[0:1], s[4:5]
	s_cbranch_execz .LBB12_194
; %bb.193:
	scratch_store_dwordx2 v10, v[6:7], off
.LBB12_194:
	s_or_b64 exec, exec, s[0:1]
	scratch_load_dwordx4 v[2:5], off, off
	scratch_load_dwordx4 v[6:9], v48, off
	scratch_load_dwordx4 v[10:13], v46, off
	scratch_load_dwordx4 v[52:55], v49, off
	scratch_load_dwordx4 v[56:59], v51, off
	scratch_load_dwordx4 v[60:63], v50, off
                                        ; kill: killed $vgpr51
                                        ; kill: killed $vgpr48
                                        ; kill: killed $vgpr49
                                        ; kill: killed $vgpr50
                                        ; kill: killed $vgpr46
	s_nop 0
	scratch_load_dwordx4 v[46:49], v47, off
	s_waitcnt vmcnt(6)
	global_store_dwordx4 v[16:17], v[2:5], off
	scratch_load_dwordx4 v[2:5], v44, off
	s_nop 0
	scratch_load_dwordx4 v[64:67], v45, off
	s_waitcnt vmcnt(8)
	global_store_dwordx4 v[14:15], v[6:9], off
	scratch_load_dwordx4 v[6:9], v42, off
	;; [unrolled: 5-line block ×3, first 2 shown]
	s_nop 0
	scratch_load_dwordx4 v[42:45], v1, off
	s_waitcnt vmcnt(12)
	global_store_dwordx4 v[20:21], v[52:55], off
	s_waitcnt vmcnt(12)
	global_store_dwordx4 v[22:23], v[56:59], off
	;; [unrolled: 2-line block ×10, first 2 shown]
.LBB12_195:
	s_endpgm
	.section	.rodata,"a",@progbits
	.p2align	6, 0x0
	.amdhsa_kernel _ZN9rocsolver6v33100L18trti2_kernel_smallILi13E19rocblas_complex_numIdEPS3_EEv13rocblas_fill_17rocblas_diagonal_T1_iil
		.amdhsa_group_segment_fixed_size 416
		.amdhsa_private_segment_fixed_size 224
		.amdhsa_kernarg_size 32
		.amdhsa_user_sgpr_count 2
		.amdhsa_user_sgpr_dispatch_ptr 0
		.amdhsa_user_sgpr_queue_ptr 0
		.amdhsa_user_sgpr_kernarg_segment_ptr 1
		.amdhsa_user_sgpr_dispatch_id 0
		.amdhsa_user_sgpr_kernarg_preload_length 0
		.amdhsa_user_sgpr_kernarg_preload_offset 0
		.amdhsa_user_sgpr_private_segment_size 0
		.amdhsa_uses_dynamic_stack 0
		.amdhsa_enable_private_segment 1
		.amdhsa_system_sgpr_workgroup_id_x 1
		.amdhsa_system_sgpr_workgroup_id_y 0
		.amdhsa_system_sgpr_workgroup_id_z 0
		.amdhsa_system_sgpr_workgroup_info 0
		.amdhsa_system_vgpr_workitem_id 0
		.amdhsa_next_free_vgpr 68
		.amdhsa_next_free_sgpr 12
		.amdhsa_accum_offset 68
		.amdhsa_reserve_vcc 1
		.amdhsa_float_round_mode_32 0
		.amdhsa_float_round_mode_16_64 0
		.amdhsa_float_denorm_mode_32 3
		.amdhsa_float_denorm_mode_16_64 3
		.amdhsa_dx10_clamp 1
		.amdhsa_ieee_mode 1
		.amdhsa_fp16_overflow 0
		.amdhsa_tg_split 0
		.amdhsa_exception_fp_ieee_invalid_op 0
		.amdhsa_exception_fp_denorm_src 0
		.amdhsa_exception_fp_ieee_div_zero 0
		.amdhsa_exception_fp_ieee_overflow 0
		.amdhsa_exception_fp_ieee_underflow 0
		.amdhsa_exception_fp_ieee_inexact 0
		.amdhsa_exception_int_div_zero 0
	.end_amdhsa_kernel
	.section	.text._ZN9rocsolver6v33100L18trti2_kernel_smallILi13E19rocblas_complex_numIdEPS3_EEv13rocblas_fill_17rocblas_diagonal_T1_iil,"axG",@progbits,_ZN9rocsolver6v33100L18trti2_kernel_smallILi13E19rocblas_complex_numIdEPS3_EEv13rocblas_fill_17rocblas_diagonal_T1_iil,comdat
.Lfunc_end12:
	.size	_ZN9rocsolver6v33100L18trti2_kernel_smallILi13E19rocblas_complex_numIdEPS3_EEv13rocblas_fill_17rocblas_diagonal_T1_iil, .Lfunc_end12-_ZN9rocsolver6v33100L18trti2_kernel_smallILi13E19rocblas_complex_numIdEPS3_EEv13rocblas_fill_17rocblas_diagonal_T1_iil
                                        ; -- End function
	.section	.AMDGPU.csdata,"",@progbits
; Kernel info:
; codeLenInByte = 8360
; NumSgprs: 18
; NumVgprs: 68
; NumAgprs: 0
; TotalNumVgprs: 68
; ScratchSize: 224
; MemoryBound: 0
; FloatMode: 240
; IeeeMode: 1
; LDSByteSize: 416 bytes/workgroup (compile time only)
; SGPRBlocks: 2
; VGPRBlocks: 8
; NumSGPRsForWavesPerEU: 18
; NumVGPRsForWavesPerEU: 68
; AccumOffset: 68
; Occupancy: 7
; WaveLimiterHint : 0
; COMPUTE_PGM_RSRC2:SCRATCH_EN: 1
; COMPUTE_PGM_RSRC2:USER_SGPR: 2
; COMPUTE_PGM_RSRC2:TRAP_HANDLER: 0
; COMPUTE_PGM_RSRC2:TGID_X_EN: 1
; COMPUTE_PGM_RSRC2:TGID_Y_EN: 0
; COMPUTE_PGM_RSRC2:TGID_Z_EN: 0
; COMPUTE_PGM_RSRC2:TIDIG_COMP_CNT: 0
; COMPUTE_PGM_RSRC3_GFX90A:ACCUM_OFFSET: 16
; COMPUTE_PGM_RSRC3_GFX90A:TG_SPLIT: 0
	.section	.text._ZN9rocsolver6v33100L18trti2_kernel_smallILi14E19rocblas_complex_numIdEPS3_EEv13rocblas_fill_17rocblas_diagonal_T1_iil,"axG",@progbits,_ZN9rocsolver6v33100L18trti2_kernel_smallILi14E19rocblas_complex_numIdEPS3_EEv13rocblas_fill_17rocblas_diagonal_T1_iil,comdat
	.globl	_ZN9rocsolver6v33100L18trti2_kernel_smallILi14E19rocblas_complex_numIdEPS3_EEv13rocblas_fill_17rocblas_diagonal_T1_iil ; -- Begin function _ZN9rocsolver6v33100L18trti2_kernel_smallILi14E19rocblas_complex_numIdEPS3_EEv13rocblas_fill_17rocblas_diagonal_T1_iil
	.p2align	8
	.type	_ZN9rocsolver6v33100L18trti2_kernel_smallILi14E19rocblas_complex_numIdEPS3_EEv13rocblas_fill_17rocblas_diagonal_T1_iil,@function
_ZN9rocsolver6v33100L18trti2_kernel_smallILi14E19rocblas_complex_numIdEPS3_EEv13rocblas_fill_17rocblas_diagonal_T1_iil: ; @_ZN9rocsolver6v33100L18trti2_kernel_smallILi14E19rocblas_complex_numIdEPS3_EEv13rocblas_fill_17rocblas_diagonal_T1_iil
; %bb.0:
	v_cmp_gt_u32_e32 vcc, 14, v0
	s_and_saveexec_b64 s[4:5], vcc
	s_cbranch_execz .LBB13_211
; %bb.1:
	s_load_dwordx8 s[4:11], s[0:1], 0x0
	s_ashr_i32 s3, s2, 31
	v_lshlrev_b32_e32 v42, 4, v0
	v_mov_b32_e32 v43, 0
	s_waitcnt lgkmcnt(0)
	s_ashr_i32 s1, s8, 31
	s_mov_b32 s0, s8
	s_mul_i32 s8, s2, s11
	s_mul_hi_u32 s11, s2, s10
	s_add_i32 s8, s11, s8
	s_mul_i32 s3, s3, s10
	s_add_i32 s3, s8, s3
	s_mul_i32 s2, s2, s10
	s_lshl_b64 s[2:3], s[2:3], 4
	s_add_u32 s2, s6, s2
	s_addc_u32 s3, s7, s3
	s_lshl_b64 s[0:1], s[0:1], 4
	s_add_u32 s0, s2, s0
	s_addc_u32 s1, s3, s1
	global_load_dwordx4 v[2:5], v42, s[0:1]
	s_add_i32 s6, s9, s9
	v_add_u32_e32 v6, s6, v0
	v_add_u32_e32 v18, s9, v6
	;; [unrolled: 1-line block ×10, first 2 shown]
	s_mov_b32 s2, s9
	s_ashr_i32 s3, s9, 31
	v_lshl_add_u64 v[20:21], s[0:1], 0, v[42:43]
	v_add_u32_e32 v66, s9, v64
	v_lshl_add_u64 v[14:15], s[2:3], 4, v[20:21]
	v_ashrrev_i32_e32 v7, 31, v6
	v_ashrrev_i32_e32 v19, 31, v18
	v_add_u32_e32 v28, s9, v66
	v_lshl_add_u64 v[16:17], v[6:7], 4, s[0:1]
	global_load_dwordx4 v[6:9], v[14:15], off
	global_load_dwordx4 v[10:13], v[16:17], off
	v_lshl_add_u64 v[18:19], v[18:19], 4, s[0:1]
	v_ashrrev_i32_e32 v23, 31, v22
	v_ashrrev_i32_e32 v25, 31, v24
	;; [unrolled: 1-line block ×3, first 2 shown]
	v_lshl_add_u64 v[22:23], v[22:23], 4, s[0:1]
	global_load_dwordx4 v[38:41], v[18:19], off
	global_load_dwordx4 v[44:47], v[22:23], off
	v_lshl_add_u64 v[24:25], v[24:25], 4, s[0:1]
	v_ashrrev_i32_e32 v27, 31, v26
	v_lshl_add_u64 v[28:29], v[28:29], 4, s[0:1]
	v_lshl_add_u64 v[26:27], v[26:27], 4, s[0:1]
	global_load_dwordx4 v[48:51], v[28:29], off
	v_ashrrev_i32_e32 v31, 31, v30
	v_lshl_add_u64 v[30:31], v[30:31], 4, s[0:1]
	v_ashrrev_i32_e32 v33, 31, v32
	v_ashrrev_i32_e32 v35, 31, v34
	v_lshl_add_u64 v[32:33], v[32:33], 4, s[0:1]
	v_lshl_add_u64 v[34:35], v[34:35], 4, s[0:1]
	v_ashrrev_i32_e32 v37, 31, v36
	v_ashrrev_i32_e32 v65, 31, v64
	v_lshl_add_u64 v[36:37], v[36:37], 4, s[0:1]
	v_ashrrev_i32_e32 v67, 31, v66
	s_cmpk_lg_i32 s5, 0x84
	s_cselect_b64 s[6:7], -1, 0
	s_cmpk_eq_i32 s5, 0x84
	s_waitcnt vmcnt(5)
	scratch_store_dwordx4 off, v[2:5], off
	global_load_dwordx4 v[2:5], v[24:25], off
	s_nop 0
	global_load_dwordx4 v[52:55], v[26:27], off
	s_waitcnt vmcnt(7)
	scratch_store_dwordx4 off, v[6:9], off offset:16
	s_waitcnt vmcnt(7)
	scratch_store_dwordx4 off, v[10:13], off offset:32
	global_load_dwordx4 v[6:9], v[30:31], off
	global_load_dwordx4 v[56:59], v[32:33], off
	s_waitcnt vmcnt(9)
	scratch_store_dwordx4 off, v[38:41], off offset:48
	s_waitcnt vmcnt(9)
	scratch_store_dwordx4 off, v[44:47], off offset:64
	global_load_dwordx4 v[44:47], v[34:35], off
	s_nop 0
	global_load_dwordx4 v[60:63], v[36:37], off
	v_lshl_add_u64 v[38:39], v[64:65], 4, s[0:1]
	v_lshl_add_u64 v[40:41], v[66:67], 4, s[0:1]
	v_mov_b32_e32 v12, 0
	s_waitcnt vmcnt(9)
	scratch_store_dwordx4 off, v[2:5], off offset:80
	s_waitcnt vmcnt(9)
	scratch_store_dwordx4 off, v[52:55], off offset:96
	global_load_dwordx4 v[2:5], v[38:39], off
	s_nop 0
	global_load_dwordx4 v[52:55], v[40:41], off
	s_waitcnt vmcnt(9)
	scratch_store_dwordx4 off, v[6:9], off offset:112
	s_waitcnt vmcnt(9)
	scratch_store_dwordx4 off, v[56:59], off offset:128
	;; [unrolled: 2-line block ×6, first 2 shown]
	scratch_store_dwordx4 off, v[48:51], off offset:208
	s_cbranch_scc1 .LBB13_7
; %bb.2:
	scratch_load_dwordx4 v[2:5], v42, off
                                        ; implicit-def: $vgpr10_vgpr11
	s_waitcnt vmcnt(0)
	v_xor_b32_e32 v1, 0x80000000, v3
	v_cmp_gt_f64_e32 vcc, 0, v[2:3]
	v_xor_b32_e32 v8, 0x80000000, v5
	v_mov_b32_e32 v6, v2
	v_cndmask_b32_e32 v7, v3, v1, vcc
	v_cmp_gt_f64_e32 vcc, 0, v[4:5]
	s_nop 1
	v_cndmask_b32_e32 v9, v5, v8, vcc
	v_mov_b32_e32 v8, v4
	v_cmp_ngt_f64_e32 vcc, v[6:7], v[8:9]
                                        ; implicit-def: $vgpr6_vgpr7
	s_and_saveexec_b64 s[0:1], vcc
	s_xor_b64 s[0:1], exec, s[0:1]
	s_cbranch_execz .LBB13_4
; %bb.3:
	v_div_scale_f64 v[6:7], s[2:3], v[4:5], v[4:5], v[2:3]
	v_rcp_f64_e32 v[8:9], v[6:7]
	v_div_scale_f64 v[10:11], vcc, v[2:3], v[4:5], v[2:3]
	v_fma_f64 v[44:45], -v[6:7], v[8:9], 1.0
	v_fmac_f64_e32 v[8:9], v[8:9], v[44:45]
	v_fma_f64 v[44:45], -v[6:7], v[8:9], 1.0
	v_fmac_f64_e32 v[8:9], v[8:9], v[44:45]
	v_mul_f64 v[44:45], v[10:11], v[8:9]
	v_fma_f64 v[6:7], -v[6:7], v[44:45], v[10:11]
	v_div_fmas_f64 v[6:7], v[6:7], v[8:9], v[44:45]
	v_div_fixup_f64 v[6:7], v[6:7], v[4:5], v[2:3]
	v_fmac_f64_e32 v[4:5], v[2:3], v[6:7]
	v_div_scale_f64 v[2:3], s[2:3], v[4:5], v[4:5], 1.0
	v_rcp_f64_e32 v[8:9], v[2:3]
	s_nop 0
	v_fma_f64 v[10:11], -v[2:3], v[8:9], 1.0
	v_fmac_f64_e32 v[8:9], v[8:9], v[10:11]
	v_fma_f64 v[10:11], -v[2:3], v[8:9], 1.0
	v_fmac_f64_e32 v[8:9], v[8:9], v[10:11]
	v_div_scale_f64 v[10:11], vcc, 1.0, v[4:5], 1.0
	v_mul_f64 v[44:45], v[10:11], v[8:9]
	v_fma_f64 v[2:3], -v[2:3], v[44:45], v[10:11]
	s_nop 1
	v_div_fmas_f64 v[2:3], v[2:3], v[8:9], v[44:45]
	v_div_fixup_f64 v[8:9], v[2:3], v[4:5], 1.0
	v_mul_f64 v[6:7], v[6:7], v[8:9]
	v_xor_b32_e32 v9, 0x80000000, v9
	v_xor_b32_e32 v11, 0x80000000, v7
	v_mov_b32_e32 v10, v6
                                        ; implicit-def: $vgpr2_vgpr3
.LBB13_4:
	s_or_saveexec_b64 s[0:1], s[0:1]
	v_add_u32_e32 v1, 0, v42
	s_xor_b64 exec, exec, s[0:1]
	s_cbranch_execz .LBB13_6
; %bb.5:
	v_div_scale_f64 v[6:7], s[2:3], v[2:3], v[2:3], v[4:5]
	v_rcp_f64_e32 v[8:9], v[6:7]
	v_div_scale_f64 v[10:11], vcc, v[4:5], v[2:3], v[4:5]
	v_fma_f64 v[44:45], -v[6:7], v[8:9], 1.0
	v_fmac_f64_e32 v[8:9], v[8:9], v[44:45]
	v_fma_f64 v[44:45], -v[6:7], v[8:9], 1.0
	v_fmac_f64_e32 v[8:9], v[8:9], v[44:45]
	v_mul_f64 v[44:45], v[10:11], v[8:9]
	v_fma_f64 v[6:7], -v[6:7], v[44:45], v[10:11]
	v_div_fmas_f64 v[6:7], v[6:7], v[8:9], v[44:45]
	v_div_fixup_f64 v[8:9], v[6:7], v[2:3], v[4:5]
	v_fmac_f64_e32 v[2:3], v[4:5], v[8:9]
	v_div_scale_f64 v[4:5], s[2:3], v[2:3], v[2:3], 1.0
	v_rcp_f64_e32 v[6:7], v[4:5]
	s_nop 0
	v_fma_f64 v[10:11], -v[4:5], v[6:7], 1.0
	v_fmac_f64_e32 v[6:7], v[6:7], v[10:11]
	v_fma_f64 v[10:11], -v[4:5], v[6:7], 1.0
	v_fmac_f64_e32 v[6:7], v[6:7], v[10:11]
	v_div_scale_f64 v[10:11], vcc, 1.0, v[2:3], 1.0
	v_mul_f64 v[44:45], v[10:11], v[6:7]
	v_fma_f64 v[4:5], -v[4:5], v[44:45], v[10:11]
	s_nop 1
	v_div_fmas_f64 v[4:5], v[4:5], v[6:7], v[44:45]
	v_div_fixup_f64 v[6:7], v[4:5], v[2:3], 1.0
	v_xor_b32_e32 v11, 0x80000000, v7
	v_mov_b32_e32 v10, v6
	v_mul_f64 v[8:9], v[8:9], -v[6:7]
.LBB13_6:
	s_or_b64 exec, exec, s[0:1]
	scratch_store_dwordx4 v1, v[6:9], off
	s_nop 1
	v_xor_b32_e32 v9, 0x80000000, v9
	s_branch .LBB13_8
.LBB13_7:
	v_mov_b64_e32 v[8:9], 0
	v_mov_b64_e32 v[10:11], -1.0
.LBB13_8:
	v_add_u32_e32 v53, 16, v12
	v_add_u32_e32 v51, 32, v12
	;; [unrolled: 1-line block ×13, first 2 shown]
	v_mov_b32_e32 v12, v8
	v_mov_b32_e32 v13, v9
	s_cmpk_eq_i32 s4, 0x79
	v_add_u32_e32 v9, 0xe0, v42
	v_add_u32_e32 v8, 0, v42
	ds_write_b128 v42, v[10:13]
	s_cbranch_scc1 .LBB13_108
; %bb.9:
	scratch_load_dwordx4 v[2:5], v1, off
	v_cmp_eq_u32_e64 s[0:1], 13, v0
	s_waitcnt vmcnt(0)
	ds_write_b128 v9, v[2:5]
	s_waitcnt lgkmcnt(0)
	; wave barrier
	s_waitcnt lgkmcnt(0)
	s_and_saveexec_b64 s[2:3], s[0:1]
	s_cbranch_execz .LBB13_13
; %bb.10:
	ds_read_b128 v[2:5], v9
	s_andn2_b64 vcc, exec, s[6:7]
	s_cbranch_vccnz .LBB13_12
; %bb.11:
	scratch_load_dwordx4 v[10:13], v8, off
	s_waitcnt vmcnt(0) lgkmcnt(0)
	v_mul_f64 v[6:7], v[4:5], v[12:13]
	v_mul_f64 v[12:13], v[2:3], v[12:13]
	v_fmac_f64_e32 v[12:13], v[4:5], v[10:11]
	v_fma_f64 v[2:3], v[2:3], v[10:11], -v[6:7]
	v_mov_b64_e32 v[4:5], v[12:13]
.LBB13_12:
	v_mov_b32_e32 v6, 0
	ds_read_b128 v[10:13], v6 offset:192
	s_waitcnt lgkmcnt(0)
	v_mul_f64 v[6:7], v[4:5], v[12:13]
	v_mul_f64 v[58:59], v[2:3], v[12:13]
	v_fma_f64 v[56:57], v[2:3], v[10:11], -v[6:7]
	v_fmac_f64_e32 v[58:59], v[4:5], v[10:11]
	scratch_store_dwordx4 off, v[56:59], off offset:192
.LBB13_13:
	s_or_b64 exec, exec, s[2:3]
	scratch_load_dwordx4 v[2:5], v44, off
	v_cmp_lt_u32_e64 s[2:3], 11, v0
	s_waitcnt vmcnt(0)
	ds_write_b128 v9, v[2:5]
	s_waitcnt lgkmcnt(0)
	; wave barrier
	s_waitcnt lgkmcnt(0)
	s_and_saveexec_b64 s[4:5], s[2:3]
	s_cbranch_execz .LBB13_19
; %bb.14:
	ds_read_b128 v[2:5], v9
	s_andn2_b64 vcc, exec, s[6:7]
	s_cbranch_vccnz .LBB13_16
; %bb.15:
	scratch_load_dwordx4 v[10:13], v8, off
	s_waitcnt vmcnt(0) lgkmcnt(0)
	v_mul_f64 v[6:7], v[4:5], v[12:13]
	v_mul_f64 v[12:13], v[2:3], v[12:13]
	v_fmac_f64_e32 v[12:13], v[4:5], v[10:11]
	v_fma_f64 v[2:3], v[2:3], v[10:11], -v[6:7]
	v_mov_b64_e32 v[4:5], v[12:13]
.LBB13_16:
	s_and_saveexec_b64 s[8:9], s[0:1]
	s_cbranch_execz .LBB13_18
; %bb.17:
	scratch_load_dwordx4 v[10:13], off, off offset:192
	v_mov_b32_e32 v6, 0
	ds_read_b128 v[56:59], v6 offset:416
	s_waitcnt vmcnt(0) lgkmcnt(0)
	v_mul_f64 v[6:7], v[56:57], v[12:13]
	v_mul_f64 v[12:13], v[58:59], v[12:13]
	v_fmac_f64_e32 v[6:7], v[58:59], v[10:11]
	v_fma_f64 v[10:11], v[56:57], v[10:11], -v[12:13]
	v_add_f64 v[4:5], v[4:5], v[6:7]
	v_add_f64 v[2:3], v[2:3], v[10:11]
.LBB13_18:
	s_or_b64 exec, exec, s[8:9]
	v_mov_b32_e32 v6, 0
	ds_read_b128 v[10:13], v6 offset:176
	s_waitcnt lgkmcnt(0)
	v_mul_f64 v[6:7], v[4:5], v[12:13]
	v_mul_f64 v[58:59], v[2:3], v[12:13]
	v_fma_f64 v[56:57], v[2:3], v[10:11], -v[6:7]
	v_fmac_f64_e32 v[58:59], v[4:5], v[10:11]
	scratch_store_dwordx4 off, v[56:59], off offset:176
.LBB13_19:
	s_or_b64 exec, exec, s[4:5]
	scratch_load_dwordx4 v[2:5], v45, off
	v_cmp_lt_u32_e64 s[0:1], 10, v0
	s_waitcnt vmcnt(0)
	ds_write_b128 v9, v[2:5]
	s_waitcnt lgkmcnt(0)
	; wave barrier
	s_waitcnt lgkmcnt(0)
	s_and_saveexec_b64 s[4:5], s[0:1]
	s_cbranch_execz .LBB13_27
; %bb.20:
	ds_read_b128 v[2:5], v9
	s_andn2_b64 vcc, exec, s[6:7]
	s_cbranch_vccnz .LBB13_22
; %bb.21:
	scratch_load_dwordx4 v[10:13], v8, off
	s_waitcnt vmcnt(0) lgkmcnt(0)
	v_mul_f64 v[6:7], v[4:5], v[12:13]
	v_mul_f64 v[12:13], v[2:3], v[12:13]
	v_fmac_f64_e32 v[12:13], v[4:5], v[10:11]
	v_fma_f64 v[2:3], v[2:3], v[10:11], -v[6:7]
	v_mov_b64_e32 v[4:5], v[12:13]
.LBB13_22:
	s_and_saveexec_b64 s[8:9], s[2:3]
	s_cbranch_execz .LBB13_26
; %bb.23:
	v_mov_b32_e32 v7, 0
	v_add_u32_e32 v6, -11, v0
	v_add_u32_e32 v7, 0xb8, v7
	s_movk_i32 s10, 0x190
	s_mov_b64 s[2:3], 0
.LBB13_24:                              ; =>This Inner Loop Header: Depth=1
	v_add_u32_e32 v10, -8, v7
	scratch_load_dwordx4 v[10:13], v10, off
	v_mov_b32_e32 v55, s10
	ds_read_b128 v[56:59], v55
	v_add_u32_e32 v6, -1, v6
	s_add_i32 s10, s10, 16
	v_cmp_eq_u32_e32 vcc, 0, v6
	v_add_u32_e32 v7, 16, v7
	s_or_b64 s[2:3], vcc, s[2:3]
	s_waitcnt vmcnt(0) lgkmcnt(0)
	v_mul_f64 v[60:61], v[58:59], v[12:13]
	v_mul_f64 v[12:13], v[56:57], v[12:13]
	v_fma_f64 v[56:57], v[56:57], v[10:11], -v[60:61]
	v_fmac_f64_e32 v[12:13], v[58:59], v[10:11]
	v_add_f64 v[2:3], v[2:3], v[56:57]
	v_add_f64 v[4:5], v[4:5], v[12:13]
	s_andn2_b64 exec, exec, s[2:3]
	s_cbranch_execnz .LBB13_24
; %bb.25:
	s_or_b64 exec, exec, s[2:3]
.LBB13_26:
	s_or_b64 exec, exec, s[8:9]
	v_mov_b32_e32 v6, 0
	ds_read_b128 v[10:13], v6 offset:160
	s_waitcnt lgkmcnt(0)
	v_mul_f64 v[6:7], v[4:5], v[12:13]
	v_mul_f64 v[58:59], v[2:3], v[12:13]
	v_fma_f64 v[56:57], v[2:3], v[10:11], -v[6:7]
	v_fmac_f64_e32 v[58:59], v[4:5], v[10:11]
	scratch_store_dwordx4 off, v[56:59], off offset:160
.LBB13_27:
	s_or_b64 exec, exec, s[4:5]
	scratch_load_dwordx4 v[2:5], v46, off
	v_cmp_lt_u32_e64 s[2:3], 9, v0
	s_waitcnt vmcnt(0)
	ds_write_b128 v9, v[2:5]
	s_waitcnt lgkmcnt(0)
	; wave barrier
	s_waitcnt lgkmcnt(0)
	s_and_saveexec_b64 s[4:5], s[2:3]
	s_cbranch_execz .LBB13_35
; %bb.28:
	ds_read_b128 v[2:5], v9
	s_andn2_b64 vcc, exec, s[6:7]
	s_cbranch_vccnz .LBB13_30
; %bb.29:
	scratch_load_dwordx4 v[10:13], v8, off
	s_waitcnt vmcnt(0) lgkmcnt(0)
	v_mul_f64 v[6:7], v[4:5], v[12:13]
	v_mul_f64 v[12:13], v[2:3], v[12:13]
	v_fmac_f64_e32 v[12:13], v[4:5], v[10:11]
	v_fma_f64 v[2:3], v[2:3], v[10:11], -v[6:7]
	v_mov_b64_e32 v[4:5], v[12:13]
.LBB13_30:
	s_and_saveexec_b64 s[8:9], s[0:1]
	s_cbranch_execz .LBB13_34
; %bb.31:
	v_mov_b32_e32 v7, 0
	v_add_u32_e32 v6, -10, v0
	v_add_u32_e32 v7, 0xa8, v7
	s_movk_i32 s10, 0x180
	s_mov_b64 s[0:1], 0
.LBB13_32:                              ; =>This Inner Loop Header: Depth=1
	v_add_u32_e32 v10, -8, v7
	scratch_load_dwordx4 v[10:13], v10, off
	v_mov_b32_e32 v55, s10
	ds_read_b128 v[56:59], v55
	v_add_u32_e32 v6, -1, v6
	s_add_i32 s10, s10, 16
	v_cmp_eq_u32_e32 vcc, 0, v6
	v_add_u32_e32 v7, 16, v7
	s_or_b64 s[0:1], vcc, s[0:1]
	s_waitcnt vmcnt(0) lgkmcnt(0)
	v_mul_f64 v[60:61], v[58:59], v[12:13]
	v_mul_f64 v[12:13], v[56:57], v[12:13]
	v_fma_f64 v[56:57], v[56:57], v[10:11], -v[60:61]
	v_fmac_f64_e32 v[12:13], v[58:59], v[10:11]
	v_add_f64 v[2:3], v[2:3], v[56:57]
	v_add_f64 v[4:5], v[4:5], v[12:13]
	s_andn2_b64 exec, exec, s[0:1]
	s_cbranch_execnz .LBB13_32
; %bb.33:
	s_or_b64 exec, exec, s[0:1]
.LBB13_34:
	s_or_b64 exec, exec, s[8:9]
	v_mov_b32_e32 v6, 0
	ds_read_b128 v[10:13], v6 offset:144
	s_waitcnt lgkmcnt(0)
	v_mul_f64 v[6:7], v[4:5], v[12:13]
	v_mul_f64 v[58:59], v[2:3], v[12:13]
	v_fma_f64 v[56:57], v[2:3], v[10:11], -v[6:7]
	v_fmac_f64_e32 v[58:59], v[4:5], v[10:11]
	scratch_store_dwordx4 off, v[56:59], off offset:144
.LBB13_35:
	;; [unrolled: 63-line block ×10, first 2 shown]
	s_or_b64 exec, exec, s[2:3]
	scratch_load_dwordx4 v[2:5], off, off
	v_cmp_ne_u32_e32 vcc, 0, v0
	s_mov_b64 s[2:3], 0
	s_mov_b64 s[4:5], 0
                                        ; implicit-def: $vgpr6_vgpr7
                                        ; implicit-def: $vgpr10
	s_waitcnt vmcnt(0)
	ds_write_b128 v9, v[2:5]
	s_waitcnt lgkmcnt(0)
	; wave barrier
	s_waitcnt lgkmcnt(0)
	s_and_saveexec_b64 s[8:9], vcc
	s_cbranch_execz .LBB13_107
; %bb.100:
	ds_read_b128 v[2:5], v9
	s_andn2_b64 vcc, exec, s[6:7]
	s_cbranch_vccnz .LBB13_102
; %bb.101:
	scratch_load_dwordx4 v[10:13], v8, off
	s_waitcnt vmcnt(0) lgkmcnt(0)
	v_mul_f64 v[6:7], v[4:5], v[12:13]
	v_mul_f64 v[12:13], v[2:3], v[12:13]
	v_fmac_f64_e32 v[12:13], v[4:5], v[10:11]
	v_fma_f64 v[2:3], v[2:3], v[10:11], -v[6:7]
	v_mov_b64_e32 v[4:5], v[12:13]
.LBB13_102:
	s_and_saveexec_b64 s[4:5], s[0:1]
	s_cbranch_execz .LBB13_106
; %bb.103:
	v_mov_b32_e32 v7, 0
	v_add_u32_e32 v6, -1, v0
	v_add_u32_e32 v7, 24, v7
	s_movk_i32 s10, 0xf0
	s_mov_b64 s[0:1], 0
.LBB13_104:                             ; =>This Inner Loop Header: Depth=1
	v_add_u32_e32 v10, -8, v7
	scratch_load_dwordx4 v[10:13], v10, off
	v_mov_b32_e32 v55, s10
	ds_read_b128 v[56:59], v55
	v_add_u32_e32 v6, -1, v6
	s_add_i32 s10, s10, 16
	v_cmp_eq_u32_e32 vcc, 0, v6
	v_add_u32_e32 v7, 16, v7
	s_or_b64 s[0:1], vcc, s[0:1]
	s_waitcnt vmcnt(0) lgkmcnt(0)
	v_mul_f64 v[60:61], v[58:59], v[12:13]
	v_mul_f64 v[12:13], v[56:57], v[12:13]
	v_fma_f64 v[56:57], v[56:57], v[10:11], -v[60:61]
	v_fmac_f64_e32 v[12:13], v[58:59], v[10:11]
	v_add_f64 v[2:3], v[2:3], v[56:57]
	v_add_f64 v[4:5], v[4:5], v[12:13]
	s_andn2_b64 exec, exec, s[0:1]
	s_cbranch_execnz .LBB13_104
; %bb.105:
	s_or_b64 exec, exec, s[0:1]
.LBB13_106:
	s_or_b64 exec, exec, s[4:5]
	v_mov_b32_e32 v6, 0
	ds_read_b128 v[56:59], v6
	v_mov_b32_e32 v6, 0
	v_or_b32_e32 v10, 8, v6
	s_mov_b64 s[4:5], exec
	s_waitcnt lgkmcnt(0)
	v_mul_f64 v[12:13], v[4:5], v[58:59]
	v_mul_f64 v[6:7], v[2:3], v[58:59]
	v_fma_f64 v[2:3], v[2:3], v[56:57], -v[12:13]
	v_fmac_f64_e32 v[6:7], v[4:5], v[56:57]
	scratch_store_dwordx2 off, v[2:3], off
.LBB13_107:
	s_or_b64 exec, exec, s[8:9]
	s_and_b64 vcc, exec, s[2:3]
	s_cbranch_vccnz .LBB13_109
	s_branch .LBB13_208
.LBB13_108:
	s_mov_b64 s[4:5], 0
                                        ; implicit-def: $vgpr6_vgpr7
                                        ; implicit-def: $vgpr10
	s_cbranch_execz .LBB13_208
.LBB13_109:
	scratch_load_dwordx4 v[2:5], v53, off
	v_cndmask_b32_e64 v6, 0, 1, s[6:7]
	v_cmp_eq_u32_e64 s[2:3], 0, v0
	v_cmp_ne_u32_e64 s[0:1], 1, v6
	s_waitcnt vmcnt(0)
	ds_write_b128 v9, v[2:5]
	s_waitcnt lgkmcnt(0)
	; wave barrier
	s_waitcnt lgkmcnt(0)
	s_and_saveexec_b64 s[6:7], s[2:3]
	s_cbranch_execz .LBB13_113
; %bb.110:
	ds_read_b128 v[2:5], v9
	s_and_b64 vcc, exec, s[0:1]
	s_cbranch_vccnz .LBB13_112
; %bb.111:
	scratch_load_dwordx4 v[10:13], v8, off
	s_waitcnt vmcnt(0) lgkmcnt(0)
	v_mul_f64 v[6:7], v[4:5], v[12:13]
	v_mul_f64 v[12:13], v[2:3], v[12:13]
	v_fmac_f64_e32 v[12:13], v[4:5], v[10:11]
	v_fma_f64 v[2:3], v[2:3], v[10:11], -v[6:7]
	v_mov_b64_e32 v[4:5], v[12:13]
.LBB13_112:
	v_mov_b32_e32 v6, 0
	ds_read_b128 v[10:13], v6 offset:16
	s_waitcnt lgkmcnt(0)
	v_mul_f64 v[6:7], v[4:5], v[12:13]
	v_mul_f64 v[58:59], v[2:3], v[12:13]
	v_fma_f64 v[56:57], v[2:3], v[10:11], -v[6:7]
	v_fmac_f64_e32 v[58:59], v[4:5], v[10:11]
	scratch_store_dwordx4 off, v[56:59], off offset:16
.LBB13_113:
	s_or_b64 exec, exec, s[6:7]
	scratch_load_dwordx4 v[2:5], v51, off
	v_cmp_gt_u32_e32 vcc, 2, v0
	s_waitcnt vmcnt(0)
	ds_write_b128 v9, v[2:5]
	s_waitcnt lgkmcnt(0)
	; wave barrier
	s_waitcnt lgkmcnt(0)
	s_and_saveexec_b64 s[6:7], vcc
	s_cbranch_execz .LBB13_119
; %bb.114:
	ds_read_b128 v[2:5], v9
	s_and_b64 vcc, exec, s[0:1]
	s_cbranch_vccnz .LBB13_116
; %bb.115:
	scratch_load_dwordx4 v[10:13], v8, off
	s_waitcnt vmcnt(0) lgkmcnt(0)
	v_mul_f64 v[6:7], v[4:5], v[12:13]
	v_mul_f64 v[12:13], v[2:3], v[12:13]
	v_fmac_f64_e32 v[12:13], v[4:5], v[10:11]
	v_fma_f64 v[2:3], v[2:3], v[10:11], -v[6:7]
	v_mov_b64_e32 v[4:5], v[12:13]
.LBB13_116:
	s_and_saveexec_b64 s[8:9], s[2:3]
	s_cbranch_execz .LBB13_118
; %bb.117:
	scratch_load_dwordx4 v[10:13], v8, off offset:16
	ds_read_b128 v[56:59], v9 offset:16
	s_waitcnt vmcnt(0) lgkmcnt(0)
	v_mul_f64 v[6:7], v[58:59], v[12:13]
	v_mul_f64 v[12:13], v[56:57], v[12:13]
	v_fma_f64 v[6:7], v[56:57], v[10:11], -v[6:7]
	v_fmac_f64_e32 v[12:13], v[58:59], v[10:11]
	v_add_f64 v[2:3], v[2:3], v[6:7]
	v_add_f64 v[4:5], v[4:5], v[12:13]
.LBB13_118:
	s_or_b64 exec, exec, s[8:9]
	v_mov_b32_e32 v6, 0
	ds_read_b128 v[10:13], v6 offset:32
	s_waitcnt lgkmcnt(0)
	v_mul_f64 v[6:7], v[4:5], v[12:13]
	v_mul_f64 v[58:59], v[2:3], v[12:13]
	v_fma_f64 v[56:57], v[2:3], v[10:11], -v[6:7]
	v_fmac_f64_e32 v[58:59], v[4:5], v[10:11]
	scratch_store_dwordx4 off, v[56:59], off offset:32
.LBB13_119:
	s_or_b64 exec, exec, s[6:7]
	scratch_load_dwordx4 v[2:5], v54, off
	v_cmp_gt_u32_e32 vcc, 3, v0
	s_waitcnt vmcnt(0)
	ds_write_b128 v9, v[2:5]
	s_waitcnt lgkmcnt(0)
	; wave barrier
	s_waitcnt lgkmcnt(0)
	s_and_saveexec_b64 s[6:7], vcc
	s_cbranch_execz .LBB13_127
; %bb.120:
	ds_read_b128 v[2:5], v9
	s_and_b64 vcc, exec, s[0:1]
	s_cbranch_vccnz .LBB13_122
; %bb.121:
	scratch_load_dwordx4 v[10:13], v8, off
	s_waitcnt vmcnt(0) lgkmcnt(0)
	v_mul_f64 v[6:7], v[4:5], v[12:13]
	v_mul_f64 v[12:13], v[2:3], v[12:13]
	v_fmac_f64_e32 v[12:13], v[4:5], v[10:11]
	v_fma_f64 v[2:3], v[2:3], v[10:11], -v[6:7]
	v_mov_b64_e32 v[4:5], v[12:13]
.LBB13_122:
	v_cmp_ne_u32_e32 vcc, 2, v0
	s_and_saveexec_b64 s[8:9], vcc
	s_cbranch_execz .LBB13_126
; %bb.123:
	scratch_load_dwordx4 v[10:13], v8, off offset:16
	ds_read_b128 v[56:59], v9 offset:16
	s_waitcnt vmcnt(0) lgkmcnt(0)
	v_mul_f64 v[6:7], v[58:59], v[12:13]
	v_mul_f64 v[12:13], v[56:57], v[12:13]
	v_fma_f64 v[6:7], v[56:57], v[10:11], -v[6:7]
	v_fmac_f64_e32 v[12:13], v[58:59], v[10:11]
	v_add_f64 v[2:3], v[2:3], v[6:7]
	v_add_f64 v[4:5], v[4:5], v[12:13]
	s_and_saveexec_b64 s[10:11], s[2:3]
	s_cbranch_execz .LBB13_125
; %bb.124:
	scratch_load_dwordx4 v[10:13], off, off offset:32
	v_mov_b32_e32 v6, 0
	ds_read_b128 v[56:59], v6 offset:256
	s_waitcnt vmcnt(0) lgkmcnt(0)
	v_mul_f64 v[6:7], v[56:57], v[12:13]
	v_mul_f64 v[12:13], v[58:59], v[12:13]
	v_fmac_f64_e32 v[6:7], v[58:59], v[10:11]
	v_fma_f64 v[10:11], v[56:57], v[10:11], -v[12:13]
	v_add_f64 v[4:5], v[4:5], v[6:7]
	v_add_f64 v[2:3], v[2:3], v[10:11]
.LBB13_125:
	s_or_b64 exec, exec, s[10:11]
.LBB13_126:
	s_or_b64 exec, exec, s[8:9]
	v_mov_b32_e32 v6, 0
	ds_read_b128 v[10:13], v6 offset:48
	s_waitcnt lgkmcnt(0)
	v_mul_f64 v[6:7], v[4:5], v[12:13]
	v_mul_f64 v[58:59], v[2:3], v[12:13]
	v_fma_f64 v[56:57], v[2:3], v[10:11], -v[6:7]
	v_fmac_f64_e32 v[58:59], v[4:5], v[10:11]
	scratch_store_dwordx4 off, v[56:59], off offset:48
.LBB13_127:
	s_or_b64 exec, exec, s[6:7]
	scratch_load_dwordx4 v[2:5], v52, off
	v_cmp_gt_u32_e32 vcc, 4, v0
	s_waitcnt vmcnt(0)
	ds_write_b128 v9, v[2:5]
	s_waitcnt lgkmcnt(0)
	; wave barrier
	s_waitcnt lgkmcnt(0)
	s_and_saveexec_b64 s[2:3], vcc
	s_cbranch_execz .LBB13_135
; %bb.128:
	ds_read_b128 v[2:5], v9
	s_and_b64 vcc, exec, s[0:1]
	s_cbranch_vccnz .LBB13_130
; %bb.129:
	scratch_load_dwordx4 v[10:13], v8, off
	s_waitcnt vmcnt(0) lgkmcnt(0)
	v_mul_f64 v[6:7], v[4:5], v[12:13]
	v_mul_f64 v[12:13], v[2:3], v[12:13]
	v_fmac_f64_e32 v[12:13], v[4:5], v[10:11]
	v_fma_f64 v[2:3], v[2:3], v[10:11], -v[6:7]
	v_mov_b64_e32 v[4:5], v[12:13]
.LBB13_130:
	v_cmp_ne_u32_e32 vcc, 3, v0
	s_and_saveexec_b64 s[6:7], vcc
	s_cbranch_execz .LBB13_134
; %bb.131:
	v_mov_b32_e32 v7, 0
	v_add_u32_e32 v6, 0xf0, v42
	v_add3_u32 v7, v42, v7, 24
	s_mov_b64 s[8:9], 0
	v_mov_b32_e32 v10, v0
.LBB13_132:                             ; =>This Inner Loop Header: Depth=1
	v_add_u32_e32 v11, -8, v7
	scratch_load_dwordx4 v[56:59], v11, off
	ds_read_b128 v[60:63], v6
	v_add_u32_e32 v10, 1, v10
	v_cmp_lt_u32_e32 vcc, 2, v10
	v_add_u32_e32 v6, 16, v6
	v_add_u32_e32 v7, 16, v7
	s_or_b64 s[8:9], vcc, s[8:9]
	s_waitcnt vmcnt(0) lgkmcnt(0)
	v_mul_f64 v[12:13], v[62:63], v[58:59]
	v_mul_f64 v[58:59], v[60:61], v[58:59]
	v_fma_f64 v[12:13], v[60:61], v[56:57], -v[12:13]
	v_fmac_f64_e32 v[58:59], v[62:63], v[56:57]
	v_add_f64 v[2:3], v[2:3], v[12:13]
	v_add_f64 v[4:5], v[4:5], v[58:59]
	s_andn2_b64 exec, exec, s[8:9]
	s_cbranch_execnz .LBB13_132
; %bb.133:
	s_or_b64 exec, exec, s[8:9]
.LBB13_134:
	s_or_b64 exec, exec, s[6:7]
	v_mov_b32_e32 v6, 0
	ds_read_b128 v[10:13], v6 offset:64
	s_waitcnt lgkmcnt(0)
	v_mul_f64 v[6:7], v[4:5], v[12:13]
	v_mul_f64 v[58:59], v[2:3], v[12:13]
	v_fma_f64 v[56:57], v[2:3], v[10:11], -v[6:7]
	v_fmac_f64_e32 v[58:59], v[4:5], v[10:11]
	scratch_store_dwordx4 off, v[56:59], off offset:64
.LBB13_135:
	s_or_b64 exec, exec, s[2:3]
	scratch_load_dwordx4 v[2:5], v50, off
	v_cmp_gt_u32_e32 vcc, 5, v0
	s_waitcnt vmcnt(0)
	ds_write_b128 v9, v[2:5]
	s_waitcnt lgkmcnt(0)
	; wave barrier
	s_waitcnt lgkmcnt(0)
	s_and_saveexec_b64 s[2:3], vcc
	s_cbranch_execz .LBB13_143
; %bb.136:
	ds_read_b128 v[2:5], v9
	s_and_b64 vcc, exec, s[0:1]
	s_cbranch_vccnz .LBB13_138
; %bb.137:
	scratch_load_dwordx4 v[10:13], v8, off
	s_waitcnt vmcnt(0) lgkmcnt(0)
	v_mul_f64 v[6:7], v[4:5], v[12:13]
	v_mul_f64 v[12:13], v[2:3], v[12:13]
	v_fmac_f64_e32 v[12:13], v[4:5], v[10:11]
	v_fma_f64 v[2:3], v[2:3], v[10:11], -v[6:7]
	v_mov_b64_e32 v[4:5], v[12:13]
.LBB13_138:
	v_cmp_ne_u32_e32 vcc, 4, v0
	s_and_saveexec_b64 s[6:7], vcc
	s_cbranch_execz .LBB13_142
; %bb.139:
	v_mov_b32_e32 v7, 0
	v_add_u32_e32 v6, 0xf0, v42
	v_add3_u32 v7, v42, v7, 24
	s_mov_b64 s[8:9], 0
	v_mov_b32_e32 v10, v0
.LBB13_140:                             ; =>This Inner Loop Header: Depth=1
	v_add_u32_e32 v11, -8, v7
	scratch_load_dwordx4 v[56:59], v11, off
	ds_read_b128 v[60:63], v6
	v_add_u32_e32 v10, 1, v10
	v_cmp_lt_u32_e32 vcc, 3, v10
	v_add_u32_e32 v6, 16, v6
	v_add_u32_e32 v7, 16, v7
	s_or_b64 s[8:9], vcc, s[8:9]
	s_waitcnt vmcnt(0) lgkmcnt(0)
	v_mul_f64 v[12:13], v[62:63], v[58:59]
	v_mul_f64 v[58:59], v[60:61], v[58:59]
	v_fma_f64 v[12:13], v[60:61], v[56:57], -v[12:13]
	v_fmac_f64_e32 v[58:59], v[62:63], v[56:57]
	v_add_f64 v[2:3], v[2:3], v[12:13]
	v_add_f64 v[4:5], v[4:5], v[58:59]
	s_andn2_b64 exec, exec, s[8:9]
	s_cbranch_execnz .LBB13_140
; %bb.141:
	s_or_b64 exec, exec, s[8:9]
.LBB13_142:
	s_or_b64 exec, exec, s[6:7]
	v_mov_b32_e32 v6, 0
	ds_read_b128 v[10:13], v6 offset:80
	s_waitcnt lgkmcnt(0)
	v_mul_f64 v[6:7], v[4:5], v[12:13]
	v_mul_f64 v[58:59], v[2:3], v[12:13]
	v_fma_f64 v[56:57], v[2:3], v[10:11], -v[6:7]
	v_fmac_f64_e32 v[58:59], v[4:5], v[10:11]
	scratch_store_dwordx4 off, v[56:59], off offset:80
.LBB13_143:
	;; [unrolled: 63-line block ×8, first 2 shown]
	s_or_b64 exec, exec, s[2:3]
	scratch_load_dwordx4 v[2:5], v1, off
	v_cmp_gt_u32_e64 s[2:3], 12, v0
	s_waitcnt vmcnt(0)
	ds_write_b128 v9, v[2:5]
	s_waitcnt lgkmcnt(0)
	; wave barrier
	s_waitcnt lgkmcnt(0)
	s_and_saveexec_b64 s[6:7], s[2:3]
	s_cbranch_execz .LBB13_199
; %bb.192:
	ds_read_b128 v[2:5], v9
	s_and_b64 vcc, exec, s[0:1]
	s_cbranch_vccnz .LBB13_194
; %bb.193:
	scratch_load_dwordx4 v[10:13], v8, off
	s_waitcnt vmcnt(0) lgkmcnt(0)
	v_mul_f64 v[6:7], v[4:5], v[12:13]
	v_mul_f64 v[12:13], v[2:3], v[12:13]
	v_fmac_f64_e32 v[12:13], v[4:5], v[10:11]
	v_fma_f64 v[2:3], v[2:3], v[10:11], -v[6:7]
	v_mov_b64_e32 v[4:5], v[12:13]
.LBB13_194:
	v_cmp_ne_u32_e32 vcc, 11, v0
	s_and_saveexec_b64 s[8:9], vcc
	s_cbranch_execz .LBB13_198
; %bb.195:
	v_mov_b32_e32 v7, 0
	v_add_u32_e32 v6, 0xf0, v42
	v_add3_u32 v7, v42, v7, 24
	s_mov_b64 s[10:11], 0
	v_mov_b32_e32 v10, v0
.LBB13_196:                             ; =>This Inner Loop Header: Depth=1
	v_add_u32_e32 v11, -8, v7
	scratch_load_dwordx4 v[56:59], v11, off
	ds_read_b128 v[60:63], v6
	v_add_u32_e32 v10, 1, v10
	v_cmp_lt_u32_e32 vcc, 10, v10
	v_add_u32_e32 v6, 16, v6
	v_add_u32_e32 v7, 16, v7
	s_or_b64 s[10:11], vcc, s[10:11]
	s_waitcnt vmcnt(0) lgkmcnt(0)
	v_mul_f64 v[12:13], v[62:63], v[58:59]
	v_mul_f64 v[58:59], v[60:61], v[58:59]
	v_fma_f64 v[12:13], v[60:61], v[56:57], -v[12:13]
	v_fmac_f64_e32 v[58:59], v[62:63], v[56:57]
	v_add_f64 v[2:3], v[2:3], v[12:13]
	v_add_f64 v[4:5], v[4:5], v[58:59]
	s_andn2_b64 exec, exec, s[10:11]
	s_cbranch_execnz .LBB13_196
; %bb.197:
	s_or_b64 exec, exec, s[10:11]
.LBB13_198:
	s_or_b64 exec, exec, s[8:9]
	v_mov_b32_e32 v6, 0
	ds_read_b128 v[10:13], v6 offset:192
	s_waitcnt lgkmcnt(0)
	v_mul_f64 v[6:7], v[4:5], v[12:13]
	v_mul_f64 v[58:59], v[2:3], v[12:13]
	v_fma_f64 v[56:57], v[2:3], v[10:11], -v[6:7]
	v_fmac_f64_e32 v[58:59], v[4:5], v[10:11]
	scratch_store_dwordx4 off, v[56:59], off offset:192
.LBB13_199:
	s_or_b64 exec, exec, s[6:7]
	scratch_load_dwordx4 v[2:5], v43, off
	v_cmp_ne_u32_e32 vcc, 13, v0
                                        ; implicit-def: $vgpr6_vgpr7
                                        ; implicit-def: $vgpr10
	s_waitcnt vmcnt(0)
	ds_write_b128 v9, v[2:5]
	s_waitcnt lgkmcnt(0)
	; wave barrier
	s_waitcnt lgkmcnt(0)
	s_and_saveexec_b64 s[6:7], vcc
	s_cbranch_execz .LBB13_207
; %bb.200:
	ds_read_b128 v[2:5], v9
	s_and_b64 vcc, exec, s[0:1]
	s_cbranch_vccnz .LBB13_202
; %bb.201:
	scratch_load_dwordx4 v[6:9], v8, off
	s_waitcnt vmcnt(0) lgkmcnt(0)
	v_mul_f64 v[10:11], v[4:5], v[8:9]
	v_mul_f64 v[8:9], v[2:3], v[8:9]
	v_fmac_f64_e32 v[8:9], v[4:5], v[6:7]
	v_fma_f64 v[2:3], v[2:3], v[6:7], -v[10:11]
	v_mov_b64_e32 v[4:5], v[8:9]
.LBB13_202:
	s_and_saveexec_b64 s[0:1], s[2:3]
	s_cbranch_execz .LBB13_206
; %bb.203:
	v_mov_b32_e32 v7, 0
	v_add_u32_e32 v6, 0xf0, v42
	v_add3_u32 v7, v42, v7, 24
	s_mov_b64 s[2:3], 0
.LBB13_204:                             ; =>This Inner Loop Header: Depth=1
	v_add_u32_e32 v8, -8, v7
	scratch_load_dwordx4 v[8:11], v8, off
	ds_read_b128 v[56:59], v6
	v_add_u32_e32 v0, 1, v0
	v_cmp_lt_u32_e32 vcc, 11, v0
	v_add_u32_e32 v6, 16, v6
	v_add_u32_e32 v7, 16, v7
	s_or_b64 s[2:3], vcc, s[2:3]
	s_waitcnt vmcnt(0) lgkmcnt(0)
	v_mul_f64 v[12:13], v[58:59], v[10:11]
	v_mul_f64 v[10:11], v[56:57], v[10:11]
	v_fma_f64 v[12:13], v[56:57], v[8:9], -v[12:13]
	v_fmac_f64_e32 v[10:11], v[58:59], v[8:9]
	v_add_f64 v[2:3], v[2:3], v[12:13]
	v_add_f64 v[4:5], v[4:5], v[10:11]
	s_andn2_b64 exec, exec, s[2:3]
	s_cbranch_execnz .LBB13_204
; %bb.205:
	s_or_b64 exec, exec, s[2:3]
.LBB13_206:
	s_or_b64 exec, exec, s[0:1]
	v_mov_b32_e32 v0, 0
	ds_read_b128 v[56:59], v0 offset:208
	v_mov_b32_e32 v0, 0
	v_add_u32_e32 v10, 0xd8, v0
	s_or_b64 s[4:5], s[4:5], exec
	s_waitcnt lgkmcnt(0)
	v_mul_f64 v[8:9], v[4:5], v[58:59]
	v_mul_f64 v[6:7], v[2:3], v[58:59]
	v_fma_f64 v[2:3], v[2:3], v[56:57], -v[8:9]
	v_fmac_f64_e32 v[6:7], v[4:5], v[56:57]
	scratch_store_dwordx2 off, v[2:3], off offset:208
.LBB13_207:
	s_or_b64 exec, exec, s[6:7]
.LBB13_208:
	s_and_saveexec_b64 s[0:1], s[4:5]
	s_cbranch_execz .LBB13_210
; %bb.209:
	scratch_store_dwordx2 v10, v[6:7], off
.LBB13_210:
	s_or_b64 exec, exec, s[0:1]
	scratch_load_dwordx4 v[2:5], off, off
	scratch_load_dwordx4 v[6:9], v53, off
	scratch_load_dwordx4 v[10:13], v51, off
	;; [unrolled: 1-line block ×4, first 2 shown]
                                        ; kill: killed $vgpr53
                                        ; kill: killed $vgpr54
                                        ; kill: killed $vgpr51
                                        ; kill: killed $vgpr52
	s_nop 0
	scratch_load_dwordx4 v[50:53], v50, off
	s_waitcnt vmcnt(5)
	global_store_dwordx4 v[20:21], v[2:5], off
	scratch_load_dwordx4 v[2:5], v48, off
	s_nop 0
	scratch_load_dwordx4 v[64:67], v49, off
	s_waitcnt vmcnt(7)
	global_store_dwordx4 v[14:15], v[6:9], off
	scratch_load_dwordx4 v[6:9], v47, off
	;; [unrolled: 5-line block ×4, first 2 shown]
	s_nop 0
	scratch_load_dwordx4 v[44:47], v43, off
	s_waitcnt vmcnt(13)
	global_store_dwordx4 v[22:23], v[60:63], off
	s_waitcnt vmcnt(13)
	global_store_dwordx4 v[24:25], v[50:53], off
	;; [unrolled: 2-line block ×10, first 2 shown]
.LBB13_211:
	s_endpgm
	.section	.rodata,"a",@progbits
	.p2align	6, 0x0
	.amdhsa_kernel _ZN9rocsolver6v33100L18trti2_kernel_smallILi14E19rocblas_complex_numIdEPS3_EEv13rocblas_fill_17rocblas_diagonal_T1_iil
		.amdhsa_group_segment_fixed_size 448
		.amdhsa_private_segment_fixed_size 240
		.amdhsa_kernarg_size 32
		.amdhsa_user_sgpr_count 2
		.amdhsa_user_sgpr_dispatch_ptr 0
		.amdhsa_user_sgpr_queue_ptr 0
		.amdhsa_user_sgpr_kernarg_segment_ptr 1
		.amdhsa_user_sgpr_dispatch_id 0
		.amdhsa_user_sgpr_kernarg_preload_length 0
		.amdhsa_user_sgpr_kernarg_preload_offset 0
		.amdhsa_user_sgpr_private_segment_size 0
		.amdhsa_uses_dynamic_stack 0
		.amdhsa_enable_private_segment 1
		.amdhsa_system_sgpr_workgroup_id_x 1
		.amdhsa_system_sgpr_workgroup_id_y 0
		.amdhsa_system_sgpr_workgroup_id_z 0
		.amdhsa_system_sgpr_workgroup_info 0
		.amdhsa_system_vgpr_workitem_id 0
		.amdhsa_next_free_vgpr 72
		.amdhsa_next_free_sgpr 12
		.amdhsa_accum_offset 72
		.amdhsa_reserve_vcc 1
		.amdhsa_float_round_mode_32 0
		.amdhsa_float_round_mode_16_64 0
		.amdhsa_float_denorm_mode_32 3
		.amdhsa_float_denorm_mode_16_64 3
		.amdhsa_dx10_clamp 1
		.amdhsa_ieee_mode 1
		.amdhsa_fp16_overflow 0
		.amdhsa_tg_split 0
		.amdhsa_exception_fp_ieee_invalid_op 0
		.amdhsa_exception_fp_denorm_src 0
		.amdhsa_exception_fp_ieee_div_zero 0
		.amdhsa_exception_fp_ieee_overflow 0
		.amdhsa_exception_fp_ieee_underflow 0
		.amdhsa_exception_fp_ieee_inexact 0
		.amdhsa_exception_int_div_zero 0
	.end_amdhsa_kernel
	.section	.text._ZN9rocsolver6v33100L18trti2_kernel_smallILi14E19rocblas_complex_numIdEPS3_EEv13rocblas_fill_17rocblas_diagonal_T1_iil,"axG",@progbits,_ZN9rocsolver6v33100L18trti2_kernel_smallILi14E19rocblas_complex_numIdEPS3_EEv13rocblas_fill_17rocblas_diagonal_T1_iil,comdat
.Lfunc_end13:
	.size	_ZN9rocsolver6v33100L18trti2_kernel_smallILi14E19rocblas_complex_numIdEPS3_EEv13rocblas_fill_17rocblas_diagonal_T1_iil, .Lfunc_end13-_ZN9rocsolver6v33100L18trti2_kernel_smallILi14E19rocblas_complex_numIdEPS3_EEv13rocblas_fill_17rocblas_diagonal_T1_iil
                                        ; -- End function
	.section	.AMDGPU.csdata,"",@progbits
; Kernel info:
; codeLenInByte = 9028
; NumSgprs: 18
; NumVgprs: 72
; NumAgprs: 0
; TotalNumVgprs: 72
; ScratchSize: 240
; MemoryBound: 0
; FloatMode: 240
; IeeeMode: 1
; LDSByteSize: 448 bytes/workgroup (compile time only)
; SGPRBlocks: 2
; VGPRBlocks: 8
; NumSGPRsForWavesPerEU: 18
; NumVGPRsForWavesPerEU: 72
; AccumOffset: 72
; Occupancy: 7
; WaveLimiterHint : 0
; COMPUTE_PGM_RSRC2:SCRATCH_EN: 1
; COMPUTE_PGM_RSRC2:USER_SGPR: 2
; COMPUTE_PGM_RSRC2:TRAP_HANDLER: 0
; COMPUTE_PGM_RSRC2:TGID_X_EN: 1
; COMPUTE_PGM_RSRC2:TGID_Y_EN: 0
; COMPUTE_PGM_RSRC2:TGID_Z_EN: 0
; COMPUTE_PGM_RSRC2:TIDIG_COMP_CNT: 0
; COMPUTE_PGM_RSRC3_GFX90A:ACCUM_OFFSET: 17
; COMPUTE_PGM_RSRC3_GFX90A:TG_SPLIT: 0
	.section	.text._ZN9rocsolver6v33100L18trti2_kernel_smallILi15E19rocblas_complex_numIdEPS3_EEv13rocblas_fill_17rocblas_diagonal_T1_iil,"axG",@progbits,_ZN9rocsolver6v33100L18trti2_kernel_smallILi15E19rocblas_complex_numIdEPS3_EEv13rocblas_fill_17rocblas_diagonal_T1_iil,comdat
	.globl	_ZN9rocsolver6v33100L18trti2_kernel_smallILi15E19rocblas_complex_numIdEPS3_EEv13rocblas_fill_17rocblas_diagonal_T1_iil ; -- Begin function _ZN9rocsolver6v33100L18trti2_kernel_smallILi15E19rocblas_complex_numIdEPS3_EEv13rocblas_fill_17rocblas_diagonal_T1_iil
	.p2align	8
	.type	_ZN9rocsolver6v33100L18trti2_kernel_smallILi15E19rocblas_complex_numIdEPS3_EEv13rocblas_fill_17rocblas_diagonal_T1_iil,@function
_ZN9rocsolver6v33100L18trti2_kernel_smallILi15E19rocblas_complex_numIdEPS3_EEv13rocblas_fill_17rocblas_diagonal_T1_iil: ; @_ZN9rocsolver6v33100L18trti2_kernel_smallILi15E19rocblas_complex_numIdEPS3_EEv13rocblas_fill_17rocblas_diagonal_T1_iil
; %bb.0:
	v_cmp_gt_u32_e32 vcc, 15, v0
	s_and_saveexec_b64 s[4:5], vcc
	s_cbranch_execz .LBB14_227
; %bb.1:
	s_load_dwordx8 s[4:11], s[0:1], 0x0
	s_ashr_i32 s3, s2, 31
	v_lshlrev_b32_e32 v44, 4, v0
	v_mov_b32_e32 v45, 0
	s_waitcnt lgkmcnt(0)
	s_ashr_i32 s1, s8, 31
	s_mov_b32 s0, s8
	s_mul_i32 s8, s2, s11
	s_mul_hi_u32 s11, s2, s10
	s_add_i32 s8, s11, s8
	s_mul_i32 s3, s3, s10
	s_add_i32 s3, s8, s3
	s_mul_i32 s2, s2, s10
	s_lshl_b64 s[2:3], s[2:3], 4
	s_add_u32 s2, s6, s2
	s_addc_u32 s3, s7, s3
	s_lshl_b64 s[0:1], s[0:1], 4
	s_add_u32 s0, s2, s0
	s_addc_u32 s1, s3, s1
	v_lshl_add_u64 v[16:17], s[0:1], 0, v[44:45]
	s_ashr_i32 s3, s9, 31
	s_mov_b32 s2, s9
	v_lshl_add_u64 v[14:15], s[2:3], 4, v[16:17]
	s_add_i32 s2, s9, s9
	v_add_u32_e32 v20, s2, v0
	v_add_u32_e32 v22, s9, v20
	v_ashrrev_i32_e32 v21, 31, v20
	v_add_u32_e32 v24, s9, v22
	global_load_dwordx4 v[2:5], v44, s[0:1]
	global_load_dwordx4 v[6:9], v[14:15], off
	v_lshl_add_u64 v[18:19], v[20:21], 4, s[0:1]
	v_add_u32_e32 v26, s9, v24
	global_load_dwordx4 v[10:13], v[18:19], off
	v_ashrrev_i32_e32 v23, 31, v22
	v_add_u32_e32 v28, s9, v26
	v_lshl_add_u64 v[20:21], v[22:23], 4, s[0:1]
	v_ashrrev_i32_e32 v25, 31, v24
	v_ashrrev_i32_e32 v27, 31, v26
	;; [unrolled: 1-line block ×3, first 2 shown]
	v_lshl_add_u64 v[22:23], v[24:25], 4, s[0:1]
	global_load_dwordx4 v[40:43], v[20:21], off
	global_load_dwordx4 v[46:49], v[22:23], off
	v_lshl_add_u64 v[24:25], v[26:27], 4, s[0:1]
	v_lshl_add_u64 v[26:27], v[28:29], 4, s[0:1]
	global_load_dwordx4 v[50:53], v[24:25], off
	global_load_dwordx4 v[54:57], v[26:27], off
	v_add_u32_e32 v28, s9, v28
	v_add_u32_e32 v30, s9, v28
	;; [unrolled: 1-line block ×4, first 2 shown]
	v_ashrrev_i32_e32 v29, 31, v28
	v_add_u32_e32 v36, s9, v34
	v_lshl_add_u64 v[28:29], v[28:29], 4, s[0:1]
	v_ashrrev_i32_e32 v31, 31, v30
	v_ashrrev_i32_e32 v33, 31, v32
	v_add_u32_e32 v38, s9, v36
	v_lshl_add_u64 v[30:31], v[30:31], 4, s[0:1]
	global_load_dwordx4 v[58:61], v[28:29], off
	global_load_dwordx4 v[62:65], v[30:31], off
	v_lshl_add_u64 v[32:33], v[32:33], 4, s[0:1]
	v_ashrrev_i32_e32 v35, 31, v34
	v_add_u32_e32 v70, s9, v38
	v_lshl_add_u64 v[34:35], v[34:35], 4, s[0:1]
	v_ashrrev_i32_e32 v37, 31, v36
	v_ashrrev_i32_e32 v71, 31, v70
	v_lshl_add_u64 v[36:37], v[36:37], 4, s[0:1]
	v_ashrrev_i32_e32 v39, 31, v38
	v_lshl_add_u64 v[38:39], v[38:39], 4, s[0:1]
	s_cmpk_lg_i32 s5, 0x84
	s_cselect_b64 s[6:7], -1, 0
	s_cmpk_eq_i32 s5, 0x84
	s_waitcnt vmcnt(8)
	scratch_store_dwordx4 off, v[2:5], off
	s_waitcnt vmcnt(8)
	scratch_store_dwordx4 off, v[6:9], off offset:16
	global_load_dwordx4 v[2:5], v[32:33], off
	s_nop 0
	global_load_dwordx4 v[6:9], v[34:35], off
	s_waitcnt vmcnt(10)
	scratch_store_dwordx4 off, v[10:13], off offset:32
	s_waitcnt vmcnt(10)
	scratch_store_dwordx4 off, v[40:43], off offset:48
	;; [unrolled: 2-line block ×3, first 2 shown]
	v_add_u32_e32 v10, s9, v70
	v_ashrrev_i32_e32 v11, 31, v10
	v_lshl_add_u64 v[40:41], v[70:71], 4, s[0:1]
	v_lshl_add_u64 v[42:43], v[10:11], 4, s[0:1]
	global_load_dwordx4 v[46:49], v[36:37], off
	global_load_dwordx4 v[66:69], v[38:39], off
	v_mov_b32_e32 v12, 0
	s_waitcnt vmcnt(12)
	scratch_store_dwordx4 off, v[50:53], off offset:80
	global_load_dwordx4 v[50:53], v[40:41], off
	s_waitcnt vmcnt(13)
	scratch_store_dwordx4 off, v[54:57], off offset:96
	global_load_dwordx4 v[54:57], v[42:43], off
	s_waitcnt vmcnt(14)
	scratch_store_dwordx4 off, v[58:61], off offset:112
	s_waitcnt vmcnt(14)
	scratch_store_dwordx4 off, v[62:65], off offset:128
	;; [unrolled: 2-line block ×8, first 2 shown]
	s_cbranch_scc1 .LBB14_7
; %bb.2:
	scratch_load_dwordx4 v[2:5], v44, off
                                        ; implicit-def: $vgpr10_vgpr11
	s_waitcnt vmcnt(0)
	v_xor_b32_e32 v1, 0x80000000, v3
	v_cmp_gt_f64_e32 vcc, 0, v[2:3]
	v_xor_b32_e32 v8, 0x80000000, v5
	v_mov_b32_e32 v6, v2
	v_cndmask_b32_e32 v7, v3, v1, vcc
	v_cmp_gt_f64_e32 vcc, 0, v[4:5]
	s_nop 1
	v_cndmask_b32_e32 v9, v5, v8, vcc
	v_mov_b32_e32 v8, v4
	v_cmp_ngt_f64_e32 vcc, v[6:7], v[8:9]
                                        ; implicit-def: $vgpr6_vgpr7
	s_and_saveexec_b64 s[0:1], vcc
	s_xor_b64 s[0:1], exec, s[0:1]
	s_cbranch_execz .LBB14_4
; %bb.3:
	v_div_scale_f64 v[6:7], s[2:3], v[4:5], v[4:5], v[2:3]
	v_rcp_f64_e32 v[8:9], v[6:7]
	v_div_scale_f64 v[10:11], vcc, v[2:3], v[4:5], v[2:3]
	v_fma_f64 v[46:47], -v[6:7], v[8:9], 1.0
	v_fmac_f64_e32 v[8:9], v[8:9], v[46:47]
	v_fma_f64 v[46:47], -v[6:7], v[8:9], 1.0
	v_fmac_f64_e32 v[8:9], v[8:9], v[46:47]
	v_mul_f64 v[46:47], v[10:11], v[8:9]
	v_fma_f64 v[6:7], -v[6:7], v[46:47], v[10:11]
	v_div_fmas_f64 v[6:7], v[6:7], v[8:9], v[46:47]
	v_div_fixup_f64 v[6:7], v[6:7], v[4:5], v[2:3]
	v_fmac_f64_e32 v[4:5], v[2:3], v[6:7]
	v_div_scale_f64 v[2:3], s[2:3], v[4:5], v[4:5], 1.0
	v_rcp_f64_e32 v[8:9], v[2:3]
	s_nop 0
	v_fma_f64 v[10:11], -v[2:3], v[8:9], 1.0
	v_fmac_f64_e32 v[8:9], v[8:9], v[10:11]
	v_fma_f64 v[10:11], -v[2:3], v[8:9], 1.0
	v_fmac_f64_e32 v[8:9], v[8:9], v[10:11]
	v_div_scale_f64 v[10:11], vcc, 1.0, v[4:5], 1.0
	v_mul_f64 v[46:47], v[10:11], v[8:9]
	v_fma_f64 v[2:3], -v[2:3], v[46:47], v[10:11]
	s_nop 1
	v_div_fmas_f64 v[2:3], v[2:3], v[8:9], v[46:47]
	v_div_fixup_f64 v[8:9], v[2:3], v[4:5], 1.0
	v_mul_f64 v[6:7], v[6:7], v[8:9]
	v_xor_b32_e32 v9, 0x80000000, v9
	v_xor_b32_e32 v11, 0x80000000, v7
	v_mov_b32_e32 v10, v6
                                        ; implicit-def: $vgpr2_vgpr3
.LBB14_4:
	s_or_saveexec_b64 s[0:1], s[0:1]
	v_add_u32_e32 v1, 0, v44
	s_xor_b64 exec, exec, s[0:1]
	s_cbranch_execz .LBB14_6
; %bb.5:
	v_div_scale_f64 v[6:7], s[2:3], v[2:3], v[2:3], v[4:5]
	v_rcp_f64_e32 v[8:9], v[6:7]
	v_div_scale_f64 v[10:11], vcc, v[4:5], v[2:3], v[4:5]
	v_fma_f64 v[46:47], -v[6:7], v[8:9], 1.0
	v_fmac_f64_e32 v[8:9], v[8:9], v[46:47]
	v_fma_f64 v[46:47], -v[6:7], v[8:9], 1.0
	v_fmac_f64_e32 v[8:9], v[8:9], v[46:47]
	v_mul_f64 v[46:47], v[10:11], v[8:9]
	v_fma_f64 v[6:7], -v[6:7], v[46:47], v[10:11]
	v_div_fmas_f64 v[6:7], v[6:7], v[8:9], v[46:47]
	v_div_fixup_f64 v[8:9], v[6:7], v[2:3], v[4:5]
	v_fmac_f64_e32 v[2:3], v[4:5], v[8:9]
	v_div_scale_f64 v[4:5], s[2:3], v[2:3], v[2:3], 1.0
	v_rcp_f64_e32 v[6:7], v[4:5]
	s_nop 0
	v_fma_f64 v[10:11], -v[4:5], v[6:7], 1.0
	v_fmac_f64_e32 v[6:7], v[6:7], v[10:11]
	v_fma_f64 v[10:11], -v[4:5], v[6:7], 1.0
	v_fmac_f64_e32 v[6:7], v[6:7], v[10:11]
	v_div_scale_f64 v[10:11], vcc, 1.0, v[2:3], 1.0
	v_mul_f64 v[46:47], v[10:11], v[6:7]
	v_fma_f64 v[4:5], -v[4:5], v[46:47], v[10:11]
	s_nop 1
	v_div_fmas_f64 v[4:5], v[4:5], v[6:7], v[46:47]
	v_div_fixup_f64 v[6:7], v[4:5], v[2:3], 1.0
	v_xor_b32_e32 v11, 0x80000000, v7
	v_mov_b32_e32 v10, v6
	v_mul_f64 v[8:9], v[8:9], -v[6:7]
.LBB14_6:
	s_or_b64 exec, exec, s[0:1]
	scratch_store_dwordx4 v1, v[6:9], off
	s_nop 1
	v_xor_b32_e32 v9, 0x80000000, v9
	s_branch .LBB14_8
.LBB14_7:
	v_mov_b64_e32 v[8:9], 0
	v_mov_b64_e32 v[10:11], -1.0
.LBB14_8:
	v_add_u32_e32 v52, 16, v12
	v_add_u32_e32 v53, 32, v12
	;; [unrolled: 1-line block ×14, first 2 shown]
	v_mov_b32_e32 v12, v8
	v_mov_b32_e32 v13, v9
	s_cmpk_eq_i32 s4, 0x79
	v_add_u32_e32 v9, 0xf0, v44
	v_add_u32_e32 v8, 0, v44
	ds_write_b128 v44, v[10:13]
	s_cbranch_scc1 .LBB14_116
; %bb.9:
	scratch_load_dwordx4 v[2:5], v1, off
	v_cmp_eq_u32_e64 s[0:1], 14, v0
	s_waitcnt vmcnt(0)
	ds_write_b128 v9, v[2:5]
	s_waitcnt lgkmcnt(0)
	; wave barrier
	s_waitcnt lgkmcnt(0)
	s_and_saveexec_b64 s[2:3], s[0:1]
	s_cbranch_execz .LBB14_13
; %bb.10:
	ds_read_b128 v[2:5], v9
	s_andn2_b64 vcc, exec, s[6:7]
	s_cbranch_vccnz .LBB14_12
; %bb.11:
	scratch_load_dwordx4 v[10:13], v8, off
	s_waitcnt vmcnt(0) lgkmcnt(0)
	v_mul_f64 v[6:7], v[4:5], v[12:13]
	v_mul_f64 v[12:13], v[2:3], v[12:13]
	v_fmac_f64_e32 v[12:13], v[4:5], v[10:11]
	v_fma_f64 v[2:3], v[2:3], v[10:11], -v[6:7]
	v_mov_b64_e32 v[4:5], v[12:13]
.LBB14_12:
	v_mov_b32_e32 v6, 0
	ds_read_b128 v[10:13], v6 offset:208
	s_waitcnt lgkmcnt(0)
	v_mul_f64 v[6:7], v[4:5], v[12:13]
	v_mul_f64 v[60:61], v[2:3], v[12:13]
	v_fma_f64 v[58:59], v[2:3], v[10:11], -v[6:7]
	v_fmac_f64_e32 v[60:61], v[4:5], v[10:11]
	scratch_store_dwordx4 off, v[58:61], off offset:208
.LBB14_13:
	s_or_b64 exec, exec, s[2:3]
	scratch_load_dwordx4 v[2:5], v47, off
	v_cmp_lt_u32_e64 s[2:3], 12, v0
	s_waitcnt vmcnt(0)
	ds_write_b128 v9, v[2:5]
	s_waitcnt lgkmcnt(0)
	; wave barrier
	s_waitcnt lgkmcnt(0)
	s_and_saveexec_b64 s[4:5], s[2:3]
	s_cbranch_execz .LBB14_19
; %bb.14:
	ds_read_b128 v[2:5], v9
	s_andn2_b64 vcc, exec, s[6:7]
	s_cbranch_vccnz .LBB14_16
; %bb.15:
	scratch_load_dwordx4 v[10:13], v8, off
	s_waitcnt vmcnt(0) lgkmcnt(0)
	v_mul_f64 v[6:7], v[4:5], v[12:13]
	v_mul_f64 v[12:13], v[2:3], v[12:13]
	v_fmac_f64_e32 v[12:13], v[4:5], v[10:11]
	v_fma_f64 v[2:3], v[2:3], v[10:11], -v[6:7]
	v_mov_b64_e32 v[4:5], v[12:13]
.LBB14_16:
	s_and_saveexec_b64 s[8:9], s[0:1]
	s_cbranch_execz .LBB14_18
; %bb.17:
	scratch_load_dwordx4 v[10:13], off, off offset:208
	v_mov_b32_e32 v6, 0
	ds_read_b128 v[58:61], v6 offset:448
	s_waitcnt vmcnt(0) lgkmcnt(0)
	v_mul_f64 v[6:7], v[58:59], v[12:13]
	v_mul_f64 v[12:13], v[60:61], v[12:13]
	v_fmac_f64_e32 v[6:7], v[60:61], v[10:11]
	v_fma_f64 v[10:11], v[58:59], v[10:11], -v[12:13]
	v_add_f64 v[4:5], v[4:5], v[6:7]
	v_add_f64 v[2:3], v[2:3], v[10:11]
.LBB14_18:
	s_or_b64 exec, exec, s[8:9]
	v_mov_b32_e32 v6, 0
	ds_read_b128 v[10:13], v6 offset:192
	s_waitcnt lgkmcnt(0)
	v_mul_f64 v[6:7], v[4:5], v[12:13]
	v_mul_f64 v[60:61], v[2:3], v[12:13]
	v_fma_f64 v[58:59], v[2:3], v[10:11], -v[6:7]
	v_fmac_f64_e32 v[60:61], v[4:5], v[10:11]
	scratch_store_dwordx4 off, v[58:61], off offset:192
.LBB14_19:
	s_or_b64 exec, exec, s[4:5]
	scratch_load_dwordx4 v[2:5], v46, off
	v_cmp_lt_u32_e64 s[0:1], 11, v0
	s_waitcnt vmcnt(0)
	ds_write_b128 v9, v[2:5]
	s_waitcnt lgkmcnt(0)
	; wave barrier
	s_waitcnt lgkmcnt(0)
	s_and_saveexec_b64 s[4:5], s[0:1]
	s_cbranch_execz .LBB14_27
; %bb.20:
	ds_read_b128 v[2:5], v9
	s_andn2_b64 vcc, exec, s[6:7]
	s_cbranch_vccnz .LBB14_22
; %bb.21:
	scratch_load_dwordx4 v[10:13], v8, off
	s_waitcnt vmcnt(0) lgkmcnt(0)
	v_mul_f64 v[6:7], v[4:5], v[12:13]
	v_mul_f64 v[12:13], v[2:3], v[12:13]
	v_fmac_f64_e32 v[12:13], v[4:5], v[10:11]
	v_fma_f64 v[2:3], v[2:3], v[10:11], -v[6:7]
	v_mov_b64_e32 v[4:5], v[12:13]
.LBB14_22:
	s_and_saveexec_b64 s[8:9], s[2:3]
	s_cbranch_execz .LBB14_26
; %bb.23:
	v_mov_b32_e32 v7, 0
	v_add_u32_e32 v6, -12, v0
	v_add_u32_e32 v7, 0xc8, v7
	s_movk_i32 s10, 0x1b0
	s_mov_b64 s[2:3], 0
.LBB14_24:                              ; =>This Inner Loop Header: Depth=1
	v_add_u32_e32 v10, -8, v7
	scratch_load_dwordx4 v[10:13], v10, off
	v_mov_b32_e32 v58, s10
	ds_read_b128 v[58:61], v58
	v_add_u32_e32 v6, -1, v6
	s_add_i32 s10, s10, 16
	v_cmp_eq_u32_e32 vcc, 0, v6
	v_add_u32_e32 v7, 16, v7
	s_or_b64 s[2:3], vcc, s[2:3]
	s_waitcnt vmcnt(0) lgkmcnt(0)
	v_mul_f64 v[62:63], v[60:61], v[12:13]
	v_mul_f64 v[12:13], v[58:59], v[12:13]
	v_fma_f64 v[58:59], v[58:59], v[10:11], -v[62:63]
	v_fmac_f64_e32 v[12:13], v[60:61], v[10:11]
	v_add_f64 v[2:3], v[2:3], v[58:59]
	v_add_f64 v[4:5], v[4:5], v[12:13]
	s_andn2_b64 exec, exec, s[2:3]
	s_cbranch_execnz .LBB14_24
; %bb.25:
	s_or_b64 exec, exec, s[2:3]
.LBB14_26:
	s_or_b64 exec, exec, s[8:9]
	v_mov_b32_e32 v6, 0
	ds_read_b128 v[10:13], v6 offset:176
	s_waitcnt lgkmcnt(0)
	v_mul_f64 v[6:7], v[4:5], v[12:13]
	v_mul_f64 v[60:61], v[2:3], v[12:13]
	v_fma_f64 v[58:59], v[2:3], v[10:11], -v[6:7]
	v_fmac_f64_e32 v[60:61], v[4:5], v[10:11]
	scratch_store_dwordx4 off, v[58:61], off offset:176
.LBB14_27:
	s_or_b64 exec, exec, s[4:5]
	scratch_load_dwordx4 v[2:5], v49, off
	v_cmp_lt_u32_e64 s[2:3], 10, v0
	s_waitcnt vmcnt(0)
	ds_write_b128 v9, v[2:5]
	s_waitcnt lgkmcnt(0)
	; wave barrier
	s_waitcnt lgkmcnt(0)
	s_and_saveexec_b64 s[4:5], s[2:3]
	s_cbranch_execz .LBB14_35
; %bb.28:
	ds_read_b128 v[2:5], v9
	s_andn2_b64 vcc, exec, s[6:7]
	s_cbranch_vccnz .LBB14_30
; %bb.29:
	scratch_load_dwordx4 v[10:13], v8, off
	s_waitcnt vmcnt(0) lgkmcnt(0)
	v_mul_f64 v[6:7], v[4:5], v[12:13]
	v_mul_f64 v[12:13], v[2:3], v[12:13]
	v_fmac_f64_e32 v[12:13], v[4:5], v[10:11]
	v_fma_f64 v[2:3], v[2:3], v[10:11], -v[6:7]
	v_mov_b64_e32 v[4:5], v[12:13]
.LBB14_30:
	s_and_saveexec_b64 s[8:9], s[0:1]
	s_cbranch_execz .LBB14_34
; %bb.31:
	v_mov_b32_e32 v7, 0
	v_add_u32_e32 v6, -11, v0
	v_add_u32_e32 v7, 0xb8, v7
	s_movk_i32 s10, 0x1a0
	s_mov_b64 s[0:1], 0
.LBB14_32:                              ; =>This Inner Loop Header: Depth=1
	v_add_u32_e32 v10, -8, v7
	scratch_load_dwordx4 v[10:13], v10, off
	v_mov_b32_e32 v58, s10
	ds_read_b128 v[58:61], v58
	v_add_u32_e32 v6, -1, v6
	s_add_i32 s10, s10, 16
	v_cmp_eq_u32_e32 vcc, 0, v6
	v_add_u32_e32 v7, 16, v7
	s_or_b64 s[0:1], vcc, s[0:1]
	s_waitcnt vmcnt(0) lgkmcnt(0)
	v_mul_f64 v[62:63], v[60:61], v[12:13]
	v_mul_f64 v[12:13], v[58:59], v[12:13]
	v_fma_f64 v[58:59], v[58:59], v[10:11], -v[62:63]
	v_fmac_f64_e32 v[12:13], v[60:61], v[10:11]
	v_add_f64 v[2:3], v[2:3], v[58:59]
	v_add_f64 v[4:5], v[4:5], v[12:13]
	s_andn2_b64 exec, exec, s[0:1]
	s_cbranch_execnz .LBB14_32
; %bb.33:
	s_or_b64 exec, exec, s[0:1]
.LBB14_34:
	s_or_b64 exec, exec, s[8:9]
	v_mov_b32_e32 v6, 0
	ds_read_b128 v[10:13], v6 offset:160
	s_waitcnt lgkmcnt(0)
	v_mul_f64 v[6:7], v[4:5], v[12:13]
	v_mul_f64 v[60:61], v[2:3], v[12:13]
	v_fma_f64 v[58:59], v[2:3], v[10:11], -v[6:7]
	v_fmac_f64_e32 v[60:61], v[4:5], v[10:11]
	scratch_store_dwordx4 off, v[58:61], off offset:160
.LBB14_35:
	;; [unrolled: 63-line block ×10, first 2 shown]
	s_or_b64 exec, exec, s[4:5]
	scratch_load_dwordx4 v[2:5], v52, off
	v_cmp_lt_u32_e64 s[0:1], 1, v0
	s_waitcnt vmcnt(0)
	ds_write_b128 v9, v[2:5]
	s_waitcnt lgkmcnt(0)
	; wave barrier
	s_waitcnt lgkmcnt(0)
	s_and_saveexec_b64 s[4:5], s[0:1]
	s_cbranch_execz .LBB14_107
; %bb.100:
	ds_read_b128 v[2:5], v9
	s_andn2_b64 vcc, exec, s[6:7]
	s_cbranch_vccnz .LBB14_102
; %bb.101:
	scratch_load_dwordx4 v[10:13], v8, off
	s_waitcnt vmcnt(0) lgkmcnt(0)
	v_mul_f64 v[6:7], v[4:5], v[12:13]
	v_mul_f64 v[12:13], v[2:3], v[12:13]
	v_fmac_f64_e32 v[12:13], v[4:5], v[10:11]
	v_fma_f64 v[2:3], v[2:3], v[10:11], -v[6:7]
	v_mov_b64_e32 v[4:5], v[12:13]
.LBB14_102:
	s_and_saveexec_b64 s[8:9], s[2:3]
	s_cbranch_execz .LBB14_106
; %bb.103:
	v_mov_b32_e32 v7, 0
	v_add_u32_e32 v6, -2, v0
	v_add_u32_e32 v7, 40, v7
	s_movk_i32 s10, 0x110
	s_mov_b64 s[2:3], 0
.LBB14_104:                             ; =>This Inner Loop Header: Depth=1
	v_add_u32_e32 v10, -8, v7
	scratch_load_dwordx4 v[10:13], v10, off
	v_mov_b32_e32 v58, s10
	ds_read_b128 v[58:61], v58
	v_add_u32_e32 v6, -1, v6
	s_add_i32 s10, s10, 16
	v_cmp_eq_u32_e32 vcc, 0, v6
	v_add_u32_e32 v7, 16, v7
	s_or_b64 s[2:3], vcc, s[2:3]
	s_waitcnt vmcnt(0) lgkmcnt(0)
	v_mul_f64 v[62:63], v[60:61], v[12:13]
	v_mul_f64 v[12:13], v[58:59], v[12:13]
	v_fma_f64 v[58:59], v[58:59], v[10:11], -v[62:63]
	v_fmac_f64_e32 v[12:13], v[60:61], v[10:11]
	v_add_f64 v[2:3], v[2:3], v[58:59]
	v_add_f64 v[4:5], v[4:5], v[12:13]
	s_andn2_b64 exec, exec, s[2:3]
	s_cbranch_execnz .LBB14_104
; %bb.105:
	s_or_b64 exec, exec, s[2:3]
.LBB14_106:
	s_or_b64 exec, exec, s[8:9]
	v_mov_b32_e32 v6, 0
	ds_read_b128 v[10:13], v6 offset:16
	s_waitcnt lgkmcnt(0)
	v_mul_f64 v[6:7], v[4:5], v[12:13]
	v_mul_f64 v[60:61], v[2:3], v[12:13]
	v_fma_f64 v[58:59], v[2:3], v[10:11], -v[6:7]
	v_fmac_f64_e32 v[60:61], v[4:5], v[10:11]
	scratch_store_dwordx4 off, v[58:61], off offset:16
.LBB14_107:
	s_or_b64 exec, exec, s[4:5]
	scratch_load_dwordx4 v[2:5], off, off
	v_cmp_ne_u32_e32 vcc, 0, v0
	s_mov_b64 s[2:3], 0
	s_mov_b64 s[4:5], 0
                                        ; implicit-def: $vgpr6_vgpr7
                                        ; implicit-def: $vgpr10
	s_waitcnt vmcnt(0)
	ds_write_b128 v9, v[2:5]
	s_waitcnt lgkmcnt(0)
	; wave barrier
	s_waitcnt lgkmcnt(0)
	s_and_saveexec_b64 s[8:9], vcc
	s_cbranch_execz .LBB14_115
; %bb.108:
	ds_read_b128 v[2:5], v9
	s_andn2_b64 vcc, exec, s[6:7]
	s_cbranch_vccnz .LBB14_110
; %bb.109:
	scratch_load_dwordx4 v[10:13], v8, off
	s_waitcnt vmcnt(0) lgkmcnt(0)
	v_mul_f64 v[6:7], v[4:5], v[12:13]
	v_mul_f64 v[12:13], v[2:3], v[12:13]
	v_fmac_f64_e32 v[12:13], v[4:5], v[10:11]
	v_fma_f64 v[2:3], v[2:3], v[10:11], -v[6:7]
	v_mov_b64_e32 v[4:5], v[12:13]
.LBB14_110:
	s_and_saveexec_b64 s[4:5], s[0:1]
	s_cbranch_execz .LBB14_114
; %bb.111:
	v_mov_b32_e32 v7, 0
	v_add_u32_e32 v6, -1, v0
	v_add_u32_e32 v7, 24, v7
	s_movk_i32 s10, 0x100
	s_mov_b64 s[0:1], 0
.LBB14_112:                             ; =>This Inner Loop Header: Depth=1
	v_add_u32_e32 v10, -8, v7
	scratch_load_dwordx4 v[10:13], v10, off
	v_mov_b32_e32 v58, s10
	ds_read_b128 v[58:61], v58
	v_add_u32_e32 v6, -1, v6
	s_add_i32 s10, s10, 16
	v_cmp_eq_u32_e32 vcc, 0, v6
	v_add_u32_e32 v7, 16, v7
	s_or_b64 s[0:1], vcc, s[0:1]
	s_waitcnt vmcnt(0) lgkmcnt(0)
	v_mul_f64 v[62:63], v[60:61], v[12:13]
	v_mul_f64 v[12:13], v[58:59], v[12:13]
	v_fma_f64 v[58:59], v[58:59], v[10:11], -v[62:63]
	v_fmac_f64_e32 v[12:13], v[60:61], v[10:11]
	v_add_f64 v[2:3], v[2:3], v[58:59]
	v_add_f64 v[4:5], v[4:5], v[12:13]
	s_andn2_b64 exec, exec, s[0:1]
	s_cbranch_execnz .LBB14_112
; %bb.113:
	s_or_b64 exec, exec, s[0:1]
.LBB14_114:
	s_or_b64 exec, exec, s[4:5]
	v_mov_b32_e32 v6, 0
	ds_read_b128 v[58:61], v6
	v_mov_b32_e32 v6, 0
	v_or_b32_e32 v10, 8, v6
	s_mov_b64 s[4:5], exec
	s_waitcnt lgkmcnt(0)
	v_mul_f64 v[12:13], v[4:5], v[60:61]
	v_mul_f64 v[6:7], v[2:3], v[60:61]
	v_fma_f64 v[2:3], v[2:3], v[58:59], -v[12:13]
	v_fmac_f64_e32 v[6:7], v[4:5], v[58:59]
	scratch_store_dwordx2 off, v[2:3], off
.LBB14_115:
	s_or_b64 exec, exec, s[8:9]
	s_and_b64 vcc, exec, s[2:3]
	s_cbranch_vccnz .LBB14_117
	s_branch .LBB14_224
.LBB14_116:
	s_mov_b64 s[4:5], 0
                                        ; implicit-def: $vgpr6_vgpr7
                                        ; implicit-def: $vgpr10
	s_cbranch_execz .LBB14_224
.LBB14_117:
	scratch_load_dwordx4 v[2:5], v52, off
	v_cndmask_b32_e64 v6, 0, 1, s[6:7]
	v_cmp_eq_u32_e64 s[2:3], 0, v0
	v_cmp_ne_u32_e64 s[0:1], 1, v6
	s_waitcnt vmcnt(0)
	ds_write_b128 v9, v[2:5]
	s_waitcnt lgkmcnt(0)
	; wave barrier
	s_waitcnt lgkmcnt(0)
	s_and_saveexec_b64 s[6:7], s[2:3]
	s_cbranch_execz .LBB14_121
; %bb.118:
	ds_read_b128 v[2:5], v9
	s_and_b64 vcc, exec, s[0:1]
	s_cbranch_vccnz .LBB14_120
; %bb.119:
	scratch_load_dwordx4 v[10:13], v8, off
	s_waitcnt vmcnt(0) lgkmcnt(0)
	v_mul_f64 v[6:7], v[4:5], v[12:13]
	v_mul_f64 v[12:13], v[2:3], v[12:13]
	v_fmac_f64_e32 v[12:13], v[4:5], v[10:11]
	v_fma_f64 v[2:3], v[2:3], v[10:11], -v[6:7]
	v_mov_b64_e32 v[4:5], v[12:13]
.LBB14_120:
	v_mov_b32_e32 v6, 0
	ds_read_b128 v[10:13], v6 offset:16
	s_waitcnt lgkmcnt(0)
	v_mul_f64 v[6:7], v[4:5], v[12:13]
	v_mul_f64 v[60:61], v[2:3], v[12:13]
	v_fma_f64 v[58:59], v[2:3], v[10:11], -v[6:7]
	v_fmac_f64_e32 v[60:61], v[4:5], v[10:11]
	scratch_store_dwordx4 off, v[58:61], off offset:16
.LBB14_121:
	s_or_b64 exec, exec, s[6:7]
	scratch_load_dwordx4 v[2:5], v53, off
	v_cmp_gt_u32_e32 vcc, 2, v0
	s_waitcnt vmcnt(0)
	ds_write_b128 v9, v[2:5]
	s_waitcnt lgkmcnt(0)
	; wave barrier
	s_waitcnt lgkmcnt(0)
	s_and_saveexec_b64 s[6:7], vcc
	s_cbranch_execz .LBB14_127
; %bb.122:
	ds_read_b128 v[2:5], v9
	s_and_b64 vcc, exec, s[0:1]
	s_cbranch_vccnz .LBB14_124
; %bb.123:
	scratch_load_dwordx4 v[10:13], v8, off
	s_waitcnt vmcnt(0) lgkmcnt(0)
	v_mul_f64 v[6:7], v[4:5], v[12:13]
	v_mul_f64 v[12:13], v[2:3], v[12:13]
	v_fmac_f64_e32 v[12:13], v[4:5], v[10:11]
	v_fma_f64 v[2:3], v[2:3], v[10:11], -v[6:7]
	v_mov_b64_e32 v[4:5], v[12:13]
.LBB14_124:
	s_and_saveexec_b64 s[8:9], s[2:3]
	s_cbranch_execz .LBB14_126
; %bb.125:
	scratch_load_dwordx4 v[10:13], v8, off offset:16
	ds_read_b128 v[58:61], v9 offset:16
	s_waitcnt vmcnt(0) lgkmcnt(0)
	v_mul_f64 v[6:7], v[60:61], v[12:13]
	v_mul_f64 v[12:13], v[58:59], v[12:13]
	v_fma_f64 v[6:7], v[58:59], v[10:11], -v[6:7]
	v_fmac_f64_e32 v[12:13], v[60:61], v[10:11]
	v_add_f64 v[2:3], v[2:3], v[6:7]
	v_add_f64 v[4:5], v[4:5], v[12:13]
.LBB14_126:
	s_or_b64 exec, exec, s[8:9]
	v_mov_b32_e32 v6, 0
	ds_read_b128 v[10:13], v6 offset:32
	s_waitcnt lgkmcnt(0)
	v_mul_f64 v[6:7], v[4:5], v[12:13]
	v_mul_f64 v[60:61], v[2:3], v[12:13]
	v_fma_f64 v[58:59], v[2:3], v[10:11], -v[6:7]
	v_fmac_f64_e32 v[60:61], v[4:5], v[10:11]
	scratch_store_dwordx4 off, v[58:61], off offset:32
.LBB14_127:
	s_or_b64 exec, exec, s[6:7]
	scratch_load_dwordx4 v[2:5], v56, off
	v_cmp_gt_u32_e32 vcc, 3, v0
	s_waitcnt vmcnt(0)
	ds_write_b128 v9, v[2:5]
	s_waitcnt lgkmcnt(0)
	; wave barrier
	s_waitcnt lgkmcnt(0)
	s_and_saveexec_b64 s[6:7], vcc
	s_cbranch_execz .LBB14_135
; %bb.128:
	ds_read_b128 v[2:5], v9
	s_and_b64 vcc, exec, s[0:1]
	s_cbranch_vccnz .LBB14_130
; %bb.129:
	scratch_load_dwordx4 v[10:13], v8, off
	s_waitcnt vmcnt(0) lgkmcnt(0)
	v_mul_f64 v[6:7], v[4:5], v[12:13]
	v_mul_f64 v[12:13], v[2:3], v[12:13]
	v_fmac_f64_e32 v[12:13], v[4:5], v[10:11]
	v_fma_f64 v[2:3], v[2:3], v[10:11], -v[6:7]
	v_mov_b64_e32 v[4:5], v[12:13]
.LBB14_130:
	v_cmp_ne_u32_e32 vcc, 2, v0
	s_and_saveexec_b64 s[8:9], vcc
	s_cbranch_execz .LBB14_134
; %bb.131:
	scratch_load_dwordx4 v[10:13], v8, off offset:16
	ds_read_b128 v[58:61], v9 offset:16
	s_waitcnt vmcnt(0) lgkmcnt(0)
	v_mul_f64 v[6:7], v[60:61], v[12:13]
	v_mul_f64 v[12:13], v[58:59], v[12:13]
	v_fma_f64 v[6:7], v[58:59], v[10:11], -v[6:7]
	v_fmac_f64_e32 v[12:13], v[60:61], v[10:11]
	v_add_f64 v[2:3], v[2:3], v[6:7]
	v_add_f64 v[4:5], v[4:5], v[12:13]
	s_and_saveexec_b64 s[10:11], s[2:3]
	s_cbranch_execz .LBB14_133
; %bb.132:
	scratch_load_dwordx4 v[10:13], off, off offset:32
	v_mov_b32_e32 v6, 0
	ds_read_b128 v[58:61], v6 offset:272
	s_waitcnt vmcnt(0) lgkmcnt(0)
	v_mul_f64 v[6:7], v[58:59], v[12:13]
	v_mul_f64 v[12:13], v[60:61], v[12:13]
	v_fmac_f64_e32 v[6:7], v[60:61], v[10:11]
	v_fma_f64 v[10:11], v[58:59], v[10:11], -v[12:13]
	v_add_f64 v[4:5], v[4:5], v[6:7]
	v_add_f64 v[2:3], v[2:3], v[10:11]
.LBB14_133:
	s_or_b64 exec, exec, s[10:11]
.LBB14_134:
	s_or_b64 exec, exec, s[8:9]
	v_mov_b32_e32 v6, 0
	ds_read_b128 v[10:13], v6 offset:48
	s_waitcnt lgkmcnt(0)
	v_mul_f64 v[6:7], v[4:5], v[12:13]
	v_mul_f64 v[60:61], v[2:3], v[12:13]
	v_fma_f64 v[58:59], v[2:3], v[10:11], -v[6:7]
	v_fmac_f64_e32 v[60:61], v[4:5], v[10:11]
	scratch_store_dwordx4 off, v[58:61], off offset:48
.LBB14_135:
	s_or_b64 exec, exec, s[6:7]
	scratch_load_dwordx4 v[2:5], v54, off
	v_cmp_gt_u32_e32 vcc, 4, v0
	s_waitcnt vmcnt(0)
	ds_write_b128 v9, v[2:5]
	s_waitcnt lgkmcnt(0)
	; wave barrier
	s_waitcnt lgkmcnt(0)
	s_and_saveexec_b64 s[2:3], vcc
	s_cbranch_execz .LBB14_143
; %bb.136:
	ds_read_b128 v[2:5], v9
	s_and_b64 vcc, exec, s[0:1]
	s_cbranch_vccnz .LBB14_138
; %bb.137:
	scratch_load_dwordx4 v[10:13], v8, off
	s_waitcnt vmcnt(0) lgkmcnt(0)
	v_mul_f64 v[6:7], v[4:5], v[12:13]
	v_mul_f64 v[12:13], v[2:3], v[12:13]
	v_fmac_f64_e32 v[12:13], v[4:5], v[10:11]
	v_fma_f64 v[2:3], v[2:3], v[10:11], -v[6:7]
	v_mov_b64_e32 v[4:5], v[12:13]
.LBB14_138:
	v_cmp_ne_u32_e32 vcc, 3, v0
	s_and_saveexec_b64 s[6:7], vcc
	s_cbranch_execz .LBB14_142
; %bb.139:
	v_mov_b32_e32 v7, 0
	v_add_u32_e32 v6, 0x100, v44
	v_add3_u32 v7, v44, v7, 24
	s_mov_b64 s[8:9], 0
	v_mov_b32_e32 v10, v0
.LBB14_140:                             ; =>This Inner Loop Header: Depth=1
	v_add_u32_e32 v11, -8, v7
	scratch_load_dwordx4 v[58:61], v11, off
	ds_read_b128 v[62:65], v6
	v_add_u32_e32 v10, 1, v10
	v_cmp_lt_u32_e32 vcc, 2, v10
	v_add_u32_e32 v6, 16, v6
	v_add_u32_e32 v7, 16, v7
	s_or_b64 s[8:9], vcc, s[8:9]
	s_waitcnt vmcnt(0) lgkmcnt(0)
	v_mul_f64 v[12:13], v[64:65], v[60:61]
	v_mul_f64 v[60:61], v[62:63], v[60:61]
	v_fma_f64 v[12:13], v[62:63], v[58:59], -v[12:13]
	v_fmac_f64_e32 v[60:61], v[64:65], v[58:59]
	v_add_f64 v[2:3], v[2:3], v[12:13]
	v_add_f64 v[4:5], v[4:5], v[60:61]
	s_andn2_b64 exec, exec, s[8:9]
	s_cbranch_execnz .LBB14_140
; %bb.141:
	s_or_b64 exec, exec, s[8:9]
.LBB14_142:
	s_or_b64 exec, exec, s[6:7]
	v_mov_b32_e32 v6, 0
	ds_read_b128 v[10:13], v6 offset:64
	s_waitcnt lgkmcnt(0)
	v_mul_f64 v[6:7], v[4:5], v[12:13]
	v_mul_f64 v[60:61], v[2:3], v[12:13]
	v_fma_f64 v[58:59], v[2:3], v[10:11], -v[6:7]
	v_fmac_f64_e32 v[60:61], v[4:5], v[10:11]
	scratch_store_dwordx4 off, v[58:61], off offset:64
.LBB14_143:
	s_or_b64 exec, exec, s[2:3]
	scratch_load_dwordx4 v[2:5], v57, off
	v_cmp_gt_u32_e32 vcc, 5, v0
	s_waitcnt vmcnt(0)
	ds_write_b128 v9, v[2:5]
	s_waitcnt lgkmcnt(0)
	; wave barrier
	s_waitcnt lgkmcnt(0)
	s_and_saveexec_b64 s[2:3], vcc
	s_cbranch_execz .LBB14_151
; %bb.144:
	ds_read_b128 v[2:5], v9
	s_and_b64 vcc, exec, s[0:1]
	s_cbranch_vccnz .LBB14_146
; %bb.145:
	scratch_load_dwordx4 v[10:13], v8, off
	s_waitcnt vmcnt(0) lgkmcnt(0)
	v_mul_f64 v[6:7], v[4:5], v[12:13]
	v_mul_f64 v[12:13], v[2:3], v[12:13]
	v_fmac_f64_e32 v[12:13], v[4:5], v[10:11]
	v_fma_f64 v[2:3], v[2:3], v[10:11], -v[6:7]
	v_mov_b64_e32 v[4:5], v[12:13]
.LBB14_146:
	v_cmp_ne_u32_e32 vcc, 4, v0
	s_and_saveexec_b64 s[6:7], vcc
	s_cbranch_execz .LBB14_150
; %bb.147:
	v_mov_b32_e32 v7, 0
	v_add_u32_e32 v6, 0x100, v44
	v_add3_u32 v7, v44, v7, 24
	s_mov_b64 s[8:9], 0
	v_mov_b32_e32 v10, v0
.LBB14_148:                             ; =>This Inner Loop Header: Depth=1
	v_add_u32_e32 v11, -8, v7
	scratch_load_dwordx4 v[58:61], v11, off
	ds_read_b128 v[62:65], v6
	v_add_u32_e32 v10, 1, v10
	v_cmp_lt_u32_e32 vcc, 3, v10
	v_add_u32_e32 v6, 16, v6
	v_add_u32_e32 v7, 16, v7
	s_or_b64 s[8:9], vcc, s[8:9]
	s_waitcnt vmcnt(0) lgkmcnt(0)
	v_mul_f64 v[12:13], v[64:65], v[60:61]
	v_mul_f64 v[60:61], v[62:63], v[60:61]
	v_fma_f64 v[12:13], v[62:63], v[58:59], -v[12:13]
	v_fmac_f64_e32 v[60:61], v[64:65], v[58:59]
	v_add_f64 v[2:3], v[2:3], v[12:13]
	v_add_f64 v[4:5], v[4:5], v[60:61]
	s_andn2_b64 exec, exec, s[8:9]
	s_cbranch_execnz .LBB14_148
; %bb.149:
	s_or_b64 exec, exec, s[8:9]
.LBB14_150:
	s_or_b64 exec, exec, s[6:7]
	v_mov_b32_e32 v6, 0
	ds_read_b128 v[10:13], v6 offset:80
	s_waitcnt lgkmcnt(0)
	v_mul_f64 v[6:7], v[4:5], v[12:13]
	v_mul_f64 v[60:61], v[2:3], v[12:13]
	v_fma_f64 v[58:59], v[2:3], v[10:11], -v[6:7]
	v_fmac_f64_e32 v[60:61], v[4:5], v[10:11]
	scratch_store_dwordx4 off, v[58:61], off offset:80
.LBB14_151:
	;; [unrolled: 63-line block ×9, first 2 shown]
	s_or_b64 exec, exec, s[2:3]
	scratch_load_dwordx4 v[2:5], v1, off
	v_cmp_gt_u32_e64 s[2:3], 13, v0
	s_waitcnt vmcnt(0)
	ds_write_b128 v9, v[2:5]
	s_waitcnt lgkmcnt(0)
	; wave barrier
	s_waitcnt lgkmcnt(0)
	s_and_saveexec_b64 s[6:7], s[2:3]
	s_cbranch_execz .LBB14_215
; %bb.208:
	ds_read_b128 v[2:5], v9
	s_and_b64 vcc, exec, s[0:1]
	s_cbranch_vccnz .LBB14_210
; %bb.209:
	scratch_load_dwordx4 v[10:13], v8, off
	s_waitcnt vmcnt(0) lgkmcnt(0)
	v_mul_f64 v[6:7], v[4:5], v[12:13]
	v_mul_f64 v[12:13], v[2:3], v[12:13]
	v_fmac_f64_e32 v[12:13], v[4:5], v[10:11]
	v_fma_f64 v[2:3], v[2:3], v[10:11], -v[6:7]
	v_mov_b64_e32 v[4:5], v[12:13]
.LBB14_210:
	v_cmp_ne_u32_e32 vcc, 12, v0
	s_and_saveexec_b64 s[8:9], vcc
	s_cbranch_execz .LBB14_214
; %bb.211:
	v_mov_b32_e32 v7, 0
	v_add_u32_e32 v6, 0x100, v44
	v_add3_u32 v7, v44, v7, 24
	s_mov_b64 s[10:11], 0
	v_mov_b32_e32 v10, v0
.LBB14_212:                             ; =>This Inner Loop Header: Depth=1
	v_add_u32_e32 v11, -8, v7
	scratch_load_dwordx4 v[58:61], v11, off
	ds_read_b128 v[62:65], v6
	v_add_u32_e32 v10, 1, v10
	v_cmp_lt_u32_e32 vcc, 11, v10
	v_add_u32_e32 v6, 16, v6
	v_add_u32_e32 v7, 16, v7
	s_or_b64 s[10:11], vcc, s[10:11]
	s_waitcnt vmcnt(0) lgkmcnt(0)
	v_mul_f64 v[12:13], v[64:65], v[60:61]
	v_mul_f64 v[60:61], v[62:63], v[60:61]
	v_fma_f64 v[12:13], v[62:63], v[58:59], -v[12:13]
	v_fmac_f64_e32 v[60:61], v[64:65], v[58:59]
	v_add_f64 v[2:3], v[2:3], v[12:13]
	v_add_f64 v[4:5], v[4:5], v[60:61]
	s_andn2_b64 exec, exec, s[10:11]
	s_cbranch_execnz .LBB14_212
; %bb.213:
	s_or_b64 exec, exec, s[10:11]
.LBB14_214:
	s_or_b64 exec, exec, s[8:9]
	v_mov_b32_e32 v6, 0
	ds_read_b128 v[10:13], v6 offset:208
	s_waitcnt lgkmcnt(0)
	v_mul_f64 v[6:7], v[4:5], v[12:13]
	v_mul_f64 v[60:61], v[2:3], v[12:13]
	v_fma_f64 v[58:59], v[2:3], v[10:11], -v[6:7]
	v_fmac_f64_e32 v[60:61], v[4:5], v[10:11]
	scratch_store_dwordx4 off, v[58:61], off offset:208
.LBB14_215:
	s_or_b64 exec, exec, s[6:7]
	scratch_load_dwordx4 v[2:5], v45, off
	v_cmp_ne_u32_e32 vcc, 14, v0
                                        ; implicit-def: $vgpr6_vgpr7
                                        ; implicit-def: $vgpr10
	s_waitcnt vmcnt(0)
	ds_write_b128 v9, v[2:5]
	s_waitcnt lgkmcnt(0)
	; wave barrier
	s_waitcnt lgkmcnt(0)
	s_and_saveexec_b64 s[6:7], vcc
	s_cbranch_execz .LBB14_223
; %bb.216:
	ds_read_b128 v[2:5], v9
	s_and_b64 vcc, exec, s[0:1]
	s_cbranch_vccnz .LBB14_218
; %bb.217:
	scratch_load_dwordx4 v[6:9], v8, off
	s_waitcnt vmcnt(0) lgkmcnt(0)
	v_mul_f64 v[10:11], v[4:5], v[8:9]
	v_mul_f64 v[8:9], v[2:3], v[8:9]
	v_fmac_f64_e32 v[8:9], v[4:5], v[6:7]
	v_fma_f64 v[2:3], v[2:3], v[6:7], -v[10:11]
	v_mov_b64_e32 v[4:5], v[8:9]
.LBB14_218:
	s_and_saveexec_b64 s[0:1], s[2:3]
	s_cbranch_execz .LBB14_222
; %bb.219:
	v_mov_b32_e32 v7, 0
	v_add_u32_e32 v6, 0x100, v44
	v_add3_u32 v7, v44, v7, 24
	s_mov_b64 s[2:3], 0
.LBB14_220:                             ; =>This Inner Loop Header: Depth=1
	v_add_u32_e32 v8, -8, v7
	scratch_load_dwordx4 v[8:11], v8, off
	ds_read_b128 v[58:61], v6
	v_add_u32_e32 v0, 1, v0
	v_cmp_lt_u32_e32 vcc, 12, v0
	v_add_u32_e32 v6, 16, v6
	v_add_u32_e32 v7, 16, v7
	s_or_b64 s[2:3], vcc, s[2:3]
	s_waitcnt vmcnt(0) lgkmcnt(0)
	v_mul_f64 v[12:13], v[60:61], v[10:11]
	v_mul_f64 v[10:11], v[58:59], v[10:11]
	v_fma_f64 v[12:13], v[58:59], v[8:9], -v[12:13]
	v_fmac_f64_e32 v[10:11], v[60:61], v[8:9]
	v_add_f64 v[2:3], v[2:3], v[12:13]
	v_add_f64 v[4:5], v[4:5], v[10:11]
	s_andn2_b64 exec, exec, s[2:3]
	s_cbranch_execnz .LBB14_220
; %bb.221:
	s_or_b64 exec, exec, s[2:3]
.LBB14_222:
	s_or_b64 exec, exec, s[0:1]
	v_mov_b32_e32 v0, 0
	ds_read_b128 v[58:61], v0 offset:224
	v_mov_b32_e32 v0, 0
	v_add_u32_e32 v10, 0xe8, v0
	s_or_b64 s[4:5], s[4:5], exec
	s_waitcnt lgkmcnt(0)
	v_mul_f64 v[8:9], v[4:5], v[60:61]
	v_mul_f64 v[6:7], v[2:3], v[60:61]
	v_fma_f64 v[2:3], v[2:3], v[58:59], -v[8:9]
	v_fmac_f64_e32 v[6:7], v[4:5], v[58:59]
	scratch_store_dwordx2 off, v[2:3], off offset:224
.LBB14_223:
	s_or_b64 exec, exec, s[6:7]
.LBB14_224:
	s_and_saveexec_b64 s[0:1], s[4:5]
	s_cbranch_execz .LBB14_226
; %bb.225:
	scratch_store_dwordx2 v10, v[6:7], off
.LBB14_226:
	s_or_b64 exec, exec, s[0:1]
	scratch_load_dwordx4 v[2:5], off, off
	scratch_load_dwordx4 v[6:9], v52, off
	scratch_load_dwordx4 v[10:13], v53, off
	;; [unrolled: 1-line block ×6, first 2 shown]
	s_waitcnt vmcnt(6)
	global_store_dwordx4 v[16:17], v[2:5], off
	scratch_load_dwordx4 v[2:5], v51, off
	s_nop 0
	scratch_load_dwordx4 v[52:55], v50, off
	s_waitcnt vmcnt(8)
	global_store_dwordx4 v[14:15], v[6:9], off
	scratch_load_dwordx4 v[6:9], v48, off
	s_nop 0
	scratch_load_dwordx4 v[14:17], v49, off
	;; [unrolled: 5-line block ×4, first 2 shown]
	s_waitcnt vmcnt(14)
	global_store_dwordx4 v[22:23], v[62:65], off
	s_waitcnt vmcnt(14)
	global_store_dwordx4 v[24:25], v[66:69], off
	s_waitcnt vmcnt(14)
	global_store_dwordx4 v[26:27], v[70:73], off
	s_waitcnt vmcnt(13)
	global_store_dwordx4 v[28:29], v[2:5], off
	s_waitcnt vmcnt(13)
	global_store_dwordx4 v[30:31], v[52:55], off
	s_waitcnt vmcnt(12)
	global_store_dwordx4 v[32:33], v[6:9], off
	s_waitcnt vmcnt(12)
	global_store_dwordx4 v[34:35], v[14:17], off
	s_waitcnt vmcnt(11)
	global_store_dwordx4 v[36:37], v[10:13], off
	s_waitcnt vmcnt(11)
	global_store_dwordx4 v[38:39], v[48:51], off
	s_waitcnt vmcnt(10)
	global_store_dwordx4 v[40:41], v[18:21], off
	s_waitcnt vmcnt(10)
	global_store_dwordx4 v[42:43], v[56:59], off
.LBB14_227:
	s_endpgm
	.section	.rodata,"a",@progbits
	.p2align	6, 0x0
	.amdhsa_kernel _ZN9rocsolver6v33100L18trti2_kernel_smallILi15E19rocblas_complex_numIdEPS3_EEv13rocblas_fill_17rocblas_diagonal_T1_iil
		.amdhsa_group_segment_fixed_size 480
		.amdhsa_private_segment_fixed_size 256
		.amdhsa_kernarg_size 32
		.amdhsa_user_sgpr_count 2
		.amdhsa_user_sgpr_dispatch_ptr 0
		.amdhsa_user_sgpr_queue_ptr 0
		.amdhsa_user_sgpr_kernarg_segment_ptr 1
		.amdhsa_user_sgpr_dispatch_id 0
		.amdhsa_user_sgpr_kernarg_preload_length 0
		.amdhsa_user_sgpr_kernarg_preload_offset 0
		.amdhsa_user_sgpr_private_segment_size 0
		.amdhsa_uses_dynamic_stack 0
		.amdhsa_enable_private_segment 1
		.amdhsa_system_sgpr_workgroup_id_x 1
		.amdhsa_system_sgpr_workgroup_id_y 0
		.amdhsa_system_sgpr_workgroup_id_z 0
		.amdhsa_system_sgpr_workgroup_info 0
		.amdhsa_system_vgpr_workitem_id 0
		.amdhsa_next_free_vgpr 74
		.amdhsa_next_free_sgpr 12
		.amdhsa_accum_offset 76
		.amdhsa_reserve_vcc 1
		.amdhsa_float_round_mode_32 0
		.amdhsa_float_round_mode_16_64 0
		.amdhsa_float_denorm_mode_32 3
		.amdhsa_float_denorm_mode_16_64 3
		.amdhsa_dx10_clamp 1
		.amdhsa_ieee_mode 1
		.amdhsa_fp16_overflow 0
		.amdhsa_tg_split 0
		.amdhsa_exception_fp_ieee_invalid_op 0
		.amdhsa_exception_fp_denorm_src 0
		.amdhsa_exception_fp_ieee_div_zero 0
		.amdhsa_exception_fp_ieee_overflow 0
		.amdhsa_exception_fp_ieee_underflow 0
		.amdhsa_exception_fp_ieee_inexact 0
		.amdhsa_exception_int_div_zero 0
	.end_amdhsa_kernel
	.section	.text._ZN9rocsolver6v33100L18trti2_kernel_smallILi15E19rocblas_complex_numIdEPS3_EEv13rocblas_fill_17rocblas_diagonal_T1_iil,"axG",@progbits,_ZN9rocsolver6v33100L18trti2_kernel_smallILi15E19rocblas_complex_numIdEPS3_EEv13rocblas_fill_17rocblas_diagonal_T1_iil,comdat
.Lfunc_end14:
	.size	_ZN9rocsolver6v33100L18trti2_kernel_smallILi15E19rocblas_complex_numIdEPS3_EEv13rocblas_fill_17rocblas_diagonal_T1_iil, .Lfunc_end14-_ZN9rocsolver6v33100L18trti2_kernel_smallILi15E19rocblas_complex_numIdEPS3_EEv13rocblas_fill_17rocblas_diagonal_T1_iil
                                        ; -- End function
	.section	.AMDGPU.csdata,"",@progbits
; Kernel info:
; codeLenInByte = 9684
; NumSgprs: 18
; NumVgprs: 74
; NumAgprs: 0
; TotalNumVgprs: 74
; ScratchSize: 256
; MemoryBound: 0
; FloatMode: 240
; IeeeMode: 1
; LDSByteSize: 480 bytes/workgroup (compile time only)
; SGPRBlocks: 2
; VGPRBlocks: 9
; NumSGPRsForWavesPerEU: 18
; NumVGPRsForWavesPerEU: 74
; AccumOffset: 76
; Occupancy: 6
; WaveLimiterHint : 0
; COMPUTE_PGM_RSRC2:SCRATCH_EN: 1
; COMPUTE_PGM_RSRC2:USER_SGPR: 2
; COMPUTE_PGM_RSRC2:TRAP_HANDLER: 0
; COMPUTE_PGM_RSRC2:TGID_X_EN: 1
; COMPUTE_PGM_RSRC2:TGID_Y_EN: 0
; COMPUTE_PGM_RSRC2:TGID_Z_EN: 0
; COMPUTE_PGM_RSRC2:TIDIG_COMP_CNT: 0
; COMPUTE_PGM_RSRC3_GFX90A:ACCUM_OFFSET: 18
; COMPUTE_PGM_RSRC3_GFX90A:TG_SPLIT: 0
	.section	.text._ZN9rocsolver6v33100L18trti2_kernel_smallILi16E19rocblas_complex_numIdEPS3_EEv13rocblas_fill_17rocblas_diagonal_T1_iil,"axG",@progbits,_ZN9rocsolver6v33100L18trti2_kernel_smallILi16E19rocblas_complex_numIdEPS3_EEv13rocblas_fill_17rocblas_diagonal_T1_iil,comdat
	.globl	_ZN9rocsolver6v33100L18trti2_kernel_smallILi16E19rocblas_complex_numIdEPS3_EEv13rocblas_fill_17rocblas_diagonal_T1_iil ; -- Begin function _ZN9rocsolver6v33100L18trti2_kernel_smallILi16E19rocblas_complex_numIdEPS3_EEv13rocblas_fill_17rocblas_diagonal_T1_iil
	.p2align	8
	.type	_ZN9rocsolver6v33100L18trti2_kernel_smallILi16E19rocblas_complex_numIdEPS3_EEv13rocblas_fill_17rocblas_diagonal_T1_iil,@function
_ZN9rocsolver6v33100L18trti2_kernel_smallILi16E19rocblas_complex_numIdEPS3_EEv13rocblas_fill_17rocblas_diagonal_T1_iil: ; @_ZN9rocsolver6v33100L18trti2_kernel_smallILi16E19rocblas_complex_numIdEPS3_EEv13rocblas_fill_17rocblas_diagonal_T1_iil
; %bb.0:
	v_cmp_gt_u32_e32 vcc, 16, v0
	s_and_saveexec_b64 s[4:5], vcc
	s_cbranch_execz .LBB15_243
; %bb.1:
	s_load_dwordx8 s[4:11], s[0:1], 0x0
	s_ashr_i32 s3, s2, 31
	v_lshlrev_b32_e32 v46, 4, v0
	v_mov_b32_e32 v47, 0
	v_mov_b32_e32 v1, 0
	s_waitcnt lgkmcnt(0)
	s_ashr_i32 s1, s8, 31
	s_mov_b32 s0, s8
	s_mul_i32 s8, s2, s11
	s_mul_hi_u32 s11, s2, s10
	s_add_i32 s8, s11, s8
	s_mul_i32 s3, s3, s10
	s_add_i32 s3, s8, s3
	s_mul_i32 s2, s2, s10
	s_lshl_b64 s[2:3], s[2:3], 4
	s_add_u32 s2, s6, s2
	s_addc_u32 s3, s7, s3
	s_lshl_b64 s[0:1], s[0:1], 4
	s_add_u32 s0, s2, s0
	s_addc_u32 s1, s3, s1
	global_load_dwordx4 v[2:5], v46, s[0:1]
	s_add_i32 s6, s9, s9
	v_add_u32_e32 v6, s6, v0
	v_add_u32_e32 v20, s9, v6
	;; [unrolled: 1-line block ×11, first 2 shown]
	s_mov_b32 s2, s9
	s_ashr_i32 s3, s9, 31
	v_lshl_add_u64 v[18:19], s[0:1], 0, v[46:47]
	v_add_u32_e32 v68, s9, v66
	v_lshl_add_u64 v[14:15], s[2:3], 4, v[18:19]
	v_ashrrev_i32_e32 v7, 31, v6
	v_ashrrev_i32_e32 v21, 31, v20
	v_add_u32_e32 v70, s9, v68
	v_lshl_add_u64 v[16:17], v[6:7], 4, s[0:1]
	global_load_dwordx4 v[6:9], v[14:15], off
	global_load_dwordx4 v[10:13], v[16:17], off
	v_lshl_add_u64 v[20:21], v[20:21], 4, s[0:1]
	v_ashrrev_i32_e32 v23, 31, v22
	v_ashrrev_i32_e32 v25, 31, v24
	v_add_u32_e32 v30, s9, v70
	v_lshl_add_u64 v[22:23], v[22:23], 4, s[0:1]
	global_load_dwordx4 v[38:41], v[20:21], off
	global_load_dwordx4 v[42:45], v[22:23], off
	v_lshl_add_u64 v[24:25], v[24:25], 4, s[0:1]
	v_ashrrev_i32_e32 v27, 31, v26
	v_ashrrev_i32_e32 v29, 31, v28
	;; [unrolled: 1-line block ×3, first 2 shown]
	v_lshl_add_u64 v[26:27], v[26:27], 4, s[0:1]
	global_load_dwordx4 v[48:51], v[24:25], off
	global_load_dwordx4 v[52:55], v[26:27], off
	v_lshl_add_u64 v[28:29], v[28:29], 4, s[0:1]
	v_lshl_add_u64 v[30:31], v[30:31], 4, s[0:1]
	global_load_dwordx4 v[56:59], v[30:31], off
	v_ashrrev_i32_e32 v33, 31, v32
	v_lshl_add_u64 v[32:33], v[32:33], 4, s[0:1]
	v_ashrrev_i32_e32 v35, 31, v34
	v_lshl_add_u64 v[34:35], v[34:35], 4, s[0:1]
	v_ashrrev_i32_e32 v37, 31, v36
	v_ashrrev_i32_e32 v65, 31, v64
	v_lshl_add_u64 v[36:37], v[36:37], 4, s[0:1]
	v_ashrrev_i32_e32 v67, 31, v66
	v_ashrrev_i32_e32 v69, 31, v68
	;; [unrolled: 1-line block ×3, first 2 shown]
	s_cmpk_lg_i32 s5, 0x84
	s_cselect_b64 s[6:7], -1, 0
	s_cmpk_eq_i32 s5, 0x84
	s_waitcnt vmcnt(7)
	scratch_store_dwordx4 off, v[2:5], off
	global_load_dwordx4 v[2:5], v[28:29], off
	s_waitcnt vmcnt(8)
	scratch_store_dwordx4 off, v[6:9], off offset:16
	global_load_dwordx4 v[6:9], v[32:33], off
	s_waitcnt vmcnt(9)
	scratch_store_dwordx4 off, v[10:13], off offset:32
	s_waitcnt vmcnt(9)
	scratch_store_dwordx4 off, v[38:41], off offset:48
	global_load_dwordx4 v[10:13], v[34:35], off
	global_load_dwordx4 v[60:63], v[36:37], off
	v_lshl_add_u64 v[38:39], v[64:65], 4, s[0:1]
	s_waitcnt vmcnt(11)
	scratch_store_dwordx4 off, v[42:45], off offset:64
	s_waitcnt vmcnt(11)
	scratch_store_dwordx4 off, v[48:51], off offset:80
	v_lshl_add_u64 v[40:41], v[66:67], 4, s[0:1]
	global_load_dwordx4 v[48:51], v[38:39], off
	global_load_dwordx4 v[64:67], v[40:41], off
	v_lshl_add_u64 v[42:43], v[68:69], 4, s[0:1]
	v_lshl_add_u64 v[44:45], v[70:71], 4, s[0:1]
	s_waitcnt vmcnt(13)
	scratch_store_dwordx4 off, v[52:55], off offset:96
	s_waitcnt vmcnt(11)
	scratch_store_dwordx4 off, v[2:5], off offset:112
	global_load_dwordx4 v[2:5], v[42:43], off
	s_nop 0
	global_load_dwordx4 v[52:55], v[44:45], off
	s_waitcnt vmcnt(12)
	scratch_store_dwordx4 off, v[6:9], off offset:128
	s_waitcnt vmcnt(10)
	scratch_store_dwordx4 off, v[10:13], off offset:144
	;; [unrolled: 2-line block ×7, first 2 shown]
	scratch_store_dwordx4 off, v[56:59], off offset:240
	s_cbranch_scc1 .LBB15_7
; %bb.2:
	scratch_load_dwordx4 v[2:5], v46, off
                                        ; implicit-def: $vgpr10_vgpr11
	s_waitcnt vmcnt(0)
	v_xor_b32_e32 v7, 0x80000000, v3
	v_cmp_gt_f64_e32 vcc, 0, v[2:3]
	v_xor_b32_e32 v8, 0x80000000, v5
	v_mov_b32_e32 v6, v2
	v_cndmask_b32_e32 v7, v3, v7, vcc
	v_cmp_gt_f64_e32 vcc, 0, v[4:5]
	s_nop 1
	v_cndmask_b32_e32 v9, v5, v8, vcc
	v_mov_b32_e32 v8, v4
	v_cmp_ngt_f64_e32 vcc, v[6:7], v[8:9]
                                        ; implicit-def: $vgpr6_vgpr7
	s_and_saveexec_b64 s[0:1], vcc
	s_xor_b64 s[0:1], exec, s[0:1]
	s_cbranch_execz .LBB15_4
; %bb.3:
	v_div_scale_f64 v[6:7], s[2:3], v[4:5], v[4:5], v[2:3]
	v_rcp_f64_e32 v[8:9], v[6:7]
	v_div_scale_f64 v[10:11], vcc, v[2:3], v[4:5], v[2:3]
	v_fma_f64 v[12:13], -v[6:7], v[8:9], 1.0
	v_fmac_f64_e32 v[8:9], v[8:9], v[12:13]
	v_fma_f64 v[12:13], -v[6:7], v[8:9], 1.0
	v_fmac_f64_e32 v[8:9], v[8:9], v[12:13]
	v_mul_f64 v[12:13], v[10:11], v[8:9]
	v_fma_f64 v[6:7], -v[6:7], v[12:13], v[10:11]
	v_div_fmas_f64 v[6:7], v[6:7], v[8:9], v[12:13]
	v_div_fixup_f64 v[6:7], v[6:7], v[4:5], v[2:3]
	v_fmac_f64_e32 v[4:5], v[2:3], v[6:7]
	v_div_scale_f64 v[2:3], s[2:3], v[4:5], v[4:5], 1.0
	v_rcp_f64_e32 v[8:9], v[2:3]
	s_nop 0
	v_fma_f64 v[10:11], -v[2:3], v[8:9], 1.0
	v_fmac_f64_e32 v[8:9], v[8:9], v[10:11]
	v_fma_f64 v[10:11], -v[2:3], v[8:9], 1.0
	v_fmac_f64_e32 v[8:9], v[8:9], v[10:11]
	v_div_scale_f64 v[10:11], vcc, 1.0, v[4:5], 1.0
	v_mul_f64 v[12:13], v[10:11], v[8:9]
	v_fma_f64 v[2:3], -v[2:3], v[12:13], v[10:11]
	s_nop 1
	v_div_fmas_f64 v[2:3], v[2:3], v[8:9], v[12:13]
	v_div_fixup_f64 v[8:9], v[2:3], v[4:5], 1.0
	v_mul_f64 v[6:7], v[6:7], v[8:9]
	v_xor_b32_e32 v9, 0x80000000, v9
	v_xor_b32_e32 v11, 0x80000000, v7
	v_mov_b32_e32 v10, v6
                                        ; implicit-def: $vgpr2_vgpr3
.LBB15_4:
	s_or_saveexec_b64 s[0:1], s[0:1]
	v_add_u32_e32 v12, 0, v46
	s_xor_b64 exec, exec, s[0:1]
	s_cbranch_execz .LBB15_6
; %bb.5:
	v_div_scale_f64 v[6:7], s[2:3], v[2:3], v[2:3], v[4:5]
	v_rcp_f64_e32 v[8:9], v[6:7]
	v_div_scale_f64 v[10:11], vcc, v[4:5], v[2:3], v[4:5]
	v_fma_f64 v[48:49], -v[6:7], v[8:9], 1.0
	v_fmac_f64_e32 v[8:9], v[8:9], v[48:49]
	v_fma_f64 v[48:49], -v[6:7], v[8:9], 1.0
	v_fmac_f64_e32 v[8:9], v[8:9], v[48:49]
	v_mul_f64 v[48:49], v[10:11], v[8:9]
	v_fma_f64 v[6:7], -v[6:7], v[48:49], v[10:11]
	v_div_fmas_f64 v[6:7], v[6:7], v[8:9], v[48:49]
	v_div_fixup_f64 v[8:9], v[6:7], v[2:3], v[4:5]
	v_fmac_f64_e32 v[2:3], v[4:5], v[8:9]
	v_div_scale_f64 v[4:5], s[2:3], v[2:3], v[2:3], 1.0
	v_rcp_f64_e32 v[6:7], v[4:5]
	s_nop 0
	v_fma_f64 v[10:11], -v[4:5], v[6:7], 1.0
	v_fmac_f64_e32 v[6:7], v[6:7], v[10:11]
	v_fma_f64 v[10:11], -v[4:5], v[6:7], 1.0
	v_fmac_f64_e32 v[6:7], v[6:7], v[10:11]
	v_div_scale_f64 v[10:11], vcc, 1.0, v[2:3], 1.0
	v_mul_f64 v[48:49], v[10:11], v[6:7]
	v_fma_f64 v[4:5], -v[4:5], v[48:49], v[10:11]
	s_nop 1
	v_div_fmas_f64 v[4:5], v[4:5], v[6:7], v[48:49]
	v_div_fixup_f64 v[6:7], v[4:5], v[2:3], 1.0
	v_xor_b32_e32 v11, 0x80000000, v7
	v_mov_b32_e32 v10, v6
	v_mul_f64 v[8:9], v[8:9], -v[6:7]
.LBB15_6:
	s_or_b64 exec, exec, s[0:1]
	scratch_store_dwordx4 v12, v[6:9], off
	s_nop 1
	v_xor_b32_e32 v9, 0x80000000, v9
	s_branch .LBB15_8
.LBB15_7:
	v_mov_b64_e32 v[8:9], 0
	v_mov_b64_e32 v[10:11], -1.0
.LBB15_8:
	v_add_u32_e32 v56, 16, v1
	v_add_u32_e32 v59, 32, v1
	;; [unrolled: 1-line block ×15, first 2 shown]
	v_mov_b32_e32 v12, v8
	v_mov_b32_e32 v13, v9
	s_cmpk_eq_i32 s4, 0x79
	v_add_u32_e32 v9, 0x100, v46
	v_add_u32_e32 v8, 0, v46
	ds_write_b128 v46, v[10:13]
	s_cbranch_scc1 .LBB15_124
; %bb.9:
	scratch_load_dwordx4 v[2:5], v47, off
	v_cmp_eq_u32_e64 s[0:1], 15, v0
	s_waitcnt vmcnt(0)
	ds_write_b128 v9, v[2:5]
	s_waitcnt lgkmcnt(0)
	; wave barrier
	s_waitcnt lgkmcnt(0)
	s_and_saveexec_b64 s[2:3], s[0:1]
	s_cbranch_execz .LBB15_13
; %bb.10:
	ds_read_b128 v[2:5], v9
	s_andn2_b64 vcc, exec, s[6:7]
	s_cbranch_vccnz .LBB15_12
; %bb.11:
	scratch_load_dwordx4 v[10:13], v8, off
	s_waitcnt vmcnt(0) lgkmcnt(0)
	v_mul_f64 v[6:7], v[4:5], v[12:13]
	v_mul_f64 v[12:13], v[2:3], v[12:13]
	v_fmac_f64_e32 v[12:13], v[4:5], v[10:11]
	v_fma_f64 v[2:3], v[2:3], v[10:11], -v[6:7]
	v_mov_b64_e32 v[4:5], v[12:13]
.LBB15_12:
	v_mov_b32_e32 v6, 0
	ds_read_b128 v[10:13], v6 offset:224
	s_waitcnt lgkmcnt(0)
	v_mul_f64 v[6:7], v[4:5], v[12:13]
	v_mul_f64 v[64:65], v[2:3], v[12:13]
	v_fma_f64 v[62:63], v[2:3], v[10:11], -v[6:7]
	v_fmac_f64_e32 v[64:65], v[4:5], v[10:11]
	scratch_store_dwordx4 off, v[62:65], off offset:224
.LBB15_13:
	s_or_b64 exec, exec, s[2:3]
	scratch_load_dwordx4 v[2:5], v49, off
	v_cmp_lt_u32_e64 s[2:3], 13, v0
	s_waitcnt vmcnt(0)
	ds_write_b128 v9, v[2:5]
	s_waitcnt lgkmcnt(0)
	; wave barrier
	s_waitcnt lgkmcnt(0)
	s_and_saveexec_b64 s[4:5], s[2:3]
	s_cbranch_execz .LBB15_19
; %bb.14:
	ds_read_b128 v[2:5], v9
	s_andn2_b64 vcc, exec, s[6:7]
	s_cbranch_vccnz .LBB15_16
; %bb.15:
	scratch_load_dwordx4 v[10:13], v8, off
	s_waitcnt vmcnt(0) lgkmcnt(0)
	v_mul_f64 v[6:7], v[4:5], v[12:13]
	v_mul_f64 v[12:13], v[2:3], v[12:13]
	v_fmac_f64_e32 v[12:13], v[4:5], v[10:11]
	v_fma_f64 v[2:3], v[2:3], v[10:11], -v[6:7]
	v_mov_b64_e32 v[4:5], v[12:13]
.LBB15_16:
	s_and_saveexec_b64 s[8:9], s[0:1]
	s_cbranch_execz .LBB15_18
; %bb.17:
	scratch_load_dwordx4 v[10:13], off, off offset:224
	v_mov_b32_e32 v6, 0
	ds_read_b128 v[62:65], v6 offset:480
	s_waitcnt vmcnt(0) lgkmcnt(0)
	v_mul_f64 v[6:7], v[62:63], v[12:13]
	v_mul_f64 v[12:13], v[64:65], v[12:13]
	v_fmac_f64_e32 v[6:7], v[64:65], v[10:11]
	v_fma_f64 v[10:11], v[62:63], v[10:11], -v[12:13]
	v_add_f64 v[4:5], v[4:5], v[6:7]
	v_add_f64 v[2:3], v[2:3], v[10:11]
.LBB15_18:
	s_or_b64 exec, exec, s[8:9]
	v_mov_b32_e32 v6, 0
	ds_read_b128 v[10:13], v6 offset:208
	s_waitcnt lgkmcnt(0)
	v_mul_f64 v[6:7], v[4:5], v[12:13]
	v_mul_f64 v[64:65], v[2:3], v[12:13]
	v_fma_f64 v[62:63], v[2:3], v[10:11], -v[6:7]
	v_fmac_f64_e32 v[64:65], v[4:5], v[10:11]
	scratch_store_dwordx4 off, v[62:65], off offset:208
.LBB15_19:
	s_or_b64 exec, exec, s[4:5]
	scratch_load_dwordx4 v[2:5], v48, off
	v_cmp_lt_u32_e64 s[0:1], 12, v0
	s_waitcnt vmcnt(0)
	ds_write_b128 v9, v[2:5]
	s_waitcnt lgkmcnt(0)
	; wave barrier
	s_waitcnt lgkmcnt(0)
	s_and_saveexec_b64 s[4:5], s[0:1]
	s_cbranch_execz .LBB15_27
; %bb.20:
	ds_read_b128 v[2:5], v9
	s_andn2_b64 vcc, exec, s[6:7]
	s_cbranch_vccnz .LBB15_22
; %bb.21:
	scratch_load_dwordx4 v[10:13], v8, off
	s_waitcnt vmcnt(0) lgkmcnt(0)
	v_mul_f64 v[6:7], v[4:5], v[12:13]
	v_mul_f64 v[12:13], v[2:3], v[12:13]
	v_fmac_f64_e32 v[12:13], v[4:5], v[10:11]
	v_fma_f64 v[2:3], v[2:3], v[10:11], -v[6:7]
	v_mov_b64_e32 v[4:5], v[12:13]
.LBB15_22:
	s_and_saveexec_b64 s[8:9], s[2:3]
	s_cbranch_execz .LBB15_26
; %bb.23:
	v_mov_b32_e32 v7, 0
	v_add_u32_e32 v6, -13, v0
	v_add_u32_e32 v7, 0xd8, v7
	s_movk_i32 s10, 0x1d0
	s_mov_b64 s[2:3], 0
.LBB15_24:                              ; =>This Inner Loop Header: Depth=1
	v_add_u32_e32 v10, -8, v7
	scratch_load_dwordx4 v[10:13], v10, off
	v_mov_b32_e32 v61, s10
	ds_read_b128 v[62:65], v61
	v_add_u32_e32 v6, -1, v6
	s_add_i32 s10, s10, 16
	v_cmp_eq_u32_e32 vcc, 0, v6
	v_add_u32_e32 v7, 16, v7
	s_or_b64 s[2:3], vcc, s[2:3]
	s_waitcnt vmcnt(0) lgkmcnt(0)
	v_mul_f64 v[66:67], v[64:65], v[12:13]
	v_mul_f64 v[12:13], v[62:63], v[12:13]
	v_fma_f64 v[62:63], v[62:63], v[10:11], -v[66:67]
	v_fmac_f64_e32 v[12:13], v[64:65], v[10:11]
	v_add_f64 v[2:3], v[2:3], v[62:63]
	v_add_f64 v[4:5], v[4:5], v[12:13]
	s_andn2_b64 exec, exec, s[2:3]
	s_cbranch_execnz .LBB15_24
; %bb.25:
	s_or_b64 exec, exec, s[2:3]
.LBB15_26:
	s_or_b64 exec, exec, s[8:9]
	v_mov_b32_e32 v6, 0
	ds_read_b128 v[10:13], v6 offset:192
	s_waitcnt lgkmcnt(0)
	v_mul_f64 v[6:7], v[4:5], v[12:13]
	v_mul_f64 v[64:65], v[2:3], v[12:13]
	v_fma_f64 v[62:63], v[2:3], v[10:11], -v[6:7]
	v_fmac_f64_e32 v[64:65], v[4:5], v[10:11]
	scratch_store_dwordx4 off, v[62:65], off offset:192
.LBB15_27:
	s_or_b64 exec, exec, s[4:5]
	scratch_load_dwordx4 v[2:5], v51, off
	v_cmp_lt_u32_e64 s[2:3], 11, v0
	s_waitcnt vmcnt(0)
	ds_write_b128 v9, v[2:5]
	s_waitcnt lgkmcnt(0)
	; wave barrier
	s_waitcnt lgkmcnt(0)
	s_and_saveexec_b64 s[4:5], s[2:3]
	s_cbranch_execz .LBB15_35
; %bb.28:
	ds_read_b128 v[2:5], v9
	s_andn2_b64 vcc, exec, s[6:7]
	s_cbranch_vccnz .LBB15_30
; %bb.29:
	scratch_load_dwordx4 v[10:13], v8, off
	s_waitcnt vmcnt(0) lgkmcnt(0)
	v_mul_f64 v[6:7], v[4:5], v[12:13]
	v_mul_f64 v[12:13], v[2:3], v[12:13]
	v_fmac_f64_e32 v[12:13], v[4:5], v[10:11]
	v_fma_f64 v[2:3], v[2:3], v[10:11], -v[6:7]
	v_mov_b64_e32 v[4:5], v[12:13]
.LBB15_30:
	s_and_saveexec_b64 s[8:9], s[0:1]
	s_cbranch_execz .LBB15_34
; %bb.31:
	v_mov_b32_e32 v7, 0
	v_add_u32_e32 v6, -12, v0
	v_add_u32_e32 v7, 0xc8, v7
	s_movk_i32 s10, 0x1c0
	s_mov_b64 s[0:1], 0
.LBB15_32:                              ; =>This Inner Loop Header: Depth=1
	v_add_u32_e32 v10, -8, v7
	scratch_load_dwordx4 v[10:13], v10, off
	v_mov_b32_e32 v61, s10
	ds_read_b128 v[62:65], v61
	v_add_u32_e32 v6, -1, v6
	s_add_i32 s10, s10, 16
	v_cmp_eq_u32_e32 vcc, 0, v6
	v_add_u32_e32 v7, 16, v7
	s_or_b64 s[0:1], vcc, s[0:1]
	s_waitcnt vmcnt(0) lgkmcnt(0)
	v_mul_f64 v[66:67], v[64:65], v[12:13]
	v_mul_f64 v[12:13], v[62:63], v[12:13]
	v_fma_f64 v[62:63], v[62:63], v[10:11], -v[66:67]
	v_fmac_f64_e32 v[12:13], v[64:65], v[10:11]
	v_add_f64 v[2:3], v[2:3], v[62:63]
	v_add_f64 v[4:5], v[4:5], v[12:13]
	s_andn2_b64 exec, exec, s[0:1]
	s_cbranch_execnz .LBB15_32
; %bb.33:
	s_or_b64 exec, exec, s[0:1]
.LBB15_34:
	s_or_b64 exec, exec, s[8:9]
	v_mov_b32_e32 v6, 0
	ds_read_b128 v[10:13], v6 offset:176
	s_waitcnt lgkmcnt(0)
	v_mul_f64 v[6:7], v[4:5], v[12:13]
	v_mul_f64 v[64:65], v[2:3], v[12:13]
	v_fma_f64 v[62:63], v[2:3], v[10:11], -v[6:7]
	v_fmac_f64_e32 v[64:65], v[4:5], v[10:11]
	scratch_store_dwordx4 off, v[62:65], off offset:176
.LBB15_35:
	;; [unrolled: 63-line block ×10, first 2 shown]
	s_or_b64 exec, exec, s[4:5]
	scratch_load_dwordx4 v[2:5], v59, off
	v_cmp_lt_u32_e64 s[4:5], 2, v0
	s_waitcnt vmcnt(0)
	ds_write_b128 v9, v[2:5]
	s_waitcnt lgkmcnt(0)
	; wave barrier
	s_waitcnt lgkmcnt(0)
	s_and_saveexec_b64 s[0:1], s[4:5]
	s_cbranch_execz .LBB15_107
; %bb.100:
	ds_read_b128 v[2:5], v9
	s_andn2_b64 vcc, exec, s[6:7]
	s_cbranch_vccnz .LBB15_102
; %bb.101:
	scratch_load_dwordx4 v[10:13], v8, off
	s_waitcnt vmcnt(0) lgkmcnt(0)
	v_mul_f64 v[6:7], v[4:5], v[12:13]
	v_mul_f64 v[12:13], v[2:3], v[12:13]
	v_fmac_f64_e32 v[12:13], v[4:5], v[10:11]
	v_fma_f64 v[2:3], v[2:3], v[10:11], -v[6:7]
	v_mov_b64_e32 v[4:5], v[12:13]
.LBB15_102:
	s_and_saveexec_b64 s[8:9], s[2:3]
	s_cbranch_execz .LBB15_106
; %bb.103:
	v_mov_b32_e32 v7, 0
	v_add_u32_e32 v6, -3, v0
	v_add_u32_e32 v7, 56, v7
	s_movk_i32 s10, 0x130
	s_mov_b64 s[2:3], 0
.LBB15_104:                             ; =>This Inner Loop Header: Depth=1
	v_add_u32_e32 v10, -8, v7
	scratch_load_dwordx4 v[10:13], v10, off
	v_mov_b32_e32 v61, s10
	ds_read_b128 v[62:65], v61
	v_add_u32_e32 v6, -1, v6
	s_add_i32 s10, s10, 16
	v_cmp_eq_u32_e32 vcc, 0, v6
	v_add_u32_e32 v7, 16, v7
	s_or_b64 s[2:3], vcc, s[2:3]
	s_waitcnt vmcnt(0) lgkmcnt(0)
	v_mul_f64 v[66:67], v[64:65], v[12:13]
	v_mul_f64 v[12:13], v[62:63], v[12:13]
	v_fma_f64 v[62:63], v[62:63], v[10:11], -v[66:67]
	v_fmac_f64_e32 v[12:13], v[64:65], v[10:11]
	v_add_f64 v[2:3], v[2:3], v[62:63]
	v_add_f64 v[4:5], v[4:5], v[12:13]
	s_andn2_b64 exec, exec, s[2:3]
	s_cbranch_execnz .LBB15_104
; %bb.105:
	s_or_b64 exec, exec, s[2:3]
.LBB15_106:
	s_or_b64 exec, exec, s[8:9]
	v_mov_b32_e32 v6, 0
	ds_read_b128 v[10:13], v6 offset:32
	s_waitcnt lgkmcnt(0)
	v_mul_f64 v[6:7], v[4:5], v[12:13]
	v_mul_f64 v[64:65], v[2:3], v[12:13]
	v_fma_f64 v[62:63], v[2:3], v[10:11], -v[6:7]
	v_fmac_f64_e32 v[64:65], v[4:5], v[10:11]
	scratch_store_dwordx4 off, v[62:65], off offset:32
.LBB15_107:
	s_or_b64 exec, exec, s[0:1]
	scratch_load_dwordx4 v[2:5], v56, off
	v_cmp_lt_u32_e64 s[0:1], 1, v0
	s_waitcnt vmcnt(0)
	ds_write_b128 v9, v[2:5]
	s_waitcnt lgkmcnt(0)
	; wave barrier
	s_waitcnt lgkmcnt(0)
	s_and_saveexec_b64 s[2:3], s[0:1]
	s_cbranch_execz .LBB15_115
; %bb.108:
	ds_read_b128 v[2:5], v9
	s_andn2_b64 vcc, exec, s[6:7]
	s_cbranch_vccnz .LBB15_110
; %bb.109:
	scratch_load_dwordx4 v[10:13], v8, off
	s_waitcnt vmcnt(0) lgkmcnt(0)
	v_mul_f64 v[6:7], v[4:5], v[12:13]
	v_mul_f64 v[12:13], v[2:3], v[12:13]
	v_fmac_f64_e32 v[12:13], v[4:5], v[10:11]
	v_fma_f64 v[2:3], v[2:3], v[10:11], -v[6:7]
	v_mov_b64_e32 v[4:5], v[12:13]
.LBB15_110:
	s_and_saveexec_b64 s[8:9], s[4:5]
	s_cbranch_execz .LBB15_114
; %bb.111:
	v_mov_b32_e32 v7, 0
	v_add_u32_e32 v6, -2, v0
	v_add_u32_e32 v7, 40, v7
	s_movk_i32 s10, 0x120
	s_mov_b64 s[4:5], 0
.LBB15_112:                             ; =>This Inner Loop Header: Depth=1
	v_add_u32_e32 v10, -8, v7
	scratch_load_dwordx4 v[10:13], v10, off
	v_mov_b32_e32 v61, s10
	ds_read_b128 v[62:65], v61
	v_add_u32_e32 v6, -1, v6
	s_add_i32 s10, s10, 16
	v_cmp_eq_u32_e32 vcc, 0, v6
	v_add_u32_e32 v7, 16, v7
	s_or_b64 s[4:5], vcc, s[4:5]
	s_waitcnt vmcnt(0) lgkmcnt(0)
	v_mul_f64 v[66:67], v[64:65], v[12:13]
	v_mul_f64 v[12:13], v[62:63], v[12:13]
	v_fma_f64 v[62:63], v[62:63], v[10:11], -v[66:67]
	v_fmac_f64_e32 v[12:13], v[64:65], v[10:11]
	v_add_f64 v[2:3], v[2:3], v[62:63]
	v_add_f64 v[4:5], v[4:5], v[12:13]
	s_andn2_b64 exec, exec, s[4:5]
	s_cbranch_execnz .LBB15_112
; %bb.113:
	s_or_b64 exec, exec, s[4:5]
.LBB15_114:
	s_or_b64 exec, exec, s[8:9]
	v_mov_b32_e32 v6, 0
	ds_read_b128 v[10:13], v6 offset:16
	s_waitcnt lgkmcnt(0)
	v_mul_f64 v[6:7], v[4:5], v[12:13]
	v_mul_f64 v[64:65], v[2:3], v[12:13]
	v_fma_f64 v[62:63], v[2:3], v[10:11], -v[6:7]
	v_fmac_f64_e32 v[64:65], v[4:5], v[10:11]
	scratch_store_dwordx4 off, v[62:65], off offset:16
.LBB15_115:
	s_or_b64 exec, exec, s[2:3]
	scratch_load_dwordx4 v[2:5], off, off
	v_cmp_ne_u32_e32 vcc, 0, v0
	s_mov_b64 s[2:3], 0
	s_mov_b64 s[4:5], 0
                                        ; implicit-def: $vgpr6_vgpr7
                                        ; implicit-def: $vgpr10
	s_waitcnt vmcnt(0)
	ds_write_b128 v9, v[2:5]
	s_waitcnt lgkmcnt(0)
	; wave barrier
	s_waitcnt lgkmcnt(0)
	s_and_saveexec_b64 s[8:9], vcc
	s_cbranch_execz .LBB15_123
; %bb.116:
	ds_read_b128 v[2:5], v9
	s_andn2_b64 vcc, exec, s[6:7]
	s_cbranch_vccnz .LBB15_118
; %bb.117:
	scratch_load_dwordx4 v[10:13], v8, off
	s_waitcnt vmcnt(0) lgkmcnt(0)
	v_mul_f64 v[6:7], v[4:5], v[12:13]
	v_mul_f64 v[12:13], v[2:3], v[12:13]
	v_fmac_f64_e32 v[12:13], v[4:5], v[10:11]
	v_fma_f64 v[2:3], v[2:3], v[10:11], -v[6:7]
	v_mov_b64_e32 v[4:5], v[12:13]
.LBB15_118:
	s_and_saveexec_b64 s[4:5], s[0:1]
	s_cbranch_execz .LBB15_122
; %bb.119:
	v_mov_b32_e32 v7, 0
	v_add_u32_e32 v6, -1, v0
	v_add_u32_e32 v7, 24, v7
	s_movk_i32 s10, 0x110
	s_mov_b64 s[0:1], 0
.LBB15_120:                             ; =>This Inner Loop Header: Depth=1
	v_add_u32_e32 v10, -8, v7
	scratch_load_dwordx4 v[10:13], v10, off
	v_mov_b32_e32 v61, s10
	ds_read_b128 v[62:65], v61
	v_add_u32_e32 v6, -1, v6
	s_add_i32 s10, s10, 16
	v_cmp_eq_u32_e32 vcc, 0, v6
	v_add_u32_e32 v7, 16, v7
	s_or_b64 s[0:1], vcc, s[0:1]
	s_waitcnt vmcnt(0) lgkmcnt(0)
	v_mul_f64 v[66:67], v[64:65], v[12:13]
	v_mul_f64 v[12:13], v[62:63], v[12:13]
	v_fma_f64 v[62:63], v[62:63], v[10:11], -v[66:67]
	v_fmac_f64_e32 v[12:13], v[64:65], v[10:11]
	v_add_f64 v[2:3], v[2:3], v[62:63]
	v_add_f64 v[4:5], v[4:5], v[12:13]
	s_andn2_b64 exec, exec, s[0:1]
	s_cbranch_execnz .LBB15_120
; %bb.121:
	s_or_b64 exec, exec, s[0:1]
.LBB15_122:
	s_or_b64 exec, exec, s[4:5]
	v_mov_b32_e32 v6, 0
	ds_read_b128 v[62:65], v6
	v_mov_b32_e32 v6, 0
	v_or_b32_e32 v10, 8, v6
	s_mov_b64 s[4:5], exec
	s_waitcnt lgkmcnt(0)
	v_mul_f64 v[12:13], v[4:5], v[64:65]
	v_mul_f64 v[6:7], v[2:3], v[64:65]
	v_fma_f64 v[2:3], v[2:3], v[62:63], -v[12:13]
	v_fmac_f64_e32 v[6:7], v[4:5], v[62:63]
	scratch_store_dwordx2 off, v[2:3], off
.LBB15_123:
	s_or_b64 exec, exec, s[8:9]
	s_and_b64 vcc, exec, s[2:3]
	s_cbranch_vccnz .LBB15_125
	s_branch .LBB15_240
.LBB15_124:
	s_mov_b64 s[4:5], 0
                                        ; implicit-def: $vgpr6_vgpr7
                                        ; implicit-def: $vgpr10
	s_cbranch_execz .LBB15_240
.LBB15_125:
	scratch_load_dwordx4 v[2:5], v56, off
	v_cndmask_b32_e64 v6, 0, 1, s[6:7]
	v_cmp_eq_u32_e64 s[2:3], 0, v0
	v_cmp_ne_u32_e64 s[0:1], 1, v6
	s_waitcnt vmcnt(0)
	ds_write_b128 v9, v[2:5]
	s_waitcnt lgkmcnt(0)
	; wave barrier
	s_waitcnt lgkmcnt(0)
	s_and_saveexec_b64 s[6:7], s[2:3]
	s_cbranch_execz .LBB15_129
; %bb.126:
	ds_read_b128 v[2:5], v9
	s_and_b64 vcc, exec, s[0:1]
	s_cbranch_vccnz .LBB15_128
; %bb.127:
	scratch_load_dwordx4 v[10:13], v8, off
	s_waitcnt vmcnt(0) lgkmcnt(0)
	v_mul_f64 v[6:7], v[4:5], v[12:13]
	v_mul_f64 v[12:13], v[2:3], v[12:13]
	v_fmac_f64_e32 v[12:13], v[4:5], v[10:11]
	v_fma_f64 v[2:3], v[2:3], v[10:11], -v[6:7]
	v_mov_b64_e32 v[4:5], v[12:13]
.LBB15_128:
	v_mov_b32_e32 v6, 0
	ds_read_b128 v[10:13], v6 offset:16
	s_waitcnt lgkmcnt(0)
	v_mul_f64 v[6:7], v[4:5], v[12:13]
	v_mul_f64 v[64:65], v[2:3], v[12:13]
	v_fma_f64 v[62:63], v[2:3], v[10:11], -v[6:7]
	v_fmac_f64_e32 v[64:65], v[4:5], v[10:11]
	scratch_store_dwordx4 off, v[62:65], off offset:16
.LBB15_129:
	s_or_b64 exec, exec, s[6:7]
	scratch_load_dwordx4 v[2:5], v59, off
	v_cmp_gt_u32_e32 vcc, 2, v0
	s_waitcnt vmcnt(0)
	ds_write_b128 v9, v[2:5]
	s_waitcnt lgkmcnt(0)
	; wave barrier
	s_waitcnt lgkmcnt(0)
	s_and_saveexec_b64 s[6:7], vcc
	s_cbranch_execz .LBB15_135
; %bb.130:
	ds_read_b128 v[2:5], v9
	s_and_b64 vcc, exec, s[0:1]
	s_cbranch_vccnz .LBB15_132
; %bb.131:
	scratch_load_dwordx4 v[10:13], v8, off
	s_waitcnt vmcnt(0) lgkmcnt(0)
	v_mul_f64 v[6:7], v[4:5], v[12:13]
	v_mul_f64 v[12:13], v[2:3], v[12:13]
	v_fmac_f64_e32 v[12:13], v[4:5], v[10:11]
	v_fma_f64 v[2:3], v[2:3], v[10:11], -v[6:7]
	v_mov_b64_e32 v[4:5], v[12:13]
.LBB15_132:
	s_and_saveexec_b64 s[8:9], s[2:3]
	s_cbranch_execz .LBB15_134
; %bb.133:
	scratch_load_dwordx4 v[10:13], v8, off offset:16
	ds_read_b128 v[62:65], v9 offset:16
	s_waitcnt vmcnt(0) lgkmcnt(0)
	v_mul_f64 v[6:7], v[64:65], v[12:13]
	v_mul_f64 v[12:13], v[62:63], v[12:13]
	v_fma_f64 v[6:7], v[62:63], v[10:11], -v[6:7]
	v_fmac_f64_e32 v[12:13], v[64:65], v[10:11]
	v_add_f64 v[2:3], v[2:3], v[6:7]
	v_add_f64 v[4:5], v[4:5], v[12:13]
.LBB15_134:
	s_or_b64 exec, exec, s[8:9]
	v_mov_b32_e32 v6, 0
	ds_read_b128 v[10:13], v6 offset:32
	s_waitcnt lgkmcnt(0)
	v_mul_f64 v[6:7], v[4:5], v[12:13]
	v_mul_f64 v[64:65], v[2:3], v[12:13]
	v_fma_f64 v[62:63], v[2:3], v[10:11], -v[6:7]
	v_fmac_f64_e32 v[64:65], v[4:5], v[10:11]
	scratch_store_dwordx4 off, v[62:65], off offset:32
.LBB15_135:
	s_or_b64 exec, exec, s[6:7]
	scratch_load_dwordx4 v[2:5], v57, off
	v_cmp_gt_u32_e32 vcc, 3, v0
	s_waitcnt vmcnt(0)
	ds_write_b128 v9, v[2:5]
	s_waitcnt lgkmcnt(0)
	; wave barrier
	s_waitcnt lgkmcnt(0)
	s_and_saveexec_b64 s[6:7], vcc
	s_cbranch_execz .LBB15_143
; %bb.136:
	ds_read_b128 v[2:5], v9
	s_and_b64 vcc, exec, s[0:1]
	s_cbranch_vccnz .LBB15_138
; %bb.137:
	scratch_load_dwordx4 v[10:13], v8, off
	s_waitcnt vmcnt(0) lgkmcnt(0)
	v_mul_f64 v[6:7], v[4:5], v[12:13]
	v_mul_f64 v[12:13], v[2:3], v[12:13]
	v_fmac_f64_e32 v[12:13], v[4:5], v[10:11]
	v_fma_f64 v[2:3], v[2:3], v[10:11], -v[6:7]
	v_mov_b64_e32 v[4:5], v[12:13]
.LBB15_138:
	v_cmp_ne_u32_e32 vcc, 2, v0
	s_and_saveexec_b64 s[8:9], vcc
	s_cbranch_execz .LBB15_142
; %bb.139:
	scratch_load_dwordx4 v[10:13], v8, off offset:16
	ds_read_b128 v[62:65], v9 offset:16
	s_waitcnt vmcnt(0) lgkmcnt(0)
	v_mul_f64 v[6:7], v[64:65], v[12:13]
	v_mul_f64 v[12:13], v[62:63], v[12:13]
	v_fma_f64 v[6:7], v[62:63], v[10:11], -v[6:7]
	v_fmac_f64_e32 v[12:13], v[64:65], v[10:11]
	v_add_f64 v[2:3], v[2:3], v[6:7]
	v_add_f64 v[4:5], v[4:5], v[12:13]
	s_and_saveexec_b64 s[10:11], s[2:3]
	s_cbranch_execz .LBB15_141
; %bb.140:
	scratch_load_dwordx4 v[10:13], off, off offset:32
	v_mov_b32_e32 v6, 0
	ds_read_b128 v[62:65], v6 offset:288
	s_waitcnt vmcnt(0) lgkmcnt(0)
	v_mul_f64 v[6:7], v[62:63], v[12:13]
	v_mul_f64 v[12:13], v[64:65], v[12:13]
	v_fmac_f64_e32 v[6:7], v[64:65], v[10:11]
	v_fma_f64 v[10:11], v[62:63], v[10:11], -v[12:13]
	v_add_f64 v[4:5], v[4:5], v[6:7]
	v_add_f64 v[2:3], v[2:3], v[10:11]
.LBB15_141:
	s_or_b64 exec, exec, s[10:11]
.LBB15_142:
	s_or_b64 exec, exec, s[8:9]
	v_mov_b32_e32 v6, 0
	ds_read_b128 v[10:13], v6 offset:48
	s_waitcnt lgkmcnt(0)
	v_mul_f64 v[6:7], v[4:5], v[12:13]
	v_mul_f64 v[64:65], v[2:3], v[12:13]
	v_fma_f64 v[62:63], v[2:3], v[10:11], -v[6:7]
	v_fmac_f64_e32 v[64:65], v[4:5], v[10:11]
	scratch_store_dwordx4 off, v[62:65], off offset:48
.LBB15_143:
	s_or_b64 exec, exec, s[6:7]
	scratch_load_dwordx4 v[2:5], v60, off
	v_cmp_gt_u32_e32 vcc, 4, v0
	s_waitcnt vmcnt(0)
	ds_write_b128 v9, v[2:5]
	s_waitcnt lgkmcnt(0)
	; wave barrier
	s_waitcnt lgkmcnt(0)
	s_and_saveexec_b64 s[2:3], vcc
	s_cbranch_execz .LBB15_151
; %bb.144:
	ds_read_b128 v[2:5], v9
	s_and_b64 vcc, exec, s[0:1]
	s_cbranch_vccnz .LBB15_146
; %bb.145:
	scratch_load_dwordx4 v[10:13], v8, off
	s_waitcnt vmcnt(0) lgkmcnt(0)
	v_mul_f64 v[6:7], v[4:5], v[12:13]
	v_mul_f64 v[12:13], v[2:3], v[12:13]
	v_fmac_f64_e32 v[12:13], v[4:5], v[10:11]
	v_fma_f64 v[2:3], v[2:3], v[10:11], -v[6:7]
	v_mov_b64_e32 v[4:5], v[12:13]
.LBB15_146:
	v_cmp_ne_u32_e32 vcc, 3, v0
	s_and_saveexec_b64 s[6:7], vcc
	s_cbranch_execz .LBB15_150
; %bb.147:
	v_mov_b32_e32 v7, 0
	v_add_u32_e32 v6, 0x110, v46
	v_add3_u32 v7, v46, v7, 24
	s_mov_b64 s[8:9], 0
	v_mov_b32_e32 v10, v0
.LBB15_148:                             ; =>This Inner Loop Header: Depth=1
	v_add_u32_e32 v11, -8, v7
	scratch_load_dwordx4 v[62:65], v11, off
	ds_read_b128 v[66:69], v6
	v_add_u32_e32 v10, 1, v10
	v_cmp_lt_u32_e32 vcc, 2, v10
	v_add_u32_e32 v6, 16, v6
	v_add_u32_e32 v7, 16, v7
	s_or_b64 s[8:9], vcc, s[8:9]
	s_waitcnt vmcnt(0) lgkmcnt(0)
	v_mul_f64 v[12:13], v[68:69], v[64:65]
	v_mul_f64 v[64:65], v[66:67], v[64:65]
	v_fma_f64 v[12:13], v[66:67], v[62:63], -v[12:13]
	v_fmac_f64_e32 v[64:65], v[68:69], v[62:63]
	v_add_f64 v[2:3], v[2:3], v[12:13]
	v_add_f64 v[4:5], v[4:5], v[64:65]
	s_andn2_b64 exec, exec, s[8:9]
	s_cbranch_execnz .LBB15_148
; %bb.149:
	s_or_b64 exec, exec, s[8:9]
.LBB15_150:
	s_or_b64 exec, exec, s[6:7]
	v_mov_b32_e32 v6, 0
	ds_read_b128 v[10:13], v6 offset:64
	s_waitcnt lgkmcnt(0)
	v_mul_f64 v[6:7], v[4:5], v[12:13]
	v_mul_f64 v[64:65], v[2:3], v[12:13]
	v_fma_f64 v[62:63], v[2:3], v[10:11], -v[6:7]
	v_fmac_f64_e32 v[64:65], v[4:5], v[10:11]
	scratch_store_dwordx4 off, v[62:65], off offset:64
.LBB15_151:
	s_or_b64 exec, exec, s[2:3]
	scratch_load_dwordx4 v[2:5], v58, off
	v_cmp_gt_u32_e32 vcc, 5, v0
	s_waitcnt vmcnt(0)
	ds_write_b128 v9, v[2:5]
	s_waitcnt lgkmcnt(0)
	; wave barrier
	s_waitcnt lgkmcnt(0)
	s_and_saveexec_b64 s[2:3], vcc
	s_cbranch_execz .LBB15_159
; %bb.152:
	ds_read_b128 v[2:5], v9
	s_and_b64 vcc, exec, s[0:1]
	s_cbranch_vccnz .LBB15_154
; %bb.153:
	scratch_load_dwordx4 v[10:13], v8, off
	s_waitcnt vmcnt(0) lgkmcnt(0)
	v_mul_f64 v[6:7], v[4:5], v[12:13]
	v_mul_f64 v[12:13], v[2:3], v[12:13]
	v_fmac_f64_e32 v[12:13], v[4:5], v[10:11]
	v_fma_f64 v[2:3], v[2:3], v[10:11], -v[6:7]
	v_mov_b64_e32 v[4:5], v[12:13]
.LBB15_154:
	v_cmp_ne_u32_e32 vcc, 4, v0
	s_and_saveexec_b64 s[6:7], vcc
	s_cbranch_execz .LBB15_158
; %bb.155:
	v_mov_b32_e32 v7, 0
	v_add_u32_e32 v6, 0x110, v46
	v_add3_u32 v7, v46, v7, 24
	s_mov_b64 s[8:9], 0
	v_mov_b32_e32 v10, v0
.LBB15_156:                             ; =>This Inner Loop Header: Depth=1
	v_add_u32_e32 v11, -8, v7
	scratch_load_dwordx4 v[62:65], v11, off
	ds_read_b128 v[66:69], v6
	v_add_u32_e32 v10, 1, v10
	v_cmp_lt_u32_e32 vcc, 3, v10
	v_add_u32_e32 v6, 16, v6
	v_add_u32_e32 v7, 16, v7
	s_or_b64 s[8:9], vcc, s[8:9]
	s_waitcnt vmcnt(0) lgkmcnt(0)
	v_mul_f64 v[12:13], v[68:69], v[64:65]
	v_mul_f64 v[64:65], v[66:67], v[64:65]
	v_fma_f64 v[12:13], v[66:67], v[62:63], -v[12:13]
	v_fmac_f64_e32 v[64:65], v[68:69], v[62:63]
	v_add_f64 v[2:3], v[2:3], v[12:13]
	v_add_f64 v[4:5], v[4:5], v[64:65]
	s_andn2_b64 exec, exec, s[8:9]
	s_cbranch_execnz .LBB15_156
; %bb.157:
	s_or_b64 exec, exec, s[8:9]
.LBB15_158:
	s_or_b64 exec, exec, s[6:7]
	v_mov_b32_e32 v6, 0
	ds_read_b128 v[10:13], v6 offset:80
	s_waitcnt lgkmcnt(0)
	v_mul_f64 v[6:7], v[4:5], v[12:13]
	v_mul_f64 v[64:65], v[2:3], v[12:13]
	v_fma_f64 v[62:63], v[2:3], v[10:11], -v[6:7]
	v_fmac_f64_e32 v[64:65], v[4:5], v[10:11]
	scratch_store_dwordx4 off, v[62:65], off offset:80
.LBB15_159:
	;; [unrolled: 63-line block ×10, first 2 shown]
	s_or_b64 exec, exec, s[2:3]
	scratch_load_dwordx4 v[2:5], v47, off
	v_cmp_gt_u32_e64 s[2:3], 14, v0
	s_waitcnt vmcnt(0)
	ds_write_b128 v9, v[2:5]
	s_waitcnt lgkmcnt(0)
	; wave barrier
	s_waitcnt lgkmcnt(0)
	s_and_saveexec_b64 s[6:7], s[2:3]
	s_cbranch_execz .LBB15_231
; %bb.224:
	ds_read_b128 v[2:5], v9
	s_and_b64 vcc, exec, s[0:1]
	s_cbranch_vccnz .LBB15_226
; %bb.225:
	scratch_load_dwordx4 v[10:13], v8, off
	s_waitcnt vmcnt(0) lgkmcnt(0)
	v_mul_f64 v[6:7], v[4:5], v[12:13]
	v_mul_f64 v[12:13], v[2:3], v[12:13]
	v_fmac_f64_e32 v[12:13], v[4:5], v[10:11]
	v_fma_f64 v[2:3], v[2:3], v[10:11], -v[6:7]
	v_mov_b64_e32 v[4:5], v[12:13]
.LBB15_226:
	v_cmp_ne_u32_e32 vcc, 13, v0
	s_and_saveexec_b64 s[8:9], vcc
	s_cbranch_execz .LBB15_230
; %bb.227:
	v_mov_b32_e32 v7, 0
	v_add_u32_e32 v6, 0x110, v46
	v_add3_u32 v7, v46, v7, 24
	s_mov_b64 s[10:11], 0
	v_mov_b32_e32 v10, v0
.LBB15_228:                             ; =>This Inner Loop Header: Depth=1
	v_add_u32_e32 v11, -8, v7
	scratch_load_dwordx4 v[62:65], v11, off
	ds_read_b128 v[66:69], v6
	v_add_u32_e32 v10, 1, v10
	v_cmp_lt_u32_e32 vcc, 12, v10
	v_add_u32_e32 v6, 16, v6
	v_add_u32_e32 v7, 16, v7
	s_or_b64 s[10:11], vcc, s[10:11]
	s_waitcnt vmcnt(0) lgkmcnt(0)
	v_mul_f64 v[12:13], v[68:69], v[64:65]
	v_mul_f64 v[64:65], v[66:67], v[64:65]
	v_fma_f64 v[12:13], v[66:67], v[62:63], -v[12:13]
	v_fmac_f64_e32 v[64:65], v[68:69], v[62:63]
	v_add_f64 v[2:3], v[2:3], v[12:13]
	v_add_f64 v[4:5], v[4:5], v[64:65]
	s_andn2_b64 exec, exec, s[10:11]
	s_cbranch_execnz .LBB15_228
; %bb.229:
	s_or_b64 exec, exec, s[10:11]
.LBB15_230:
	s_or_b64 exec, exec, s[8:9]
	v_mov_b32_e32 v6, 0
	ds_read_b128 v[10:13], v6 offset:224
	s_waitcnt lgkmcnt(0)
	v_mul_f64 v[6:7], v[4:5], v[12:13]
	v_mul_f64 v[64:65], v[2:3], v[12:13]
	v_fma_f64 v[62:63], v[2:3], v[10:11], -v[6:7]
	v_fmac_f64_e32 v[64:65], v[4:5], v[10:11]
	scratch_store_dwordx4 off, v[62:65], off offset:224
.LBB15_231:
	s_or_b64 exec, exec, s[6:7]
	scratch_load_dwordx4 v[2:5], v1, off
	v_cmp_ne_u32_e32 vcc, 15, v0
                                        ; implicit-def: $vgpr6_vgpr7
                                        ; implicit-def: $vgpr10
	s_waitcnt vmcnt(0)
	ds_write_b128 v9, v[2:5]
	s_waitcnt lgkmcnt(0)
	; wave barrier
	s_waitcnt lgkmcnt(0)
	s_and_saveexec_b64 s[6:7], vcc
	s_cbranch_execz .LBB15_239
; %bb.232:
	ds_read_b128 v[2:5], v9
	s_and_b64 vcc, exec, s[0:1]
	s_cbranch_vccnz .LBB15_234
; %bb.233:
	scratch_load_dwordx4 v[6:9], v8, off
	s_waitcnt vmcnt(0) lgkmcnt(0)
	v_mul_f64 v[10:11], v[4:5], v[8:9]
	v_mul_f64 v[8:9], v[2:3], v[8:9]
	v_fmac_f64_e32 v[8:9], v[4:5], v[6:7]
	v_fma_f64 v[2:3], v[2:3], v[6:7], -v[10:11]
	v_mov_b64_e32 v[4:5], v[8:9]
.LBB15_234:
	s_and_saveexec_b64 s[0:1], s[2:3]
	s_cbranch_execz .LBB15_238
; %bb.235:
	v_mov_b32_e32 v7, 0
	v_add_u32_e32 v6, 0x110, v46
	v_add3_u32 v7, v46, v7, 24
	s_mov_b64 s[2:3], 0
.LBB15_236:                             ; =>This Inner Loop Header: Depth=1
	v_add_u32_e32 v8, -8, v7
	scratch_load_dwordx4 v[8:11], v8, off
	ds_read_b128 v[62:65], v6
	v_add_u32_e32 v0, 1, v0
	v_cmp_lt_u32_e32 vcc, 13, v0
	v_add_u32_e32 v6, 16, v6
	v_add_u32_e32 v7, 16, v7
	s_or_b64 s[2:3], vcc, s[2:3]
	s_waitcnt vmcnt(0) lgkmcnt(0)
	v_mul_f64 v[12:13], v[64:65], v[10:11]
	v_mul_f64 v[10:11], v[62:63], v[10:11]
	v_fma_f64 v[12:13], v[62:63], v[8:9], -v[12:13]
	v_fmac_f64_e32 v[10:11], v[64:65], v[8:9]
	v_add_f64 v[2:3], v[2:3], v[12:13]
	v_add_f64 v[4:5], v[4:5], v[10:11]
	s_andn2_b64 exec, exec, s[2:3]
	s_cbranch_execnz .LBB15_236
; %bb.237:
	s_or_b64 exec, exec, s[2:3]
.LBB15_238:
	s_or_b64 exec, exec, s[0:1]
	v_mov_b32_e32 v0, 0
	ds_read_b128 v[62:65], v0 offset:240
	v_mov_b32_e32 v0, 0
	v_add_u32_e32 v10, 0xf8, v0
	s_or_b64 s[4:5], s[4:5], exec
	s_waitcnt lgkmcnt(0)
	v_mul_f64 v[8:9], v[4:5], v[64:65]
	v_mul_f64 v[6:7], v[2:3], v[64:65]
	v_fma_f64 v[2:3], v[2:3], v[62:63], -v[8:9]
	v_fmac_f64_e32 v[6:7], v[4:5], v[62:63]
	scratch_store_dwordx2 off, v[2:3], off offset:240
.LBB15_239:
	s_or_b64 exec, exec, s[6:7]
.LBB15_240:
	s_and_saveexec_b64 s[0:1], s[4:5]
	s_cbranch_execz .LBB15_242
; %bb.241:
	scratch_store_dwordx2 v10, v[6:7], off
.LBB15_242:
	s_or_b64 exec, exec, s[0:1]
	scratch_load_dwordx4 v[2:5], off, off
	scratch_load_dwordx4 v[6:9], v56, off
	scratch_load_dwordx4 v[10:13], v59, off
	;; [unrolled: 1-line block ×5, first 2 shown]
	s_waitcnt vmcnt(5)
	global_store_dwordx4 v[18:19], v[2:5], off
	scratch_load_dwordx4 v[2:5], v54, off
	s_nop 0
	scratch_load_dwordx4 v[56:59], v55, off
	s_waitcnt vmcnt(7)
	global_store_dwordx4 v[14:15], v[6:9], off
	scratch_load_dwordx4 v[6:9], v52, off
	s_nop 0
	scratch_load_dwordx4 v[74:77], v53, off
	;; [unrolled: 5-line block ×5, first 2 shown]
	s_waitcnt vmcnt(15)
	global_store_dwordx4 v[24:25], v[70:73], off
	s_waitcnt vmcnt(14)
	global_store_dwordx4 v[26:27], v[2:5], off
	s_waitcnt vmcnt(14)
	global_store_dwordx4 v[28:29], v[56:59], off
	s_waitcnt vmcnt(13)
	global_store_dwordx4 v[32:33], v[6:9], off
	s_waitcnt vmcnt(13)
	global_store_dwordx4 v[34:35], v[74:77], off
	s_waitcnt vmcnt(12)
	global_store_dwordx4 v[36:37], v[10:13], off
	s_waitcnt vmcnt(12)
	global_store_dwordx4 v[38:39], v[14:17], off
	s_waitcnt vmcnt(11)
	global_store_dwordx4 v[40:41], v[18:21], off
	s_waitcnt vmcnt(11)
	global_store_dwordx4 v[42:43], v[50:53], off
	s_waitcnt vmcnt(10)
	global_store_dwordx4 v[44:45], v[60:63], off
	s_waitcnt vmcnt(10)
	global_store_dwordx4 v[30:31], v[64:67], off
.LBB15_243:
	s_endpgm
	.section	.rodata,"a",@progbits
	.p2align	6, 0x0
	.amdhsa_kernel _ZN9rocsolver6v33100L18trti2_kernel_smallILi16E19rocblas_complex_numIdEPS3_EEv13rocblas_fill_17rocblas_diagonal_T1_iil
		.amdhsa_group_segment_fixed_size 512
		.amdhsa_private_segment_fixed_size 272
		.amdhsa_kernarg_size 32
		.amdhsa_user_sgpr_count 2
		.amdhsa_user_sgpr_dispatch_ptr 0
		.amdhsa_user_sgpr_queue_ptr 0
		.amdhsa_user_sgpr_kernarg_segment_ptr 1
		.amdhsa_user_sgpr_dispatch_id 0
		.amdhsa_user_sgpr_kernarg_preload_length 0
		.amdhsa_user_sgpr_kernarg_preload_offset 0
		.amdhsa_user_sgpr_private_segment_size 0
		.amdhsa_uses_dynamic_stack 0
		.amdhsa_enable_private_segment 1
		.amdhsa_system_sgpr_workgroup_id_x 1
		.amdhsa_system_sgpr_workgroup_id_y 0
		.amdhsa_system_sgpr_workgroup_id_z 0
		.amdhsa_system_sgpr_workgroup_info 0
		.amdhsa_system_vgpr_workitem_id 0
		.amdhsa_next_free_vgpr 78
		.amdhsa_next_free_sgpr 12
		.amdhsa_accum_offset 80
		.amdhsa_reserve_vcc 1
		.amdhsa_float_round_mode_32 0
		.amdhsa_float_round_mode_16_64 0
		.amdhsa_float_denorm_mode_32 3
		.amdhsa_float_denorm_mode_16_64 3
		.amdhsa_dx10_clamp 1
		.amdhsa_ieee_mode 1
		.amdhsa_fp16_overflow 0
		.amdhsa_tg_split 0
		.amdhsa_exception_fp_ieee_invalid_op 0
		.amdhsa_exception_fp_denorm_src 0
		.amdhsa_exception_fp_ieee_div_zero 0
		.amdhsa_exception_fp_ieee_overflow 0
		.amdhsa_exception_fp_ieee_underflow 0
		.amdhsa_exception_fp_ieee_inexact 0
		.amdhsa_exception_int_div_zero 0
	.end_amdhsa_kernel
	.section	.text._ZN9rocsolver6v33100L18trti2_kernel_smallILi16E19rocblas_complex_numIdEPS3_EEv13rocblas_fill_17rocblas_diagonal_T1_iil,"axG",@progbits,_ZN9rocsolver6v33100L18trti2_kernel_smallILi16E19rocblas_complex_numIdEPS3_EEv13rocblas_fill_17rocblas_diagonal_T1_iil,comdat
.Lfunc_end15:
	.size	_ZN9rocsolver6v33100L18trti2_kernel_smallILi16E19rocblas_complex_numIdEPS3_EEv13rocblas_fill_17rocblas_diagonal_T1_iil, .Lfunc_end15-_ZN9rocsolver6v33100L18trti2_kernel_smallILi16E19rocblas_complex_numIdEPS3_EEv13rocblas_fill_17rocblas_diagonal_T1_iil
                                        ; -- End function
	.section	.AMDGPU.csdata,"",@progbits
; Kernel info:
; codeLenInByte = 10348
; NumSgprs: 18
; NumVgprs: 78
; NumAgprs: 0
; TotalNumVgprs: 78
; ScratchSize: 272
; MemoryBound: 0
; FloatMode: 240
; IeeeMode: 1
; LDSByteSize: 512 bytes/workgroup (compile time only)
; SGPRBlocks: 2
; VGPRBlocks: 9
; NumSGPRsForWavesPerEU: 18
; NumVGPRsForWavesPerEU: 78
; AccumOffset: 80
; Occupancy: 6
; WaveLimiterHint : 0
; COMPUTE_PGM_RSRC2:SCRATCH_EN: 1
; COMPUTE_PGM_RSRC2:USER_SGPR: 2
; COMPUTE_PGM_RSRC2:TRAP_HANDLER: 0
; COMPUTE_PGM_RSRC2:TGID_X_EN: 1
; COMPUTE_PGM_RSRC2:TGID_Y_EN: 0
; COMPUTE_PGM_RSRC2:TGID_Z_EN: 0
; COMPUTE_PGM_RSRC2:TIDIG_COMP_CNT: 0
; COMPUTE_PGM_RSRC3_GFX90A:ACCUM_OFFSET: 19
; COMPUTE_PGM_RSRC3_GFX90A:TG_SPLIT: 0
	.section	.text._ZN9rocsolver6v33100L18trti2_kernel_smallILi17E19rocblas_complex_numIdEPS3_EEv13rocblas_fill_17rocblas_diagonal_T1_iil,"axG",@progbits,_ZN9rocsolver6v33100L18trti2_kernel_smallILi17E19rocblas_complex_numIdEPS3_EEv13rocblas_fill_17rocblas_diagonal_T1_iil,comdat
	.globl	_ZN9rocsolver6v33100L18trti2_kernel_smallILi17E19rocblas_complex_numIdEPS3_EEv13rocblas_fill_17rocblas_diagonal_T1_iil ; -- Begin function _ZN9rocsolver6v33100L18trti2_kernel_smallILi17E19rocblas_complex_numIdEPS3_EEv13rocblas_fill_17rocblas_diagonal_T1_iil
	.p2align	8
	.type	_ZN9rocsolver6v33100L18trti2_kernel_smallILi17E19rocblas_complex_numIdEPS3_EEv13rocblas_fill_17rocblas_diagonal_T1_iil,@function
_ZN9rocsolver6v33100L18trti2_kernel_smallILi17E19rocblas_complex_numIdEPS3_EEv13rocblas_fill_17rocblas_diagonal_T1_iil: ; @_ZN9rocsolver6v33100L18trti2_kernel_smallILi17E19rocblas_complex_numIdEPS3_EEv13rocblas_fill_17rocblas_diagonal_T1_iil
; %bb.0:
	v_cmp_gt_u32_e32 vcc, 17, v0
	s_and_saveexec_b64 s[4:5], vcc
	s_cbranch_execz .LBB16_259
; %bb.1:
	s_load_dwordx8 s[4:11], s[0:1], 0x0
	s_ashr_i32 s3, s2, 31
	v_lshlrev_b32_e32 v48, 4, v0
	v_mov_b32_e32 v49, 0
	s_waitcnt lgkmcnt(0)
	s_ashr_i32 s1, s8, 31
	s_mov_b32 s0, s8
	s_mul_i32 s8, s2, s11
	s_mul_hi_u32 s11, s2, s10
	s_add_i32 s8, s11, s8
	s_mul_i32 s3, s3, s10
	s_add_i32 s3, s8, s3
	s_mul_i32 s2, s2, s10
	s_lshl_b64 s[2:3], s[2:3], 4
	s_add_u32 s2, s6, s2
	s_addc_u32 s3, s7, s3
	s_lshl_b64 s[0:1], s[0:1], 4
	s_add_u32 s0, s2, s0
	s_addc_u32 s1, s3, s1
	v_lshl_add_u64 v[16:17], s[0:1], 0, v[48:49]
	s_ashr_i32 s3, s9, 31
	s_mov_b32 s2, s9
	v_lshl_add_u64 v[14:15], s[2:3], 4, v[16:17]
	s_add_i32 s2, s9, s9
	v_add_u32_e32 v20, s2, v0
	v_add_u32_e32 v22, s9, v20
	;; [unrolled: 1-line block ×4, first 2 shown]
	v_ashrrev_i32_e32 v21, 31, v20
	v_ashrrev_i32_e32 v23, 31, v22
	;; [unrolled: 1-line block ×4, first 2 shown]
	global_load_dwordx4 v[2:5], v48, s[0:1]
	v_lshl_add_u64 v[18:19], v[20:21], 4, s[0:1]
	global_load_dwordx4 v[6:9], v[14:15], off
	global_load_dwordx4 v[10:13], v[18:19], off
	v_lshl_add_u64 v[20:21], v[22:23], 4, s[0:1]
	v_lshl_add_u64 v[22:23], v[24:25], 4, s[0:1]
	;; [unrolled: 1-line block ×3, first 2 shown]
	v_add_u32_e32 v26, s9, v26
	v_add_u32_e32 v30, s9, v26
	v_ashrrev_i32_e32 v27, 31, v26
	v_ashrrev_i32_e32 v31, 31, v30
	global_load_dwordx4 v[44:47], v[20:21], off
	global_load_dwordx4 v[50:53], v[22:23], off
	v_lshl_add_u64 v[26:27], v[26:27], 4, s[0:1]
	v_lshl_add_u64 v[28:29], v[30:31], 4, s[0:1]
	global_load_dwordx4 v[54:57], v[24:25], off
	global_load_dwordx4 v[58:61], v[26:27], off
	;; [unrolled: 1-line block ×3, first 2 shown]
	v_add_u32_e32 v30, s9, v30
	v_add_u32_e32 v32, s9, v30
	;; [unrolled: 1-line block ×5, first 2 shown]
	v_ashrrev_i32_e32 v31, 31, v30
	v_ashrrev_i32_e32 v33, 31, v32
	v_add_u32_e32 v40, s9, v38
	v_lshl_add_u64 v[30:31], v[30:31], 4, s[0:1]
	global_load_dwordx4 v[66:69], v[30:31], off
	v_lshl_add_u64 v[32:33], v[32:33], 4, s[0:1]
	v_ashrrev_i32_e32 v35, 31, v34
	v_add_u32_e32 v42, s9, v40
	v_lshl_add_u64 v[34:35], v[34:35], 4, s[0:1]
	global_load_dwordx4 v[70:73], v[32:33], off
	global_load_dwordx4 v[74:77], v[34:35], off
	v_ashrrev_i32_e32 v37, 31, v36
	v_lshl_add_u64 v[36:37], v[36:37], 4, s[0:1]
	v_ashrrev_i32_e32 v39, 31, v38
	v_ashrrev_i32_e32 v41, 31, v40
	v_lshl_add_u64 v[38:39], v[38:39], 4, s[0:1]
	v_lshl_add_u64 v[40:41], v[40:41], 4, s[0:1]
	v_ashrrev_i32_e32 v43, 31, v42
	s_cmpk_lg_i32 s5, 0x84
	s_cselect_b64 s[6:7], -1, 0
	s_cmpk_eq_i32 s5, 0x84
	s_waitcnt vmcnt(10)
	scratch_store_dwordx4 off, v[2:5], off
	s_waitcnt vmcnt(10)
	scratch_store_dwordx4 off, v[6:9], off offset:16
	s_waitcnt vmcnt(10)
	scratch_store_dwordx4 off, v[10:13], off offset:32
	global_load_dwordx4 v[2:5], v[36:37], off
	global_load_dwordx4 v[6:9], v[38:39], off
	v_add_u32_e32 v10, s9, v42
	v_add_u32_e32 v12, s9, v10
	v_ashrrev_i32_e32 v11, 31, v10
	v_ashrrev_i32_e32 v13, 31, v12
	v_lshl_add_u64 v[42:43], v[42:43], 4, s[0:1]
	s_waitcnt vmcnt(12)
	scratch_store_dwordx4 off, v[44:47], off offset:48
	s_waitcnt vmcnt(12)
	scratch_store_dwordx4 off, v[50:53], off offset:64
	;; [unrolled: 2-line block ×3, first 2 shown]
	v_lshl_add_u64 v[44:45], v[10:11], 4, s[0:1]
	v_lshl_add_u64 v[46:47], v[12:13], 4, s[0:1]
	global_load_dwordx4 v[50:53], v[40:41], off
	global_load_dwordx4 v[54:57], v[42:43], off
	v_mov_b32_e32 v12, 0
	s_waitcnt vmcnt(14)
	scratch_store_dwordx4 off, v[58:61], off offset:96
	global_load_dwordx4 v[58:61], v[44:45], off
	s_waitcnt vmcnt(15)
	scratch_store_dwordx4 off, v[62:65], off offset:112
	global_load_dwordx4 v[62:65], v[46:47], off
	s_waitcnt vmcnt(16)
	scratch_store_dwordx4 off, v[66:69], off offset:128
	s_waitcnt vmcnt(16)
	scratch_store_dwordx4 off, v[70:73], off offset:144
	;; [unrolled: 2-line block ×9, first 2 shown]
	s_cbranch_scc1 .LBB16_7
; %bb.2:
	scratch_load_dwordx4 v[2:5], v48, off
                                        ; implicit-def: $vgpr10_vgpr11
	s_waitcnt vmcnt(0)
	v_xor_b32_e32 v1, 0x80000000, v3
	v_cmp_gt_f64_e32 vcc, 0, v[2:3]
	v_xor_b32_e32 v8, 0x80000000, v5
	v_mov_b32_e32 v6, v2
	v_cndmask_b32_e32 v7, v3, v1, vcc
	v_cmp_gt_f64_e32 vcc, 0, v[4:5]
	s_nop 1
	v_cndmask_b32_e32 v9, v5, v8, vcc
	v_mov_b32_e32 v8, v4
	v_cmp_ngt_f64_e32 vcc, v[6:7], v[8:9]
                                        ; implicit-def: $vgpr6_vgpr7
	s_and_saveexec_b64 s[0:1], vcc
	s_xor_b64 s[0:1], exec, s[0:1]
	s_cbranch_execz .LBB16_4
; %bb.3:
	v_div_scale_f64 v[6:7], s[2:3], v[4:5], v[4:5], v[2:3]
	v_rcp_f64_e32 v[8:9], v[6:7]
	v_div_scale_f64 v[10:11], vcc, v[2:3], v[4:5], v[2:3]
	v_fma_f64 v[50:51], -v[6:7], v[8:9], 1.0
	v_fmac_f64_e32 v[8:9], v[8:9], v[50:51]
	v_fma_f64 v[50:51], -v[6:7], v[8:9], 1.0
	v_fmac_f64_e32 v[8:9], v[8:9], v[50:51]
	v_mul_f64 v[50:51], v[10:11], v[8:9]
	v_fma_f64 v[6:7], -v[6:7], v[50:51], v[10:11]
	v_div_fmas_f64 v[6:7], v[6:7], v[8:9], v[50:51]
	v_div_fixup_f64 v[6:7], v[6:7], v[4:5], v[2:3]
	v_fmac_f64_e32 v[4:5], v[2:3], v[6:7]
	v_div_scale_f64 v[2:3], s[2:3], v[4:5], v[4:5], 1.0
	v_rcp_f64_e32 v[8:9], v[2:3]
	s_nop 0
	v_fma_f64 v[10:11], -v[2:3], v[8:9], 1.0
	v_fmac_f64_e32 v[8:9], v[8:9], v[10:11]
	v_fma_f64 v[10:11], -v[2:3], v[8:9], 1.0
	v_fmac_f64_e32 v[8:9], v[8:9], v[10:11]
	v_div_scale_f64 v[10:11], vcc, 1.0, v[4:5], 1.0
	v_mul_f64 v[50:51], v[10:11], v[8:9]
	v_fma_f64 v[2:3], -v[2:3], v[50:51], v[10:11]
	s_nop 1
	v_div_fmas_f64 v[2:3], v[2:3], v[8:9], v[50:51]
	v_div_fixup_f64 v[8:9], v[2:3], v[4:5], 1.0
	v_mul_f64 v[6:7], v[6:7], v[8:9]
	v_xor_b32_e32 v9, 0x80000000, v9
	v_xor_b32_e32 v11, 0x80000000, v7
	v_mov_b32_e32 v10, v6
                                        ; implicit-def: $vgpr2_vgpr3
.LBB16_4:
	s_or_saveexec_b64 s[0:1], s[0:1]
	v_add_u32_e32 v1, 0, v48
	s_xor_b64 exec, exec, s[0:1]
	s_cbranch_execz .LBB16_6
; %bb.5:
	v_div_scale_f64 v[6:7], s[2:3], v[2:3], v[2:3], v[4:5]
	v_rcp_f64_e32 v[8:9], v[6:7]
	v_div_scale_f64 v[10:11], vcc, v[4:5], v[2:3], v[4:5]
	v_fma_f64 v[50:51], -v[6:7], v[8:9], 1.0
	v_fmac_f64_e32 v[8:9], v[8:9], v[50:51]
	v_fma_f64 v[50:51], -v[6:7], v[8:9], 1.0
	v_fmac_f64_e32 v[8:9], v[8:9], v[50:51]
	v_mul_f64 v[50:51], v[10:11], v[8:9]
	v_fma_f64 v[6:7], -v[6:7], v[50:51], v[10:11]
	v_div_fmas_f64 v[6:7], v[6:7], v[8:9], v[50:51]
	v_div_fixup_f64 v[8:9], v[6:7], v[2:3], v[4:5]
	v_fmac_f64_e32 v[2:3], v[4:5], v[8:9]
	v_div_scale_f64 v[4:5], s[2:3], v[2:3], v[2:3], 1.0
	v_rcp_f64_e32 v[6:7], v[4:5]
	s_nop 0
	v_fma_f64 v[10:11], -v[4:5], v[6:7], 1.0
	v_fmac_f64_e32 v[6:7], v[6:7], v[10:11]
	v_fma_f64 v[10:11], -v[4:5], v[6:7], 1.0
	v_fmac_f64_e32 v[6:7], v[6:7], v[10:11]
	v_div_scale_f64 v[10:11], vcc, 1.0, v[2:3], 1.0
	v_mul_f64 v[50:51], v[10:11], v[6:7]
	v_fma_f64 v[4:5], -v[4:5], v[50:51], v[10:11]
	s_nop 1
	v_div_fmas_f64 v[4:5], v[4:5], v[6:7], v[50:51]
	v_div_fixup_f64 v[6:7], v[4:5], v[2:3], 1.0
	v_xor_b32_e32 v11, 0x80000000, v7
	v_mov_b32_e32 v10, v6
	v_mul_f64 v[8:9], v[8:9], -v[6:7]
.LBB16_6:
	s_or_b64 exec, exec, s[0:1]
	scratch_store_dwordx4 v1, v[6:9], off
	s_nop 1
	v_xor_b32_e32 v9, 0x80000000, v9
	s_branch .LBB16_8
.LBB16_7:
	v_mov_b64_e32 v[8:9], 0
	v_mov_b64_e32 v[10:11], -1.0
.LBB16_8:
	v_add_u32_e32 v59, 16, v12
	v_add_u32_e32 v58, 32, v12
	;; [unrolled: 1-line block ×16, first 2 shown]
	v_mov_b32_e32 v12, v8
	v_mov_b32_e32 v13, v9
	s_cmpk_eq_i32 s4, 0x79
	v_add_u32_e32 v9, 0x110, v48
	v_add_u32_e32 v8, 0, v48
	ds_write_b128 v48, v[10:13]
	s_cbranch_scc1 .LBB16_132
; %bb.9:
	scratch_load_dwordx4 v[2:5], v1, off
	v_cmp_eq_u32_e64 s[0:1], 16, v0
	s_waitcnt vmcnt(0)
	ds_write_b128 v9, v[2:5]
	s_waitcnt lgkmcnt(0)
	; wave barrier
	s_waitcnt lgkmcnt(0)
	s_and_saveexec_b64 s[2:3], s[0:1]
	s_cbranch_execz .LBB16_13
; %bb.10:
	ds_read_b128 v[2:5], v9
	s_andn2_b64 vcc, exec, s[6:7]
	s_cbranch_vccnz .LBB16_12
; %bb.11:
	scratch_load_dwordx4 v[10:13], v8, off
	s_waitcnt vmcnt(0) lgkmcnt(0)
	v_mul_f64 v[6:7], v[4:5], v[12:13]
	v_mul_f64 v[12:13], v[2:3], v[12:13]
	v_fmac_f64_e32 v[12:13], v[4:5], v[10:11]
	v_fma_f64 v[2:3], v[2:3], v[10:11], -v[6:7]
	v_mov_b64_e32 v[4:5], v[12:13]
.LBB16_12:
	v_mov_b32_e32 v6, 0
	ds_read_b128 v[10:13], v6 offset:240
	s_waitcnt lgkmcnt(0)
	v_mul_f64 v[6:7], v[4:5], v[12:13]
	v_mul_f64 v[66:67], v[2:3], v[12:13]
	v_fma_f64 v[64:65], v[2:3], v[10:11], -v[6:7]
	v_fmac_f64_e32 v[66:67], v[4:5], v[10:11]
	scratch_store_dwordx4 off, v[64:67], off offset:240
.LBB16_13:
	s_or_b64 exec, exec, s[2:3]
	scratch_load_dwordx4 v[2:5], v50, off
	v_cmp_lt_u32_e64 s[2:3], 14, v0
	s_waitcnt vmcnt(0)
	ds_write_b128 v9, v[2:5]
	s_waitcnt lgkmcnt(0)
	; wave barrier
	s_waitcnt lgkmcnt(0)
	s_and_saveexec_b64 s[4:5], s[2:3]
	s_cbranch_execz .LBB16_19
; %bb.14:
	ds_read_b128 v[2:5], v9
	s_andn2_b64 vcc, exec, s[6:7]
	s_cbranch_vccnz .LBB16_16
; %bb.15:
	scratch_load_dwordx4 v[10:13], v8, off
	s_waitcnt vmcnt(0) lgkmcnt(0)
	v_mul_f64 v[6:7], v[4:5], v[12:13]
	v_mul_f64 v[12:13], v[2:3], v[12:13]
	v_fmac_f64_e32 v[12:13], v[4:5], v[10:11]
	v_fma_f64 v[2:3], v[2:3], v[10:11], -v[6:7]
	v_mov_b64_e32 v[4:5], v[12:13]
.LBB16_16:
	s_and_saveexec_b64 s[8:9], s[0:1]
	s_cbranch_execz .LBB16_18
; %bb.17:
	scratch_load_dwordx4 v[10:13], off, off offset:240
	v_mov_b32_e32 v6, 0
	ds_read_b128 v[64:67], v6 offset:512
	s_waitcnt vmcnt(0) lgkmcnt(0)
	v_mul_f64 v[6:7], v[64:65], v[12:13]
	v_mul_f64 v[12:13], v[66:67], v[12:13]
	v_fmac_f64_e32 v[6:7], v[66:67], v[10:11]
	v_fma_f64 v[10:11], v[64:65], v[10:11], -v[12:13]
	v_add_f64 v[4:5], v[4:5], v[6:7]
	v_add_f64 v[2:3], v[2:3], v[10:11]
.LBB16_18:
	s_or_b64 exec, exec, s[8:9]
	v_mov_b32_e32 v6, 0
	ds_read_b128 v[10:13], v6 offset:224
	s_waitcnt lgkmcnt(0)
	v_mul_f64 v[6:7], v[4:5], v[12:13]
	v_mul_f64 v[66:67], v[2:3], v[12:13]
	v_fma_f64 v[64:65], v[2:3], v[10:11], -v[6:7]
	v_fmac_f64_e32 v[66:67], v[4:5], v[10:11]
	scratch_store_dwordx4 off, v[64:67], off offset:224
.LBB16_19:
	s_or_b64 exec, exec, s[4:5]
	scratch_load_dwordx4 v[2:5], v51, off
	v_cmp_lt_u32_e64 s[0:1], 13, v0
	s_waitcnt vmcnt(0)
	ds_write_b128 v9, v[2:5]
	s_waitcnt lgkmcnt(0)
	; wave barrier
	s_waitcnt lgkmcnt(0)
	s_and_saveexec_b64 s[4:5], s[0:1]
	s_cbranch_execz .LBB16_27
; %bb.20:
	ds_read_b128 v[2:5], v9
	s_andn2_b64 vcc, exec, s[6:7]
	s_cbranch_vccnz .LBB16_22
; %bb.21:
	scratch_load_dwordx4 v[10:13], v8, off
	s_waitcnt vmcnt(0) lgkmcnt(0)
	v_mul_f64 v[6:7], v[4:5], v[12:13]
	v_mul_f64 v[12:13], v[2:3], v[12:13]
	v_fmac_f64_e32 v[12:13], v[4:5], v[10:11]
	v_fma_f64 v[2:3], v[2:3], v[10:11], -v[6:7]
	v_mov_b64_e32 v[4:5], v[12:13]
.LBB16_22:
	s_and_saveexec_b64 s[8:9], s[2:3]
	s_cbranch_execz .LBB16_26
; %bb.23:
	v_mov_b32_e32 v7, 0
	v_add_u32_e32 v6, -14, v0
	v_add_u32_e32 v7, 0xe8, v7
	s_movk_i32 s10, 0x1f0
	s_mov_b64 s[2:3], 0
.LBB16_24:                              ; =>This Inner Loop Header: Depth=1
	v_add_u32_e32 v10, -8, v7
	scratch_load_dwordx4 v[10:13], v10, off
	v_mov_b32_e32 v64, s10
	ds_read_b128 v[64:67], v64
	v_add_u32_e32 v6, -1, v6
	s_add_i32 s10, s10, 16
	v_cmp_eq_u32_e32 vcc, 0, v6
	v_add_u32_e32 v7, 16, v7
	s_or_b64 s[2:3], vcc, s[2:3]
	s_waitcnt vmcnt(0) lgkmcnt(0)
	v_mul_f64 v[68:69], v[66:67], v[12:13]
	v_mul_f64 v[12:13], v[64:65], v[12:13]
	v_fma_f64 v[64:65], v[64:65], v[10:11], -v[68:69]
	v_fmac_f64_e32 v[12:13], v[66:67], v[10:11]
	v_add_f64 v[2:3], v[2:3], v[64:65]
	v_add_f64 v[4:5], v[4:5], v[12:13]
	s_andn2_b64 exec, exec, s[2:3]
	s_cbranch_execnz .LBB16_24
; %bb.25:
	s_or_b64 exec, exec, s[2:3]
.LBB16_26:
	s_or_b64 exec, exec, s[8:9]
	v_mov_b32_e32 v6, 0
	ds_read_b128 v[10:13], v6 offset:208
	s_waitcnt lgkmcnt(0)
	v_mul_f64 v[6:7], v[4:5], v[12:13]
	v_mul_f64 v[66:67], v[2:3], v[12:13]
	v_fma_f64 v[64:65], v[2:3], v[10:11], -v[6:7]
	v_fmac_f64_e32 v[66:67], v[4:5], v[10:11]
	scratch_store_dwordx4 off, v[64:67], off offset:208
.LBB16_27:
	s_or_b64 exec, exec, s[4:5]
	scratch_load_dwordx4 v[2:5], v52, off
	v_cmp_lt_u32_e64 s[2:3], 12, v0
	s_waitcnt vmcnt(0)
	ds_write_b128 v9, v[2:5]
	s_waitcnt lgkmcnt(0)
	; wave barrier
	s_waitcnt lgkmcnt(0)
	s_and_saveexec_b64 s[4:5], s[2:3]
	s_cbranch_execz .LBB16_35
; %bb.28:
	ds_read_b128 v[2:5], v9
	s_andn2_b64 vcc, exec, s[6:7]
	s_cbranch_vccnz .LBB16_30
; %bb.29:
	scratch_load_dwordx4 v[10:13], v8, off
	s_waitcnt vmcnt(0) lgkmcnt(0)
	v_mul_f64 v[6:7], v[4:5], v[12:13]
	v_mul_f64 v[12:13], v[2:3], v[12:13]
	v_fmac_f64_e32 v[12:13], v[4:5], v[10:11]
	v_fma_f64 v[2:3], v[2:3], v[10:11], -v[6:7]
	v_mov_b64_e32 v[4:5], v[12:13]
.LBB16_30:
	s_and_saveexec_b64 s[8:9], s[0:1]
	s_cbranch_execz .LBB16_34
; %bb.31:
	v_mov_b32_e32 v7, 0
	v_add_u32_e32 v6, -13, v0
	v_add_u32_e32 v7, 0xd8, v7
	s_movk_i32 s10, 0x1e0
	s_mov_b64 s[0:1], 0
.LBB16_32:                              ; =>This Inner Loop Header: Depth=1
	v_add_u32_e32 v10, -8, v7
	scratch_load_dwordx4 v[10:13], v10, off
	v_mov_b32_e32 v64, s10
	ds_read_b128 v[64:67], v64
	v_add_u32_e32 v6, -1, v6
	s_add_i32 s10, s10, 16
	v_cmp_eq_u32_e32 vcc, 0, v6
	v_add_u32_e32 v7, 16, v7
	s_or_b64 s[0:1], vcc, s[0:1]
	s_waitcnt vmcnt(0) lgkmcnt(0)
	v_mul_f64 v[68:69], v[66:67], v[12:13]
	v_mul_f64 v[12:13], v[64:65], v[12:13]
	v_fma_f64 v[64:65], v[64:65], v[10:11], -v[68:69]
	v_fmac_f64_e32 v[12:13], v[66:67], v[10:11]
	v_add_f64 v[2:3], v[2:3], v[64:65]
	v_add_f64 v[4:5], v[4:5], v[12:13]
	s_andn2_b64 exec, exec, s[0:1]
	s_cbranch_execnz .LBB16_32
; %bb.33:
	s_or_b64 exec, exec, s[0:1]
.LBB16_34:
	s_or_b64 exec, exec, s[8:9]
	v_mov_b32_e32 v6, 0
	ds_read_b128 v[10:13], v6 offset:192
	s_waitcnt lgkmcnt(0)
	v_mul_f64 v[6:7], v[4:5], v[12:13]
	v_mul_f64 v[66:67], v[2:3], v[12:13]
	v_fma_f64 v[64:65], v[2:3], v[10:11], -v[6:7]
	v_fmac_f64_e32 v[66:67], v[4:5], v[10:11]
	scratch_store_dwordx4 off, v[64:67], off offset:192
.LBB16_35:
	;; [unrolled: 63-line block ×10, first 2 shown]
	s_or_b64 exec, exec, s[4:5]
	scratch_load_dwordx4 v[2:5], v60, off
	v_cmp_lt_u32_e64 s[0:1], 3, v0
	s_waitcnt vmcnt(0)
	ds_write_b128 v9, v[2:5]
	s_waitcnt lgkmcnt(0)
	; wave barrier
	s_waitcnt lgkmcnt(0)
	s_and_saveexec_b64 s[4:5], s[0:1]
	s_cbranch_execz .LBB16_107
; %bb.100:
	ds_read_b128 v[2:5], v9
	s_andn2_b64 vcc, exec, s[6:7]
	s_cbranch_vccnz .LBB16_102
; %bb.101:
	scratch_load_dwordx4 v[10:13], v8, off
	s_waitcnt vmcnt(0) lgkmcnt(0)
	v_mul_f64 v[6:7], v[4:5], v[12:13]
	v_mul_f64 v[12:13], v[2:3], v[12:13]
	v_fmac_f64_e32 v[12:13], v[4:5], v[10:11]
	v_fma_f64 v[2:3], v[2:3], v[10:11], -v[6:7]
	v_mov_b64_e32 v[4:5], v[12:13]
.LBB16_102:
	s_and_saveexec_b64 s[8:9], s[2:3]
	s_cbranch_execz .LBB16_106
; %bb.103:
	v_mov_b32_e32 v7, 0
	v_add_u32_e32 v6, -4, v0
	v_add_u32_e32 v7, 0x48, v7
	s_movk_i32 s10, 0x150
	s_mov_b64 s[2:3], 0
.LBB16_104:                             ; =>This Inner Loop Header: Depth=1
	v_add_u32_e32 v10, -8, v7
	scratch_load_dwordx4 v[10:13], v10, off
	v_mov_b32_e32 v64, s10
	ds_read_b128 v[64:67], v64
	v_add_u32_e32 v6, -1, v6
	s_add_i32 s10, s10, 16
	v_cmp_eq_u32_e32 vcc, 0, v6
	v_add_u32_e32 v7, 16, v7
	s_or_b64 s[2:3], vcc, s[2:3]
	s_waitcnt vmcnt(0) lgkmcnt(0)
	v_mul_f64 v[68:69], v[66:67], v[12:13]
	v_mul_f64 v[12:13], v[64:65], v[12:13]
	v_fma_f64 v[64:65], v[64:65], v[10:11], -v[68:69]
	v_fmac_f64_e32 v[12:13], v[66:67], v[10:11]
	v_add_f64 v[2:3], v[2:3], v[64:65]
	v_add_f64 v[4:5], v[4:5], v[12:13]
	s_andn2_b64 exec, exec, s[2:3]
	s_cbranch_execnz .LBB16_104
; %bb.105:
	s_or_b64 exec, exec, s[2:3]
.LBB16_106:
	s_or_b64 exec, exec, s[8:9]
	v_mov_b32_e32 v6, 0
	ds_read_b128 v[10:13], v6 offset:48
	s_waitcnt lgkmcnt(0)
	v_mul_f64 v[6:7], v[4:5], v[12:13]
	v_mul_f64 v[66:67], v[2:3], v[12:13]
	v_fma_f64 v[64:65], v[2:3], v[10:11], -v[6:7]
	v_fmac_f64_e32 v[66:67], v[4:5], v[10:11]
	scratch_store_dwordx4 off, v[64:67], off offset:48
.LBB16_107:
	s_or_b64 exec, exec, s[4:5]
	scratch_load_dwordx4 v[2:5], v58, off
	v_cmp_lt_u32_e64 s[2:3], 2, v0
	s_waitcnt vmcnt(0)
	ds_write_b128 v9, v[2:5]
	s_waitcnt lgkmcnt(0)
	; wave barrier
	s_waitcnt lgkmcnt(0)
	s_and_saveexec_b64 s[4:5], s[2:3]
	s_cbranch_execz .LBB16_115
; %bb.108:
	ds_read_b128 v[2:5], v9
	s_andn2_b64 vcc, exec, s[6:7]
	s_cbranch_vccnz .LBB16_110
; %bb.109:
	scratch_load_dwordx4 v[10:13], v8, off
	s_waitcnt vmcnt(0) lgkmcnt(0)
	v_mul_f64 v[6:7], v[4:5], v[12:13]
	v_mul_f64 v[12:13], v[2:3], v[12:13]
	v_fmac_f64_e32 v[12:13], v[4:5], v[10:11]
	v_fma_f64 v[2:3], v[2:3], v[10:11], -v[6:7]
	v_mov_b64_e32 v[4:5], v[12:13]
.LBB16_110:
	s_and_saveexec_b64 s[8:9], s[0:1]
	s_cbranch_execz .LBB16_114
; %bb.111:
	v_mov_b32_e32 v7, 0
	v_add_u32_e32 v6, -3, v0
	v_add_u32_e32 v7, 56, v7
	s_movk_i32 s10, 0x140
	s_mov_b64 s[0:1], 0
.LBB16_112:                             ; =>This Inner Loop Header: Depth=1
	v_add_u32_e32 v10, -8, v7
	scratch_load_dwordx4 v[10:13], v10, off
	v_mov_b32_e32 v64, s10
	ds_read_b128 v[64:67], v64
	v_add_u32_e32 v6, -1, v6
	s_add_i32 s10, s10, 16
	v_cmp_eq_u32_e32 vcc, 0, v6
	v_add_u32_e32 v7, 16, v7
	s_or_b64 s[0:1], vcc, s[0:1]
	s_waitcnt vmcnt(0) lgkmcnt(0)
	v_mul_f64 v[68:69], v[66:67], v[12:13]
	v_mul_f64 v[12:13], v[64:65], v[12:13]
	v_fma_f64 v[64:65], v[64:65], v[10:11], -v[68:69]
	v_fmac_f64_e32 v[12:13], v[66:67], v[10:11]
	v_add_f64 v[2:3], v[2:3], v[64:65]
	v_add_f64 v[4:5], v[4:5], v[12:13]
	s_andn2_b64 exec, exec, s[0:1]
	s_cbranch_execnz .LBB16_112
; %bb.113:
	s_or_b64 exec, exec, s[0:1]
.LBB16_114:
	s_or_b64 exec, exec, s[8:9]
	v_mov_b32_e32 v6, 0
	ds_read_b128 v[10:13], v6 offset:32
	s_waitcnt lgkmcnt(0)
	v_mul_f64 v[6:7], v[4:5], v[12:13]
	v_mul_f64 v[66:67], v[2:3], v[12:13]
	v_fma_f64 v[64:65], v[2:3], v[10:11], -v[6:7]
	v_fmac_f64_e32 v[66:67], v[4:5], v[10:11]
	scratch_store_dwordx4 off, v[64:67], off offset:32
.LBB16_115:
	;; [unrolled: 63-line block ×3, first 2 shown]
	s_or_b64 exec, exec, s[4:5]
	scratch_load_dwordx4 v[2:5], off, off
	v_cmp_ne_u32_e32 vcc, 0, v0
	s_mov_b64 s[2:3], 0
	s_mov_b64 s[4:5], 0
                                        ; implicit-def: $vgpr6_vgpr7
                                        ; implicit-def: $vgpr10
	s_waitcnt vmcnt(0)
	ds_write_b128 v9, v[2:5]
	s_waitcnt lgkmcnt(0)
	; wave barrier
	s_waitcnt lgkmcnt(0)
	s_and_saveexec_b64 s[8:9], vcc
	s_cbranch_execz .LBB16_131
; %bb.124:
	ds_read_b128 v[2:5], v9
	s_andn2_b64 vcc, exec, s[6:7]
	s_cbranch_vccnz .LBB16_126
; %bb.125:
	scratch_load_dwordx4 v[10:13], v8, off
	s_waitcnt vmcnt(0) lgkmcnt(0)
	v_mul_f64 v[6:7], v[4:5], v[12:13]
	v_mul_f64 v[12:13], v[2:3], v[12:13]
	v_fmac_f64_e32 v[12:13], v[4:5], v[10:11]
	v_fma_f64 v[2:3], v[2:3], v[10:11], -v[6:7]
	v_mov_b64_e32 v[4:5], v[12:13]
.LBB16_126:
	s_and_saveexec_b64 s[4:5], s[0:1]
	s_cbranch_execz .LBB16_130
; %bb.127:
	v_mov_b32_e32 v7, 0
	v_add_u32_e32 v6, -1, v0
	v_add_u32_e32 v7, 24, v7
	s_movk_i32 s10, 0x120
	s_mov_b64 s[0:1], 0
.LBB16_128:                             ; =>This Inner Loop Header: Depth=1
	v_add_u32_e32 v10, -8, v7
	scratch_load_dwordx4 v[10:13], v10, off
	v_mov_b32_e32 v64, s10
	ds_read_b128 v[64:67], v64
	v_add_u32_e32 v6, -1, v6
	s_add_i32 s10, s10, 16
	v_cmp_eq_u32_e32 vcc, 0, v6
	v_add_u32_e32 v7, 16, v7
	s_or_b64 s[0:1], vcc, s[0:1]
	s_waitcnt vmcnt(0) lgkmcnt(0)
	v_mul_f64 v[68:69], v[66:67], v[12:13]
	v_mul_f64 v[12:13], v[64:65], v[12:13]
	v_fma_f64 v[64:65], v[64:65], v[10:11], -v[68:69]
	v_fmac_f64_e32 v[12:13], v[66:67], v[10:11]
	v_add_f64 v[2:3], v[2:3], v[64:65]
	v_add_f64 v[4:5], v[4:5], v[12:13]
	s_andn2_b64 exec, exec, s[0:1]
	s_cbranch_execnz .LBB16_128
; %bb.129:
	s_or_b64 exec, exec, s[0:1]
.LBB16_130:
	s_or_b64 exec, exec, s[4:5]
	v_mov_b32_e32 v6, 0
	ds_read_b128 v[64:67], v6
	v_mov_b32_e32 v6, 0
	v_or_b32_e32 v10, 8, v6
	s_mov_b64 s[4:5], exec
	s_waitcnt lgkmcnt(0)
	v_mul_f64 v[12:13], v[4:5], v[66:67]
	v_mul_f64 v[6:7], v[2:3], v[66:67]
	v_fma_f64 v[2:3], v[2:3], v[64:65], -v[12:13]
	v_fmac_f64_e32 v[6:7], v[4:5], v[64:65]
	scratch_store_dwordx2 off, v[2:3], off
.LBB16_131:
	s_or_b64 exec, exec, s[8:9]
	s_and_b64 vcc, exec, s[2:3]
	s_cbranch_vccnz .LBB16_133
	s_branch .LBB16_256
.LBB16_132:
	s_mov_b64 s[4:5], 0
                                        ; implicit-def: $vgpr6_vgpr7
                                        ; implicit-def: $vgpr10
	s_cbranch_execz .LBB16_256
.LBB16_133:
	scratch_load_dwordx4 v[2:5], v59, off
	v_cndmask_b32_e64 v6, 0, 1, s[6:7]
	v_cmp_eq_u32_e64 s[2:3], 0, v0
	v_cmp_ne_u32_e64 s[0:1], 1, v6
	s_waitcnt vmcnt(0)
	ds_write_b128 v9, v[2:5]
	s_waitcnt lgkmcnt(0)
	; wave barrier
	s_waitcnt lgkmcnt(0)
	s_and_saveexec_b64 s[6:7], s[2:3]
	s_cbranch_execz .LBB16_137
; %bb.134:
	ds_read_b128 v[2:5], v9
	s_and_b64 vcc, exec, s[0:1]
	s_cbranch_vccnz .LBB16_136
; %bb.135:
	scratch_load_dwordx4 v[10:13], v8, off
	s_waitcnt vmcnt(0) lgkmcnt(0)
	v_mul_f64 v[6:7], v[4:5], v[12:13]
	v_mul_f64 v[12:13], v[2:3], v[12:13]
	v_fmac_f64_e32 v[12:13], v[4:5], v[10:11]
	v_fma_f64 v[2:3], v[2:3], v[10:11], -v[6:7]
	v_mov_b64_e32 v[4:5], v[12:13]
.LBB16_136:
	v_mov_b32_e32 v6, 0
	ds_read_b128 v[10:13], v6 offset:16
	s_waitcnt lgkmcnt(0)
	v_mul_f64 v[6:7], v[4:5], v[12:13]
	v_mul_f64 v[66:67], v[2:3], v[12:13]
	v_fma_f64 v[64:65], v[2:3], v[10:11], -v[6:7]
	v_fmac_f64_e32 v[66:67], v[4:5], v[10:11]
	scratch_store_dwordx4 off, v[64:67], off offset:16
.LBB16_137:
	s_or_b64 exec, exec, s[6:7]
	scratch_load_dwordx4 v[2:5], v58, off
	v_cmp_gt_u32_e32 vcc, 2, v0
	s_waitcnt vmcnt(0)
	ds_write_b128 v9, v[2:5]
	s_waitcnt lgkmcnt(0)
	; wave barrier
	s_waitcnt lgkmcnt(0)
	s_and_saveexec_b64 s[6:7], vcc
	s_cbranch_execz .LBB16_143
; %bb.138:
	ds_read_b128 v[2:5], v9
	s_and_b64 vcc, exec, s[0:1]
	s_cbranch_vccnz .LBB16_140
; %bb.139:
	scratch_load_dwordx4 v[10:13], v8, off
	s_waitcnt vmcnt(0) lgkmcnt(0)
	v_mul_f64 v[6:7], v[4:5], v[12:13]
	v_mul_f64 v[12:13], v[2:3], v[12:13]
	v_fmac_f64_e32 v[12:13], v[4:5], v[10:11]
	v_fma_f64 v[2:3], v[2:3], v[10:11], -v[6:7]
	v_mov_b64_e32 v[4:5], v[12:13]
.LBB16_140:
	s_and_saveexec_b64 s[8:9], s[2:3]
	s_cbranch_execz .LBB16_142
; %bb.141:
	scratch_load_dwordx4 v[10:13], v8, off offset:16
	ds_read_b128 v[64:67], v9 offset:16
	s_waitcnt vmcnt(0) lgkmcnt(0)
	v_mul_f64 v[6:7], v[66:67], v[12:13]
	v_mul_f64 v[12:13], v[64:65], v[12:13]
	v_fma_f64 v[6:7], v[64:65], v[10:11], -v[6:7]
	v_fmac_f64_e32 v[12:13], v[66:67], v[10:11]
	v_add_f64 v[2:3], v[2:3], v[6:7]
	v_add_f64 v[4:5], v[4:5], v[12:13]
.LBB16_142:
	s_or_b64 exec, exec, s[8:9]
	v_mov_b32_e32 v6, 0
	ds_read_b128 v[10:13], v6 offset:32
	s_waitcnt lgkmcnt(0)
	v_mul_f64 v[6:7], v[4:5], v[12:13]
	v_mul_f64 v[66:67], v[2:3], v[12:13]
	v_fma_f64 v[64:65], v[2:3], v[10:11], -v[6:7]
	v_fmac_f64_e32 v[66:67], v[4:5], v[10:11]
	scratch_store_dwordx4 off, v[64:67], off offset:32
.LBB16_143:
	s_or_b64 exec, exec, s[6:7]
	scratch_load_dwordx4 v[2:5], v60, off
	v_cmp_gt_u32_e32 vcc, 3, v0
	s_waitcnt vmcnt(0)
	ds_write_b128 v9, v[2:5]
	s_waitcnt lgkmcnt(0)
	; wave barrier
	s_waitcnt lgkmcnt(0)
	s_and_saveexec_b64 s[6:7], vcc
	s_cbranch_execz .LBB16_151
; %bb.144:
	ds_read_b128 v[2:5], v9
	s_and_b64 vcc, exec, s[0:1]
	s_cbranch_vccnz .LBB16_146
; %bb.145:
	scratch_load_dwordx4 v[10:13], v8, off
	s_waitcnt vmcnt(0) lgkmcnt(0)
	v_mul_f64 v[6:7], v[4:5], v[12:13]
	v_mul_f64 v[12:13], v[2:3], v[12:13]
	v_fmac_f64_e32 v[12:13], v[4:5], v[10:11]
	v_fma_f64 v[2:3], v[2:3], v[10:11], -v[6:7]
	v_mov_b64_e32 v[4:5], v[12:13]
.LBB16_146:
	v_cmp_ne_u32_e32 vcc, 2, v0
	s_and_saveexec_b64 s[8:9], vcc
	s_cbranch_execz .LBB16_150
; %bb.147:
	scratch_load_dwordx4 v[10:13], v8, off offset:16
	ds_read_b128 v[64:67], v9 offset:16
	s_waitcnt vmcnt(0) lgkmcnt(0)
	v_mul_f64 v[6:7], v[66:67], v[12:13]
	v_mul_f64 v[12:13], v[64:65], v[12:13]
	v_fma_f64 v[6:7], v[64:65], v[10:11], -v[6:7]
	v_fmac_f64_e32 v[12:13], v[66:67], v[10:11]
	v_add_f64 v[2:3], v[2:3], v[6:7]
	v_add_f64 v[4:5], v[4:5], v[12:13]
	s_and_saveexec_b64 s[10:11], s[2:3]
	s_cbranch_execz .LBB16_149
; %bb.148:
	scratch_load_dwordx4 v[10:13], off, off offset:32
	v_mov_b32_e32 v6, 0
	ds_read_b128 v[64:67], v6 offset:304
	s_waitcnt vmcnt(0) lgkmcnt(0)
	v_mul_f64 v[6:7], v[64:65], v[12:13]
	v_mul_f64 v[12:13], v[66:67], v[12:13]
	v_fmac_f64_e32 v[6:7], v[66:67], v[10:11]
	v_fma_f64 v[10:11], v[64:65], v[10:11], -v[12:13]
	v_add_f64 v[4:5], v[4:5], v[6:7]
	v_add_f64 v[2:3], v[2:3], v[10:11]
.LBB16_149:
	s_or_b64 exec, exec, s[10:11]
.LBB16_150:
	s_or_b64 exec, exec, s[8:9]
	v_mov_b32_e32 v6, 0
	ds_read_b128 v[10:13], v6 offset:48
	s_waitcnt lgkmcnt(0)
	v_mul_f64 v[6:7], v[4:5], v[12:13]
	v_mul_f64 v[66:67], v[2:3], v[12:13]
	v_fma_f64 v[64:65], v[2:3], v[10:11], -v[6:7]
	v_fmac_f64_e32 v[66:67], v[4:5], v[10:11]
	scratch_store_dwordx4 off, v[64:67], off offset:48
.LBB16_151:
	s_or_b64 exec, exec, s[6:7]
	scratch_load_dwordx4 v[2:5], v62, off
	v_cmp_gt_u32_e32 vcc, 4, v0
	s_waitcnt vmcnt(0)
	ds_write_b128 v9, v[2:5]
	s_waitcnt lgkmcnt(0)
	; wave barrier
	s_waitcnt lgkmcnt(0)
	s_and_saveexec_b64 s[2:3], vcc
	s_cbranch_execz .LBB16_159
; %bb.152:
	ds_read_b128 v[2:5], v9
	s_and_b64 vcc, exec, s[0:1]
	s_cbranch_vccnz .LBB16_154
; %bb.153:
	scratch_load_dwordx4 v[10:13], v8, off
	s_waitcnt vmcnt(0) lgkmcnt(0)
	v_mul_f64 v[6:7], v[4:5], v[12:13]
	v_mul_f64 v[12:13], v[2:3], v[12:13]
	v_fmac_f64_e32 v[12:13], v[4:5], v[10:11]
	v_fma_f64 v[2:3], v[2:3], v[10:11], -v[6:7]
	v_mov_b64_e32 v[4:5], v[12:13]
.LBB16_154:
	v_cmp_ne_u32_e32 vcc, 3, v0
	s_and_saveexec_b64 s[6:7], vcc
	s_cbranch_execz .LBB16_158
; %bb.155:
	v_mov_b32_e32 v7, 0
	v_add_u32_e32 v6, 0x120, v48
	v_add3_u32 v7, v48, v7, 24
	s_mov_b64 s[8:9], 0
	v_mov_b32_e32 v10, v0
.LBB16_156:                             ; =>This Inner Loop Header: Depth=1
	v_add_u32_e32 v11, -8, v7
	scratch_load_dwordx4 v[64:67], v11, off
	ds_read_b128 v[68:71], v6
	v_add_u32_e32 v10, 1, v10
	v_cmp_lt_u32_e32 vcc, 2, v10
	v_add_u32_e32 v6, 16, v6
	v_add_u32_e32 v7, 16, v7
	s_or_b64 s[8:9], vcc, s[8:9]
	s_waitcnt vmcnt(0) lgkmcnt(0)
	v_mul_f64 v[12:13], v[70:71], v[66:67]
	v_mul_f64 v[66:67], v[68:69], v[66:67]
	v_fma_f64 v[12:13], v[68:69], v[64:65], -v[12:13]
	v_fmac_f64_e32 v[66:67], v[70:71], v[64:65]
	v_add_f64 v[2:3], v[2:3], v[12:13]
	v_add_f64 v[4:5], v[4:5], v[66:67]
	s_andn2_b64 exec, exec, s[8:9]
	s_cbranch_execnz .LBB16_156
; %bb.157:
	s_or_b64 exec, exec, s[8:9]
.LBB16_158:
	s_or_b64 exec, exec, s[6:7]
	v_mov_b32_e32 v6, 0
	ds_read_b128 v[10:13], v6 offset:64
	s_waitcnt lgkmcnt(0)
	v_mul_f64 v[6:7], v[4:5], v[12:13]
	v_mul_f64 v[66:67], v[2:3], v[12:13]
	v_fma_f64 v[64:65], v[2:3], v[10:11], -v[6:7]
	v_fmac_f64_e32 v[66:67], v[4:5], v[10:11]
	scratch_store_dwordx4 off, v[64:67], off offset:64
.LBB16_159:
	s_or_b64 exec, exec, s[2:3]
	scratch_load_dwordx4 v[2:5], v61, off
	v_cmp_gt_u32_e32 vcc, 5, v0
	s_waitcnt vmcnt(0)
	ds_write_b128 v9, v[2:5]
	s_waitcnt lgkmcnt(0)
	; wave barrier
	s_waitcnt lgkmcnt(0)
	s_and_saveexec_b64 s[2:3], vcc
	s_cbranch_execz .LBB16_167
; %bb.160:
	ds_read_b128 v[2:5], v9
	s_and_b64 vcc, exec, s[0:1]
	s_cbranch_vccnz .LBB16_162
; %bb.161:
	scratch_load_dwordx4 v[10:13], v8, off
	s_waitcnt vmcnt(0) lgkmcnt(0)
	v_mul_f64 v[6:7], v[4:5], v[12:13]
	v_mul_f64 v[12:13], v[2:3], v[12:13]
	v_fmac_f64_e32 v[12:13], v[4:5], v[10:11]
	v_fma_f64 v[2:3], v[2:3], v[10:11], -v[6:7]
	v_mov_b64_e32 v[4:5], v[12:13]
.LBB16_162:
	v_cmp_ne_u32_e32 vcc, 4, v0
	s_and_saveexec_b64 s[6:7], vcc
	s_cbranch_execz .LBB16_166
; %bb.163:
	v_mov_b32_e32 v7, 0
	v_add_u32_e32 v6, 0x120, v48
	v_add3_u32 v7, v48, v7, 24
	s_mov_b64 s[8:9], 0
	v_mov_b32_e32 v10, v0
.LBB16_164:                             ; =>This Inner Loop Header: Depth=1
	v_add_u32_e32 v11, -8, v7
	scratch_load_dwordx4 v[64:67], v11, off
	ds_read_b128 v[68:71], v6
	v_add_u32_e32 v10, 1, v10
	v_cmp_lt_u32_e32 vcc, 3, v10
	v_add_u32_e32 v6, 16, v6
	v_add_u32_e32 v7, 16, v7
	s_or_b64 s[8:9], vcc, s[8:9]
	s_waitcnt vmcnt(0) lgkmcnt(0)
	v_mul_f64 v[12:13], v[70:71], v[66:67]
	v_mul_f64 v[66:67], v[68:69], v[66:67]
	v_fma_f64 v[12:13], v[68:69], v[64:65], -v[12:13]
	v_fmac_f64_e32 v[66:67], v[70:71], v[64:65]
	v_add_f64 v[2:3], v[2:3], v[12:13]
	v_add_f64 v[4:5], v[4:5], v[66:67]
	s_andn2_b64 exec, exec, s[8:9]
	s_cbranch_execnz .LBB16_164
; %bb.165:
	s_or_b64 exec, exec, s[8:9]
.LBB16_166:
	s_or_b64 exec, exec, s[6:7]
	v_mov_b32_e32 v6, 0
	ds_read_b128 v[10:13], v6 offset:80
	s_waitcnt lgkmcnt(0)
	v_mul_f64 v[6:7], v[4:5], v[12:13]
	v_mul_f64 v[66:67], v[2:3], v[12:13]
	v_fma_f64 v[64:65], v[2:3], v[10:11], -v[6:7]
	v_fmac_f64_e32 v[66:67], v[4:5], v[10:11]
	scratch_store_dwordx4 off, v[64:67], off offset:80
.LBB16_167:
	;; [unrolled: 63-line block ×11, first 2 shown]
	s_or_b64 exec, exec, s[2:3]
	scratch_load_dwordx4 v[2:5], v1, off
	v_cmp_gt_u32_e64 s[2:3], 15, v0
	s_waitcnt vmcnt(0)
	ds_write_b128 v9, v[2:5]
	s_waitcnt lgkmcnt(0)
	; wave barrier
	s_waitcnt lgkmcnt(0)
	s_and_saveexec_b64 s[6:7], s[2:3]
	s_cbranch_execz .LBB16_247
; %bb.240:
	ds_read_b128 v[2:5], v9
	s_and_b64 vcc, exec, s[0:1]
	s_cbranch_vccnz .LBB16_242
; %bb.241:
	scratch_load_dwordx4 v[10:13], v8, off
	s_waitcnt vmcnt(0) lgkmcnt(0)
	v_mul_f64 v[6:7], v[4:5], v[12:13]
	v_mul_f64 v[12:13], v[2:3], v[12:13]
	v_fmac_f64_e32 v[12:13], v[4:5], v[10:11]
	v_fma_f64 v[2:3], v[2:3], v[10:11], -v[6:7]
	v_mov_b64_e32 v[4:5], v[12:13]
.LBB16_242:
	v_cmp_ne_u32_e32 vcc, 14, v0
	s_and_saveexec_b64 s[8:9], vcc
	s_cbranch_execz .LBB16_246
; %bb.243:
	v_mov_b32_e32 v7, 0
	v_add_u32_e32 v6, 0x120, v48
	v_add3_u32 v7, v48, v7, 24
	s_mov_b64 s[10:11], 0
	v_mov_b32_e32 v10, v0
.LBB16_244:                             ; =>This Inner Loop Header: Depth=1
	v_add_u32_e32 v11, -8, v7
	scratch_load_dwordx4 v[64:67], v11, off
	ds_read_b128 v[68:71], v6
	v_add_u32_e32 v10, 1, v10
	v_cmp_lt_u32_e32 vcc, 13, v10
	v_add_u32_e32 v6, 16, v6
	v_add_u32_e32 v7, 16, v7
	s_or_b64 s[10:11], vcc, s[10:11]
	s_waitcnt vmcnt(0) lgkmcnt(0)
	v_mul_f64 v[12:13], v[70:71], v[66:67]
	v_mul_f64 v[66:67], v[68:69], v[66:67]
	v_fma_f64 v[12:13], v[68:69], v[64:65], -v[12:13]
	v_fmac_f64_e32 v[66:67], v[70:71], v[64:65]
	v_add_f64 v[2:3], v[2:3], v[12:13]
	v_add_f64 v[4:5], v[4:5], v[66:67]
	s_andn2_b64 exec, exec, s[10:11]
	s_cbranch_execnz .LBB16_244
; %bb.245:
	s_or_b64 exec, exec, s[10:11]
.LBB16_246:
	s_or_b64 exec, exec, s[8:9]
	v_mov_b32_e32 v6, 0
	ds_read_b128 v[10:13], v6 offset:240
	s_waitcnt lgkmcnt(0)
	v_mul_f64 v[6:7], v[4:5], v[12:13]
	v_mul_f64 v[66:67], v[2:3], v[12:13]
	v_fma_f64 v[64:65], v[2:3], v[10:11], -v[6:7]
	v_fmac_f64_e32 v[66:67], v[4:5], v[10:11]
	scratch_store_dwordx4 off, v[64:67], off offset:240
.LBB16_247:
	s_or_b64 exec, exec, s[6:7]
	scratch_load_dwordx4 v[2:5], v49, off
	v_cmp_ne_u32_e32 vcc, 16, v0
                                        ; implicit-def: $vgpr6_vgpr7
                                        ; implicit-def: $vgpr10
	s_waitcnt vmcnt(0)
	ds_write_b128 v9, v[2:5]
	s_waitcnt lgkmcnt(0)
	; wave barrier
	s_waitcnt lgkmcnt(0)
	s_and_saveexec_b64 s[6:7], vcc
	s_cbranch_execz .LBB16_255
; %bb.248:
	ds_read_b128 v[2:5], v9
	s_and_b64 vcc, exec, s[0:1]
	s_cbranch_vccnz .LBB16_250
; %bb.249:
	scratch_load_dwordx4 v[6:9], v8, off
	s_waitcnt vmcnt(0) lgkmcnt(0)
	v_mul_f64 v[10:11], v[4:5], v[8:9]
	v_mul_f64 v[8:9], v[2:3], v[8:9]
	v_fmac_f64_e32 v[8:9], v[4:5], v[6:7]
	v_fma_f64 v[2:3], v[2:3], v[6:7], -v[10:11]
	v_mov_b64_e32 v[4:5], v[8:9]
.LBB16_250:
	s_and_saveexec_b64 s[0:1], s[2:3]
	s_cbranch_execz .LBB16_254
; %bb.251:
	v_mov_b32_e32 v7, 0
	v_add_u32_e32 v6, 0x120, v48
	v_add3_u32 v7, v48, v7, 24
	s_mov_b64 s[2:3], 0
.LBB16_252:                             ; =>This Inner Loop Header: Depth=1
	v_add_u32_e32 v8, -8, v7
	scratch_load_dwordx4 v[8:11], v8, off
	ds_read_b128 v[64:67], v6
	v_add_u32_e32 v0, 1, v0
	v_cmp_lt_u32_e32 vcc, 14, v0
	v_add_u32_e32 v6, 16, v6
	v_add_u32_e32 v7, 16, v7
	s_or_b64 s[2:3], vcc, s[2:3]
	s_waitcnt vmcnt(0) lgkmcnt(0)
	v_mul_f64 v[12:13], v[66:67], v[10:11]
	v_mul_f64 v[10:11], v[64:65], v[10:11]
	v_fma_f64 v[12:13], v[64:65], v[8:9], -v[12:13]
	v_fmac_f64_e32 v[10:11], v[66:67], v[8:9]
	v_add_f64 v[2:3], v[2:3], v[12:13]
	v_add_f64 v[4:5], v[4:5], v[10:11]
	s_andn2_b64 exec, exec, s[2:3]
	s_cbranch_execnz .LBB16_252
; %bb.253:
	s_or_b64 exec, exec, s[2:3]
.LBB16_254:
	s_or_b64 exec, exec, s[0:1]
	v_mov_b32_e32 v0, 0
	ds_read_b128 v[64:67], v0 offset:256
	v_mov_b32_e32 v0, 0
	v_add_u32_e32 v10, 0x108, v0
	s_or_b64 s[4:5], s[4:5], exec
	s_waitcnt lgkmcnt(0)
	v_mul_f64 v[8:9], v[4:5], v[66:67]
	v_mul_f64 v[6:7], v[2:3], v[66:67]
	v_fma_f64 v[2:3], v[2:3], v[64:65], -v[8:9]
	v_fmac_f64_e32 v[6:7], v[4:5], v[64:65]
	scratch_store_dwordx2 off, v[2:3], off offset:256
.LBB16_255:
	s_or_b64 exec, exec, s[6:7]
.LBB16_256:
	s_and_saveexec_b64 s[0:1], s[4:5]
	s_cbranch_execz .LBB16_258
; %bb.257:
	scratch_store_dwordx2 v10, v[6:7], off
.LBB16_258:
	s_or_b64 exec, exec, s[0:1]
	scratch_load_dwordx4 v[2:5], off, off
	scratch_load_dwordx4 v[6:9], v59, off
	scratch_load_dwordx4 v[10:13], v58, off
	;; [unrolled: 1-line block ×6, first 2 shown]
	s_waitcnt vmcnt(6)
	global_store_dwordx4 v[16:17], v[2:5], off
	scratch_load_dwordx4 v[2:5], v56, off
	s_nop 0
	scratch_load_dwordx4 v[58:61], v57, off
	s_waitcnt vmcnt(8)
	global_store_dwordx4 v[14:15], v[6:9], off
	scratch_load_dwordx4 v[6:9], v55, off
	s_nop 0
	scratch_load_dwordx4 v[14:17], v54, off
	;; [unrolled: 5-line block ×5, first 2 shown]
	s_waitcnt vmcnt(16)
	global_store_dwordx4 v[24:25], v[72:75], off
	s_waitcnt vmcnt(16)
	global_store_dwordx4 v[26:27], v[76:79], off
	;; [unrolled: 2-line block ×12, first 2 shown]
.LBB16_259:
	s_endpgm
	.section	.rodata,"a",@progbits
	.p2align	6, 0x0
	.amdhsa_kernel _ZN9rocsolver6v33100L18trti2_kernel_smallILi17E19rocblas_complex_numIdEPS3_EEv13rocblas_fill_17rocblas_diagonal_T1_iil
		.amdhsa_group_segment_fixed_size 544
		.amdhsa_private_segment_fixed_size 288
		.amdhsa_kernarg_size 32
		.amdhsa_user_sgpr_count 2
		.amdhsa_user_sgpr_dispatch_ptr 0
		.amdhsa_user_sgpr_queue_ptr 0
		.amdhsa_user_sgpr_kernarg_segment_ptr 1
		.amdhsa_user_sgpr_dispatch_id 0
		.amdhsa_user_sgpr_kernarg_preload_length 0
		.amdhsa_user_sgpr_kernarg_preload_offset 0
		.amdhsa_user_sgpr_private_segment_size 0
		.amdhsa_uses_dynamic_stack 0
		.amdhsa_enable_private_segment 1
		.amdhsa_system_sgpr_workgroup_id_x 1
		.amdhsa_system_sgpr_workgroup_id_y 0
		.amdhsa_system_sgpr_workgroup_id_z 0
		.amdhsa_system_sgpr_workgroup_info 0
		.amdhsa_system_vgpr_workitem_id 0
		.amdhsa_next_free_vgpr 80
		.amdhsa_next_free_sgpr 12
		.amdhsa_accum_offset 80
		.amdhsa_reserve_vcc 1
		.amdhsa_float_round_mode_32 0
		.amdhsa_float_round_mode_16_64 0
		.amdhsa_float_denorm_mode_32 3
		.amdhsa_float_denorm_mode_16_64 3
		.amdhsa_dx10_clamp 1
		.amdhsa_ieee_mode 1
		.amdhsa_fp16_overflow 0
		.amdhsa_tg_split 0
		.amdhsa_exception_fp_ieee_invalid_op 0
		.amdhsa_exception_fp_denorm_src 0
		.amdhsa_exception_fp_ieee_div_zero 0
		.amdhsa_exception_fp_ieee_overflow 0
		.amdhsa_exception_fp_ieee_underflow 0
		.amdhsa_exception_fp_ieee_inexact 0
		.amdhsa_exception_int_div_zero 0
	.end_amdhsa_kernel
	.section	.text._ZN9rocsolver6v33100L18trti2_kernel_smallILi17E19rocblas_complex_numIdEPS3_EEv13rocblas_fill_17rocblas_diagonal_T1_iil,"axG",@progbits,_ZN9rocsolver6v33100L18trti2_kernel_smallILi17E19rocblas_complex_numIdEPS3_EEv13rocblas_fill_17rocblas_diagonal_T1_iil,comdat
.Lfunc_end16:
	.size	_ZN9rocsolver6v33100L18trti2_kernel_smallILi17E19rocblas_complex_numIdEPS3_EEv13rocblas_fill_17rocblas_diagonal_T1_iil, .Lfunc_end16-_ZN9rocsolver6v33100L18trti2_kernel_smallILi17E19rocblas_complex_numIdEPS3_EEv13rocblas_fill_17rocblas_diagonal_T1_iil
                                        ; -- End function
	.section	.AMDGPU.csdata,"",@progbits
; Kernel info:
; codeLenInByte = 11012
; NumSgprs: 18
; NumVgprs: 80
; NumAgprs: 0
; TotalNumVgprs: 80
; ScratchSize: 288
; MemoryBound: 0
; FloatMode: 240
; IeeeMode: 1
; LDSByteSize: 544 bytes/workgroup (compile time only)
; SGPRBlocks: 2
; VGPRBlocks: 9
; NumSGPRsForWavesPerEU: 18
; NumVGPRsForWavesPerEU: 80
; AccumOffset: 80
; Occupancy: 6
; WaveLimiterHint : 0
; COMPUTE_PGM_RSRC2:SCRATCH_EN: 1
; COMPUTE_PGM_RSRC2:USER_SGPR: 2
; COMPUTE_PGM_RSRC2:TRAP_HANDLER: 0
; COMPUTE_PGM_RSRC2:TGID_X_EN: 1
; COMPUTE_PGM_RSRC2:TGID_Y_EN: 0
; COMPUTE_PGM_RSRC2:TGID_Z_EN: 0
; COMPUTE_PGM_RSRC2:TIDIG_COMP_CNT: 0
; COMPUTE_PGM_RSRC3_GFX90A:ACCUM_OFFSET: 19
; COMPUTE_PGM_RSRC3_GFX90A:TG_SPLIT: 0
	.section	.text._ZN9rocsolver6v33100L18trti2_kernel_smallILi18E19rocblas_complex_numIdEPS3_EEv13rocblas_fill_17rocblas_diagonal_T1_iil,"axG",@progbits,_ZN9rocsolver6v33100L18trti2_kernel_smallILi18E19rocblas_complex_numIdEPS3_EEv13rocblas_fill_17rocblas_diagonal_T1_iil,comdat
	.globl	_ZN9rocsolver6v33100L18trti2_kernel_smallILi18E19rocblas_complex_numIdEPS3_EEv13rocblas_fill_17rocblas_diagonal_T1_iil ; -- Begin function _ZN9rocsolver6v33100L18trti2_kernel_smallILi18E19rocblas_complex_numIdEPS3_EEv13rocblas_fill_17rocblas_diagonal_T1_iil
	.p2align	8
	.type	_ZN9rocsolver6v33100L18trti2_kernel_smallILi18E19rocblas_complex_numIdEPS3_EEv13rocblas_fill_17rocblas_diagonal_T1_iil,@function
_ZN9rocsolver6v33100L18trti2_kernel_smallILi18E19rocblas_complex_numIdEPS3_EEv13rocblas_fill_17rocblas_diagonal_T1_iil: ; @_ZN9rocsolver6v33100L18trti2_kernel_smallILi18E19rocblas_complex_numIdEPS3_EEv13rocblas_fill_17rocblas_diagonal_T1_iil
; %bb.0:
	v_cmp_gt_u32_e32 vcc, 18, v0
	s_and_saveexec_b64 s[4:5], vcc
	s_cbranch_execz .LBB17_275
; %bb.1:
	s_load_dwordx8 s[4:11], s[0:1], 0x0
	s_ashr_i32 s3, s2, 31
	v_lshlrev_b32_e32 v42, 4, v0
	v_mov_b32_e32 v43, 0
	s_waitcnt lgkmcnt(0)
	s_ashr_i32 s1, s8, 31
	s_mov_b32 s0, s8
	s_mul_i32 s8, s2, s11
	s_mul_hi_u32 s11, s2, s10
	s_add_i32 s8, s11, s8
	s_mul_i32 s3, s3, s10
	s_add_i32 s3, s8, s3
	s_mul_i32 s2, s2, s10
	s_lshl_b64 s[2:3], s[2:3], 4
	s_add_u32 s2, s6, s2
	s_addc_u32 s3, s7, s3
	s_lshl_b64 s[0:1], s[0:1], 4
	s_add_u32 s0, s2, s0
	s_addc_u32 s1, s3, s1
	global_load_dwordx4 v[2:5], v42, s[0:1]
	s_add_i32 s6, s9, s9
	v_add_u32_e32 v6, s6, v0
	v_add_u32_e32 v18, s9, v6
	;; [unrolled: 1-line block ×13, first 2 shown]
	s_mov_b32 s2, s9
	s_ashr_i32 s3, s9, 31
	v_lshl_add_u64 v[20:21], s[0:1], 0, v[42:43]
	v_add_u32_e32 v84, s9, v82
	v_lshl_add_u64 v[14:15], s[2:3], 4, v[20:21]
	v_ashrrev_i32_e32 v7, 31, v6
	v_ashrrev_i32_e32 v19, 31, v18
	;; [unrolled: 1-line block ×6, first 2 shown]
	v_add_u32_e32 v86, s9, v84
	v_lshl_add_u64 v[16:17], v[6:7], 4, s[0:1]
	global_load_dwordx4 v[6:9], v[14:15], off
	global_load_dwordx4 v[10:13], v[16:17], off
	v_lshl_add_u64 v[18:19], v[18:19], 4, s[0:1]
	v_ashrrev_i32_e32 v23, 31, v22
	v_lshl_add_u64 v[26:27], v[24:25], 4, s[0:1]
	v_lshl_add_u64 v[24:25], v[28:29], 4, s[0:1]
	v_lshl_add_u64 v[28:29], v[30:31], 4, s[0:1]
	v_lshl_add_u64 v[30:31], v[32:33], 4, s[0:1]
	v_add_u32_e32 v32, s9, v86
	v_lshl_add_u64 v[22:23], v[22:23], 4, s[0:1]
	global_load_dwordx4 v[44:47], v[18:19], off
	global_load_dwordx4 v[48:51], v[22:23], off
	v_ashrrev_i32_e32 v33, 31, v32
	global_load_dwordx4 v[52:55], v[26:27], off
	global_load_dwordx4 v[56:59], v[24:25], off
	v_lshl_add_u64 v[32:33], v[32:33], 4, s[0:1]
	global_load_dwordx4 v[60:63], v[32:33], off
	v_ashrrev_i32_e32 v35, 31, v34
	v_lshl_add_u64 v[34:35], v[34:35], 4, s[0:1]
	v_ashrrev_i32_e32 v37, 31, v36
	v_ashrrev_i32_e32 v39, 31, v38
	v_lshl_add_u64 v[36:37], v[36:37], 4, s[0:1]
	v_lshl_add_u64 v[38:39], v[38:39], 4, s[0:1]
	v_ashrrev_i32_e32 v41, 31, v40
	v_ashrrev_i32_e32 v81, 31, v80
	v_lshl_add_u64 v[40:41], v[40:41], 4, s[0:1]
	v_ashrrev_i32_e32 v83, 31, v82
	v_ashrrev_i32_e32 v85, 31, v84
	;; [unrolled: 1-line block ×3, first 2 shown]
	s_cmpk_lg_i32 s5, 0x84
	s_cselect_b64 s[6:7], -1, 0
	s_cmpk_eq_i32 s5, 0x84
	s_waitcnt vmcnt(7)
	scratch_store_dwordx4 off, v[2:5], off
	global_load_dwordx4 v[2:5], v[28:29], off
	s_nop 0
	global_load_dwordx4 v[64:67], v[30:31], off
	s_waitcnt vmcnt(9)
	scratch_store_dwordx4 off, v[6:9], off offset:16
	s_waitcnt vmcnt(9)
	scratch_store_dwordx4 off, v[10:13], off offset:32
	global_load_dwordx4 v[6:9], v[34:35], off
	global_load_dwordx4 v[68:71], v[36:37], off
	s_waitcnt vmcnt(11)
	scratch_store_dwordx4 off, v[44:47], off offset:48
	s_waitcnt vmcnt(11)
	scratch_store_dwordx4 off, v[48:51], off offset:64
	global_load_dwordx4 v[72:75], v[38:39], off
	global_load_dwordx4 v[76:79], v[40:41], off
	v_lshl_add_u64 v[44:45], v[80:81], 4, s[0:1]
	s_waitcnt vmcnt(13)
	scratch_store_dwordx4 off, v[52:55], off offset:80
	s_waitcnt vmcnt(13)
	scratch_store_dwordx4 off, v[56:59], off offset:96
	v_lshl_add_u64 v[46:47], v[82:83], 4, s[0:1]
	global_load_dwordx4 v[52:55], v[44:45], off
	global_load_dwordx4 v[56:59], v[46:47], off
	v_lshl_add_u64 v[48:49], v[84:85], 4, s[0:1]
	v_lshl_add_u64 v[50:51], v[86:87], 4, s[0:1]
	v_mov_b32_e32 v12, 0
	s_waitcnt vmcnt(13)
	scratch_store_dwordx4 off, v[2:5], off offset:112
	s_waitcnt vmcnt(13)
	scratch_store_dwordx4 off, v[64:67], off offset:128
	global_load_dwordx4 v[2:5], v[48:49], off
	s_nop 0
	global_load_dwordx4 v[64:67], v[50:51], off
	s_waitcnt vmcnt(13)
	scratch_store_dwordx4 off, v[6:9], off offset:144
	s_waitcnt vmcnt(13)
	scratch_store_dwordx4 off, v[68:71], off offset:160
	;; [unrolled: 2-line block ×8, first 2 shown]
	scratch_store_dwordx4 off, v[60:63], off offset:272
	s_cbranch_scc1 .LBB17_7
; %bb.2:
	scratch_load_dwordx4 v[2:5], v42, off
                                        ; implicit-def: $vgpr10_vgpr11
	s_waitcnt vmcnt(0)
	v_xor_b32_e32 v1, 0x80000000, v3
	v_cmp_gt_f64_e32 vcc, 0, v[2:3]
	v_xor_b32_e32 v8, 0x80000000, v5
	v_mov_b32_e32 v6, v2
	v_cndmask_b32_e32 v7, v3, v1, vcc
	v_cmp_gt_f64_e32 vcc, 0, v[4:5]
	s_nop 1
	v_cndmask_b32_e32 v9, v5, v8, vcc
	v_mov_b32_e32 v8, v4
	v_cmp_ngt_f64_e32 vcc, v[6:7], v[8:9]
                                        ; implicit-def: $vgpr6_vgpr7
	s_and_saveexec_b64 s[0:1], vcc
	s_xor_b64 s[0:1], exec, s[0:1]
	s_cbranch_execz .LBB17_4
; %bb.3:
	v_div_scale_f64 v[6:7], s[2:3], v[4:5], v[4:5], v[2:3]
	v_rcp_f64_e32 v[8:9], v[6:7]
	v_div_scale_f64 v[10:11], vcc, v[2:3], v[4:5], v[2:3]
	v_fma_f64 v[52:53], -v[6:7], v[8:9], 1.0
	v_fmac_f64_e32 v[8:9], v[8:9], v[52:53]
	v_fma_f64 v[52:53], -v[6:7], v[8:9], 1.0
	v_fmac_f64_e32 v[8:9], v[8:9], v[52:53]
	v_mul_f64 v[52:53], v[10:11], v[8:9]
	v_fma_f64 v[6:7], -v[6:7], v[52:53], v[10:11]
	v_div_fmas_f64 v[6:7], v[6:7], v[8:9], v[52:53]
	v_div_fixup_f64 v[6:7], v[6:7], v[4:5], v[2:3]
	v_fmac_f64_e32 v[4:5], v[2:3], v[6:7]
	v_div_scale_f64 v[2:3], s[2:3], v[4:5], v[4:5], 1.0
	v_rcp_f64_e32 v[8:9], v[2:3]
	s_nop 0
	v_fma_f64 v[10:11], -v[2:3], v[8:9], 1.0
	v_fmac_f64_e32 v[8:9], v[8:9], v[10:11]
	v_fma_f64 v[10:11], -v[2:3], v[8:9], 1.0
	v_fmac_f64_e32 v[8:9], v[8:9], v[10:11]
	v_div_scale_f64 v[10:11], vcc, 1.0, v[4:5], 1.0
	v_mul_f64 v[52:53], v[10:11], v[8:9]
	v_fma_f64 v[2:3], -v[2:3], v[52:53], v[10:11]
	s_nop 1
	v_div_fmas_f64 v[2:3], v[2:3], v[8:9], v[52:53]
	v_div_fixup_f64 v[8:9], v[2:3], v[4:5], 1.0
	v_mul_f64 v[6:7], v[6:7], v[8:9]
	v_xor_b32_e32 v9, 0x80000000, v9
	v_xor_b32_e32 v11, 0x80000000, v7
	v_mov_b32_e32 v10, v6
                                        ; implicit-def: $vgpr2_vgpr3
.LBB17_4:
	s_or_saveexec_b64 s[0:1], s[0:1]
	v_add_u32_e32 v1, 0, v42
	s_xor_b64 exec, exec, s[0:1]
	s_cbranch_execz .LBB17_6
; %bb.5:
	v_div_scale_f64 v[6:7], s[2:3], v[2:3], v[2:3], v[4:5]
	v_rcp_f64_e32 v[8:9], v[6:7]
	v_div_scale_f64 v[10:11], vcc, v[4:5], v[2:3], v[4:5]
	v_fma_f64 v[52:53], -v[6:7], v[8:9], 1.0
	v_fmac_f64_e32 v[8:9], v[8:9], v[52:53]
	v_fma_f64 v[52:53], -v[6:7], v[8:9], 1.0
	v_fmac_f64_e32 v[8:9], v[8:9], v[52:53]
	v_mul_f64 v[52:53], v[10:11], v[8:9]
	v_fma_f64 v[6:7], -v[6:7], v[52:53], v[10:11]
	v_div_fmas_f64 v[6:7], v[6:7], v[8:9], v[52:53]
	v_div_fixup_f64 v[8:9], v[6:7], v[2:3], v[4:5]
	v_fmac_f64_e32 v[2:3], v[4:5], v[8:9]
	v_div_scale_f64 v[4:5], s[2:3], v[2:3], v[2:3], 1.0
	v_rcp_f64_e32 v[6:7], v[4:5]
	s_nop 0
	v_fma_f64 v[10:11], -v[4:5], v[6:7], 1.0
	v_fmac_f64_e32 v[6:7], v[6:7], v[10:11]
	v_fma_f64 v[10:11], -v[4:5], v[6:7], 1.0
	v_fmac_f64_e32 v[6:7], v[6:7], v[10:11]
	v_div_scale_f64 v[10:11], vcc, 1.0, v[2:3], 1.0
	v_mul_f64 v[52:53], v[10:11], v[6:7]
	v_fma_f64 v[4:5], -v[4:5], v[52:53], v[10:11]
	s_nop 1
	v_div_fmas_f64 v[4:5], v[4:5], v[6:7], v[52:53]
	v_div_fixup_f64 v[6:7], v[4:5], v[2:3], 1.0
	v_xor_b32_e32 v11, 0x80000000, v7
	v_mov_b32_e32 v10, v6
	v_mul_f64 v[8:9], v[8:9], -v[6:7]
.LBB17_6:
	s_or_b64 exec, exec, s[0:1]
	scratch_store_dwordx4 v1, v[6:9], off
	s_nop 1
	v_xor_b32_e32 v9, 0x80000000, v9
	s_branch .LBB17_8
.LBB17_7:
	v_mov_b64_e32 v[8:9], 0
	v_mov_b64_e32 v[10:11], -1.0
.LBB17_8:
	v_add_u32_e32 v64, 16, v12
	v_add_u32_e32 v62, 32, v12
	;; [unrolled: 1-line block ×17, first 2 shown]
	v_mov_b32_e32 v12, v8
	v_mov_b32_e32 v13, v9
	s_cmpk_eq_i32 s4, 0x79
	v_add_u32_e32 v9, 0x120, v42
	v_add_u32_e32 v8, 0, v42
	ds_write_b128 v42, v[10:13]
	s_cbranch_scc1 .LBB17_140
; %bb.9:
	scratch_load_dwordx4 v[2:5], v1, off
	v_cmp_eq_u32_e64 s[0:1], 17, v0
	s_waitcnt vmcnt(0)
	ds_write_b128 v9, v[2:5]
	s_waitcnt lgkmcnt(0)
	; wave barrier
	s_waitcnt lgkmcnt(0)
	s_and_saveexec_b64 s[2:3], s[0:1]
	s_cbranch_execz .LBB17_13
; %bb.10:
	ds_read_b128 v[2:5], v9
	s_andn2_b64 vcc, exec, s[6:7]
	s_cbranch_vccnz .LBB17_12
; %bb.11:
	scratch_load_dwordx4 v[10:13], v8, off
	s_waitcnt vmcnt(0) lgkmcnt(0)
	v_mul_f64 v[6:7], v[4:5], v[12:13]
	v_mul_f64 v[12:13], v[2:3], v[12:13]
	v_fmac_f64_e32 v[12:13], v[4:5], v[10:11]
	v_fma_f64 v[2:3], v[2:3], v[10:11], -v[6:7]
	v_mov_b64_e32 v[4:5], v[12:13]
.LBB17_12:
	v_mov_b32_e32 v6, 0
	ds_read_b128 v[10:13], v6 offset:256
	s_waitcnt lgkmcnt(0)
	v_mul_f64 v[6:7], v[4:5], v[12:13]
	v_mul_f64 v[70:71], v[2:3], v[12:13]
	v_fma_f64 v[68:69], v[2:3], v[10:11], -v[6:7]
	v_fmac_f64_e32 v[70:71], v[4:5], v[10:11]
	scratch_store_dwordx4 off, v[68:71], off offset:256
.LBB17_13:
	s_or_b64 exec, exec, s[2:3]
	scratch_load_dwordx4 v[2:5], v53, off
	v_cmp_lt_u32_e64 s[2:3], 15, v0
	s_waitcnt vmcnt(0)
	ds_write_b128 v9, v[2:5]
	s_waitcnt lgkmcnt(0)
	; wave barrier
	s_waitcnt lgkmcnt(0)
	s_and_saveexec_b64 s[4:5], s[2:3]
	s_cbranch_execz .LBB17_19
; %bb.14:
	ds_read_b128 v[2:5], v9
	s_andn2_b64 vcc, exec, s[6:7]
	s_cbranch_vccnz .LBB17_16
; %bb.15:
	scratch_load_dwordx4 v[10:13], v8, off
	s_waitcnt vmcnt(0) lgkmcnt(0)
	v_mul_f64 v[6:7], v[4:5], v[12:13]
	v_mul_f64 v[12:13], v[2:3], v[12:13]
	v_fmac_f64_e32 v[12:13], v[4:5], v[10:11]
	v_fma_f64 v[2:3], v[2:3], v[10:11], -v[6:7]
	v_mov_b64_e32 v[4:5], v[12:13]
.LBB17_16:
	s_and_saveexec_b64 s[8:9], s[0:1]
	s_cbranch_execz .LBB17_18
; %bb.17:
	scratch_load_dwordx4 v[10:13], off, off offset:256
	v_mov_b32_e32 v6, 0
	ds_read_b128 v[68:71], v6 offset:544
	s_waitcnt vmcnt(0) lgkmcnt(0)
	v_mul_f64 v[6:7], v[68:69], v[12:13]
	v_mul_f64 v[12:13], v[70:71], v[12:13]
	v_fmac_f64_e32 v[6:7], v[70:71], v[10:11]
	v_fma_f64 v[10:11], v[68:69], v[10:11], -v[12:13]
	v_add_f64 v[4:5], v[4:5], v[6:7]
	v_add_f64 v[2:3], v[2:3], v[10:11]
.LBB17_18:
	s_or_b64 exec, exec, s[8:9]
	v_mov_b32_e32 v6, 0
	ds_read_b128 v[10:13], v6 offset:240
	s_waitcnt lgkmcnt(0)
	v_mul_f64 v[6:7], v[4:5], v[12:13]
	v_mul_f64 v[70:71], v[2:3], v[12:13]
	v_fma_f64 v[68:69], v[2:3], v[10:11], -v[6:7]
	v_fmac_f64_e32 v[70:71], v[4:5], v[10:11]
	scratch_store_dwordx4 off, v[68:71], off offset:240
.LBB17_19:
	s_or_b64 exec, exec, s[4:5]
	scratch_load_dwordx4 v[2:5], v52, off
	v_cmp_lt_u32_e64 s[0:1], 14, v0
	s_waitcnt vmcnt(0)
	ds_write_b128 v9, v[2:5]
	s_waitcnt lgkmcnt(0)
	; wave barrier
	s_waitcnt lgkmcnt(0)
	s_and_saveexec_b64 s[4:5], s[0:1]
	s_cbranch_execz .LBB17_27
; %bb.20:
	ds_read_b128 v[2:5], v9
	s_andn2_b64 vcc, exec, s[6:7]
	s_cbranch_vccnz .LBB17_22
; %bb.21:
	scratch_load_dwordx4 v[10:13], v8, off
	s_waitcnt vmcnt(0) lgkmcnt(0)
	v_mul_f64 v[6:7], v[4:5], v[12:13]
	v_mul_f64 v[12:13], v[2:3], v[12:13]
	v_fmac_f64_e32 v[12:13], v[4:5], v[10:11]
	v_fma_f64 v[2:3], v[2:3], v[10:11], -v[6:7]
	v_mov_b64_e32 v[4:5], v[12:13]
.LBB17_22:
	s_and_saveexec_b64 s[8:9], s[2:3]
	s_cbranch_execz .LBB17_26
; %bb.23:
	v_mov_b32_e32 v7, 0
	v_add_u32_e32 v6, -15, v0
	v_add_u32_e32 v7, 0xf8, v7
	s_movk_i32 s10, 0x210
	s_mov_b64 s[2:3], 0
.LBB17_24:                              ; =>This Inner Loop Header: Depth=1
	v_add_u32_e32 v10, -8, v7
	scratch_load_dwordx4 v[10:13], v10, off
	v_mov_b32_e32 v67, s10
	ds_read_b128 v[68:71], v67
	v_add_u32_e32 v6, -1, v6
	s_add_i32 s10, s10, 16
	v_cmp_eq_u32_e32 vcc, 0, v6
	v_add_u32_e32 v7, 16, v7
	s_or_b64 s[2:3], vcc, s[2:3]
	s_waitcnt vmcnt(0) lgkmcnt(0)
	v_mul_f64 v[72:73], v[70:71], v[12:13]
	v_mul_f64 v[12:13], v[68:69], v[12:13]
	v_fma_f64 v[68:69], v[68:69], v[10:11], -v[72:73]
	v_fmac_f64_e32 v[12:13], v[70:71], v[10:11]
	v_add_f64 v[2:3], v[2:3], v[68:69]
	v_add_f64 v[4:5], v[4:5], v[12:13]
	s_andn2_b64 exec, exec, s[2:3]
	s_cbranch_execnz .LBB17_24
; %bb.25:
	s_or_b64 exec, exec, s[2:3]
.LBB17_26:
	s_or_b64 exec, exec, s[8:9]
	v_mov_b32_e32 v6, 0
	ds_read_b128 v[10:13], v6 offset:224
	s_waitcnt lgkmcnt(0)
	v_mul_f64 v[6:7], v[4:5], v[12:13]
	v_mul_f64 v[70:71], v[2:3], v[12:13]
	v_fma_f64 v[68:69], v[2:3], v[10:11], -v[6:7]
	v_fmac_f64_e32 v[70:71], v[4:5], v[10:11]
	scratch_store_dwordx4 off, v[68:71], off offset:224
.LBB17_27:
	s_or_b64 exec, exec, s[4:5]
	scratch_load_dwordx4 v[2:5], v55, off
	v_cmp_lt_u32_e64 s[2:3], 13, v0
	s_waitcnt vmcnt(0)
	ds_write_b128 v9, v[2:5]
	s_waitcnt lgkmcnt(0)
	; wave barrier
	s_waitcnt lgkmcnt(0)
	s_and_saveexec_b64 s[4:5], s[2:3]
	s_cbranch_execz .LBB17_35
; %bb.28:
	ds_read_b128 v[2:5], v9
	s_andn2_b64 vcc, exec, s[6:7]
	s_cbranch_vccnz .LBB17_30
; %bb.29:
	scratch_load_dwordx4 v[10:13], v8, off
	s_waitcnt vmcnt(0) lgkmcnt(0)
	v_mul_f64 v[6:7], v[4:5], v[12:13]
	v_mul_f64 v[12:13], v[2:3], v[12:13]
	v_fmac_f64_e32 v[12:13], v[4:5], v[10:11]
	v_fma_f64 v[2:3], v[2:3], v[10:11], -v[6:7]
	v_mov_b64_e32 v[4:5], v[12:13]
.LBB17_30:
	s_and_saveexec_b64 s[8:9], s[0:1]
	s_cbranch_execz .LBB17_34
; %bb.31:
	v_mov_b32_e32 v7, 0
	v_add_u32_e32 v6, -14, v0
	v_add_u32_e32 v7, 0xe8, v7
	s_movk_i32 s10, 0x200
	s_mov_b64 s[0:1], 0
.LBB17_32:                              ; =>This Inner Loop Header: Depth=1
	v_add_u32_e32 v10, -8, v7
	scratch_load_dwordx4 v[10:13], v10, off
	v_mov_b32_e32 v67, s10
	ds_read_b128 v[68:71], v67
	v_add_u32_e32 v6, -1, v6
	s_add_i32 s10, s10, 16
	v_cmp_eq_u32_e32 vcc, 0, v6
	v_add_u32_e32 v7, 16, v7
	s_or_b64 s[0:1], vcc, s[0:1]
	s_waitcnt vmcnt(0) lgkmcnt(0)
	v_mul_f64 v[72:73], v[70:71], v[12:13]
	v_mul_f64 v[12:13], v[68:69], v[12:13]
	v_fma_f64 v[68:69], v[68:69], v[10:11], -v[72:73]
	v_fmac_f64_e32 v[12:13], v[70:71], v[10:11]
	v_add_f64 v[2:3], v[2:3], v[68:69]
	v_add_f64 v[4:5], v[4:5], v[12:13]
	s_andn2_b64 exec, exec, s[0:1]
	s_cbranch_execnz .LBB17_32
; %bb.33:
	s_or_b64 exec, exec, s[0:1]
.LBB17_34:
	s_or_b64 exec, exec, s[8:9]
	v_mov_b32_e32 v6, 0
	ds_read_b128 v[10:13], v6 offset:208
	s_waitcnt lgkmcnt(0)
	v_mul_f64 v[6:7], v[4:5], v[12:13]
	v_mul_f64 v[70:71], v[2:3], v[12:13]
	v_fma_f64 v[68:69], v[2:3], v[10:11], -v[6:7]
	v_fmac_f64_e32 v[70:71], v[4:5], v[10:11]
	scratch_store_dwordx4 off, v[68:71], off offset:208
.LBB17_35:
	s_or_b64 exec, exec, s[4:5]
	scratch_load_dwordx4 v[2:5], v54, off
	v_cmp_lt_u32_e64 s[0:1], 12, v0
	s_waitcnt vmcnt(0)
	ds_write_b128 v9, v[2:5]
	s_waitcnt lgkmcnt(0)
	; wave barrier
	s_waitcnt lgkmcnt(0)
	s_and_saveexec_b64 s[4:5], s[0:1]
	s_cbranch_execz .LBB17_43
; %bb.36:
	ds_read_b128 v[2:5], v9
	s_andn2_b64 vcc, exec, s[6:7]
	s_cbranch_vccnz .LBB17_38
; %bb.37:
	scratch_load_dwordx4 v[10:13], v8, off
	s_waitcnt vmcnt(0) lgkmcnt(0)
	v_mul_f64 v[6:7], v[4:5], v[12:13]
	v_mul_f64 v[12:13], v[2:3], v[12:13]
	v_fmac_f64_e32 v[12:13], v[4:5], v[10:11]
	v_fma_f64 v[2:3], v[2:3], v[10:11], -v[6:7]
	v_mov_b64_e32 v[4:5], v[12:13]
.LBB17_38:
	s_and_saveexec_b64 s[8:9], s[2:3]
	s_cbranch_execz .LBB17_42
; %bb.39:
	v_mov_b32_e32 v7, 0
	v_add_u32_e32 v6, -13, v0
	v_add_u32_e32 v7, 0xd8, v7
	s_movk_i32 s10, 0x1f0
	s_mov_b64 s[2:3], 0
.LBB17_40:                              ; =>This Inner Loop Header: Depth=1
	v_add_u32_e32 v10, -8, v7
	scratch_load_dwordx4 v[10:13], v10, off
	v_mov_b32_e32 v67, s10
	ds_read_b128 v[68:71], v67
	v_add_u32_e32 v6, -1, v6
	s_add_i32 s10, s10, 16
	v_cmp_eq_u32_e32 vcc, 0, v6
	v_add_u32_e32 v7, 16, v7
	s_or_b64 s[2:3], vcc, s[2:3]
	s_waitcnt vmcnt(0) lgkmcnt(0)
	v_mul_f64 v[72:73], v[70:71], v[12:13]
	v_mul_f64 v[12:13], v[68:69], v[12:13]
	v_fma_f64 v[68:69], v[68:69], v[10:11], -v[72:73]
	v_fmac_f64_e32 v[12:13], v[70:71], v[10:11]
	v_add_f64 v[2:3], v[2:3], v[68:69]
	v_add_f64 v[4:5], v[4:5], v[12:13]
	s_andn2_b64 exec, exec, s[2:3]
	s_cbranch_execnz .LBB17_40
; %bb.41:
	s_or_b64 exec, exec, s[2:3]
.LBB17_42:
	s_or_b64 exec, exec, s[8:9]
	v_mov_b32_e32 v6, 0
	ds_read_b128 v[10:13], v6 offset:192
	s_waitcnt lgkmcnt(0)
	v_mul_f64 v[6:7], v[4:5], v[12:13]
	v_mul_f64 v[70:71], v[2:3], v[12:13]
	v_fma_f64 v[68:69], v[2:3], v[10:11], -v[6:7]
	v_fmac_f64_e32 v[70:71], v[4:5], v[10:11]
	scratch_store_dwordx4 off, v[68:71], off offset:192
.LBB17_43:
	s_or_b64 exec, exec, s[4:5]
	scratch_load_dwordx4 v[2:5], v56, off
	v_cmp_lt_u32_e64 s[2:3], 11, v0
	s_waitcnt vmcnt(0)
	ds_write_b128 v9, v[2:5]
	s_waitcnt lgkmcnt(0)
	; wave barrier
	s_waitcnt lgkmcnt(0)
	s_and_saveexec_b64 s[4:5], s[2:3]
	s_cbranch_execz .LBB17_51
; %bb.44:
	ds_read_b128 v[2:5], v9
	s_andn2_b64 vcc, exec, s[6:7]
	s_cbranch_vccnz .LBB17_46
; %bb.45:
	scratch_load_dwordx4 v[10:13], v8, off
	s_waitcnt vmcnt(0) lgkmcnt(0)
	v_mul_f64 v[6:7], v[4:5], v[12:13]
	v_mul_f64 v[12:13], v[2:3], v[12:13]
	v_fmac_f64_e32 v[12:13], v[4:5], v[10:11]
	v_fma_f64 v[2:3], v[2:3], v[10:11], -v[6:7]
	v_mov_b64_e32 v[4:5], v[12:13]
.LBB17_46:
	s_and_saveexec_b64 s[8:9], s[0:1]
	s_cbranch_execz .LBB17_50
; %bb.47:
	v_mov_b32_e32 v7, 0
	v_add_u32_e32 v6, -12, v0
	v_add_u32_e32 v7, 0xc8, v7
	s_movk_i32 s10, 0x1e0
	s_mov_b64 s[0:1], 0
.LBB17_48:                              ; =>This Inner Loop Header: Depth=1
	v_add_u32_e32 v10, -8, v7
	scratch_load_dwordx4 v[10:13], v10, off
	v_mov_b32_e32 v67, s10
	ds_read_b128 v[68:71], v67
	v_add_u32_e32 v6, -1, v6
	s_add_i32 s10, s10, 16
	v_cmp_eq_u32_e32 vcc, 0, v6
	v_add_u32_e32 v7, 16, v7
	s_or_b64 s[0:1], vcc, s[0:1]
	s_waitcnt vmcnt(0) lgkmcnt(0)
	v_mul_f64 v[72:73], v[70:71], v[12:13]
	v_mul_f64 v[12:13], v[68:69], v[12:13]
	v_fma_f64 v[68:69], v[68:69], v[10:11], -v[72:73]
	v_fmac_f64_e32 v[12:13], v[70:71], v[10:11]
	v_add_f64 v[2:3], v[2:3], v[68:69]
	v_add_f64 v[4:5], v[4:5], v[12:13]
	s_andn2_b64 exec, exec, s[0:1]
	s_cbranch_execnz .LBB17_48
; %bb.49:
	s_or_b64 exec, exec, s[0:1]
.LBB17_50:
	s_or_b64 exec, exec, s[8:9]
	v_mov_b32_e32 v6, 0
	ds_read_b128 v[10:13], v6 offset:176
	s_waitcnt lgkmcnt(0)
	v_mul_f64 v[6:7], v[4:5], v[12:13]
	v_mul_f64 v[70:71], v[2:3], v[12:13]
	v_fma_f64 v[68:69], v[2:3], v[10:11], -v[6:7]
	v_fmac_f64_e32 v[70:71], v[4:5], v[10:11]
	scratch_store_dwordx4 off, v[68:71], off offset:176
.LBB17_51:
	s_or_b64 exec, exec, s[4:5]
	scratch_load_dwordx4 v[2:5], v57, off
	v_cmp_lt_u32_e64 s[0:1], 10, v0
	s_waitcnt vmcnt(0)
	ds_write_b128 v9, v[2:5]
	s_waitcnt lgkmcnt(0)
	; wave barrier
	s_waitcnt lgkmcnt(0)
	s_and_saveexec_b64 s[4:5], s[0:1]
	s_cbranch_execz .LBB17_59
; %bb.52:
	ds_read_b128 v[2:5], v9
	s_andn2_b64 vcc, exec, s[6:7]
	s_cbranch_vccnz .LBB17_54
; %bb.53:
	scratch_load_dwordx4 v[10:13], v8, off
	s_waitcnt vmcnt(0) lgkmcnt(0)
	v_mul_f64 v[6:7], v[4:5], v[12:13]
	v_mul_f64 v[12:13], v[2:3], v[12:13]
	v_fmac_f64_e32 v[12:13], v[4:5], v[10:11]
	v_fma_f64 v[2:3], v[2:3], v[10:11], -v[6:7]
	v_mov_b64_e32 v[4:5], v[12:13]
.LBB17_54:
	s_and_saveexec_b64 s[8:9], s[2:3]
	s_cbranch_execz .LBB17_58
; %bb.55:
	v_mov_b32_e32 v7, 0
	v_add_u32_e32 v6, -11, v0
	v_add_u32_e32 v7, 0xb8, v7
	s_movk_i32 s10, 0x1d0
	s_mov_b64 s[2:3], 0
.LBB17_56:                              ; =>This Inner Loop Header: Depth=1
	v_add_u32_e32 v10, -8, v7
	scratch_load_dwordx4 v[10:13], v10, off
	v_mov_b32_e32 v67, s10
	ds_read_b128 v[68:71], v67
	v_add_u32_e32 v6, -1, v6
	s_add_i32 s10, s10, 16
	v_cmp_eq_u32_e32 vcc, 0, v6
	v_add_u32_e32 v7, 16, v7
	s_or_b64 s[2:3], vcc, s[2:3]
	s_waitcnt vmcnt(0) lgkmcnt(0)
	v_mul_f64 v[72:73], v[70:71], v[12:13]
	v_mul_f64 v[12:13], v[68:69], v[12:13]
	v_fma_f64 v[68:69], v[68:69], v[10:11], -v[72:73]
	v_fmac_f64_e32 v[12:13], v[70:71], v[10:11]
	v_add_f64 v[2:3], v[2:3], v[68:69]
	v_add_f64 v[4:5], v[4:5], v[12:13]
	s_andn2_b64 exec, exec, s[2:3]
	s_cbranch_execnz .LBB17_56
; %bb.57:
	s_or_b64 exec, exec, s[2:3]
.LBB17_58:
	s_or_b64 exec, exec, s[8:9]
	v_mov_b32_e32 v6, 0
	ds_read_b128 v[10:13], v6 offset:160
	s_waitcnt lgkmcnt(0)
	v_mul_f64 v[6:7], v[4:5], v[12:13]
	v_mul_f64 v[70:71], v[2:3], v[12:13]
	v_fma_f64 v[68:69], v[2:3], v[10:11], -v[6:7]
	v_fmac_f64_e32 v[70:71], v[4:5], v[10:11]
	scratch_store_dwordx4 off, v[68:71], off offset:160
.LBB17_59:
	s_or_b64 exec, exec, s[4:5]
	scratch_load_dwordx4 v[2:5], v58, off
	v_cmp_lt_u32_e64 s[2:3], 9, v0
	s_waitcnt vmcnt(0)
	ds_write_b128 v9, v[2:5]
	s_waitcnt lgkmcnt(0)
	; wave barrier
	s_waitcnt lgkmcnt(0)
	s_and_saveexec_b64 s[4:5], s[2:3]
	s_cbranch_execz .LBB17_67
; %bb.60:
	ds_read_b128 v[2:5], v9
	s_andn2_b64 vcc, exec, s[6:7]
	s_cbranch_vccnz .LBB17_62
; %bb.61:
	scratch_load_dwordx4 v[10:13], v8, off
	s_waitcnt vmcnt(0) lgkmcnt(0)
	v_mul_f64 v[6:7], v[4:5], v[12:13]
	v_mul_f64 v[12:13], v[2:3], v[12:13]
	v_fmac_f64_e32 v[12:13], v[4:5], v[10:11]
	v_fma_f64 v[2:3], v[2:3], v[10:11], -v[6:7]
	v_mov_b64_e32 v[4:5], v[12:13]
.LBB17_62:
	s_and_saveexec_b64 s[8:9], s[0:1]
	s_cbranch_execz .LBB17_66
; %bb.63:
	v_mov_b32_e32 v7, 0
	v_add_u32_e32 v6, -10, v0
	v_add_u32_e32 v7, 0xa8, v7
	s_movk_i32 s10, 0x1c0
	s_mov_b64 s[0:1], 0
.LBB17_64:                              ; =>This Inner Loop Header: Depth=1
	v_add_u32_e32 v10, -8, v7
	scratch_load_dwordx4 v[10:13], v10, off
	v_mov_b32_e32 v67, s10
	ds_read_b128 v[68:71], v67
	v_add_u32_e32 v6, -1, v6
	s_add_i32 s10, s10, 16
	v_cmp_eq_u32_e32 vcc, 0, v6
	v_add_u32_e32 v7, 16, v7
	s_or_b64 s[0:1], vcc, s[0:1]
	s_waitcnt vmcnt(0) lgkmcnt(0)
	v_mul_f64 v[72:73], v[70:71], v[12:13]
	v_mul_f64 v[12:13], v[68:69], v[12:13]
	v_fma_f64 v[68:69], v[68:69], v[10:11], -v[72:73]
	v_fmac_f64_e32 v[12:13], v[70:71], v[10:11]
	v_add_f64 v[2:3], v[2:3], v[68:69]
	v_add_f64 v[4:5], v[4:5], v[12:13]
	s_andn2_b64 exec, exec, s[0:1]
	s_cbranch_execnz .LBB17_64
; %bb.65:
	s_or_b64 exec, exec, s[0:1]
.LBB17_66:
	s_or_b64 exec, exec, s[8:9]
	v_mov_b32_e32 v6, 0
	ds_read_b128 v[10:13], v6 offset:144
	s_waitcnt lgkmcnt(0)
	v_mul_f64 v[6:7], v[4:5], v[12:13]
	v_mul_f64 v[70:71], v[2:3], v[12:13]
	v_fma_f64 v[68:69], v[2:3], v[10:11], -v[6:7]
	v_fmac_f64_e32 v[70:71], v[4:5], v[10:11]
	scratch_store_dwordx4 off, v[68:71], off offset:144
.LBB17_67:
	s_or_b64 exec, exec, s[4:5]
	scratch_load_dwordx4 v[2:5], v59, off
	v_cmp_lt_u32_e64 s[0:1], 8, v0
	s_waitcnt vmcnt(0)
	ds_write_b128 v9, v[2:5]
	s_waitcnt lgkmcnt(0)
	; wave barrier
	s_waitcnt lgkmcnt(0)
	s_and_saveexec_b64 s[4:5], s[0:1]
	s_cbranch_execz .LBB17_75
; %bb.68:
	ds_read_b128 v[2:5], v9
	s_andn2_b64 vcc, exec, s[6:7]
	s_cbranch_vccnz .LBB17_70
; %bb.69:
	scratch_load_dwordx4 v[10:13], v8, off
	s_waitcnt vmcnt(0) lgkmcnt(0)
	v_mul_f64 v[6:7], v[4:5], v[12:13]
	v_mul_f64 v[12:13], v[2:3], v[12:13]
	v_fmac_f64_e32 v[12:13], v[4:5], v[10:11]
	v_fma_f64 v[2:3], v[2:3], v[10:11], -v[6:7]
	v_mov_b64_e32 v[4:5], v[12:13]
.LBB17_70:
	s_and_saveexec_b64 s[8:9], s[2:3]
	s_cbranch_execz .LBB17_74
; %bb.71:
	v_mov_b32_e32 v7, 0
	v_add_u32_e32 v6, -9, v0
	v_add_u32_e32 v7, 0x98, v7
	s_movk_i32 s10, 0x1b0
	s_mov_b64 s[2:3], 0
.LBB17_72:                              ; =>This Inner Loop Header: Depth=1
	v_add_u32_e32 v10, -8, v7
	scratch_load_dwordx4 v[10:13], v10, off
	v_mov_b32_e32 v67, s10
	ds_read_b128 v[68:71], v67
	v_add_u32_e32 v6, -1, v6
	s_add_i32 s10, s10, 16
	v_cmp_eq_u32_e32 vcc, 0, v6
	v_add_u32_e32 v7, 16, v7
	s_or_b64 s[2:3], vcc, s[2:3]
	s_waitcnt vmcnt(0) lgkmcnt(0)
	v_mul_f64 v[72:73], v[70:71], v[12:13]
	v_mul_f64 v[12:13], v[68:69], v[12:13]
	v_fma_f64 v[68:69], v[68:69], v[10:11], -v[72:73]
	v_fmac_f64_e32 v[12:13], v[70:71], v[10:11]
	v_add_f64 v[2:3], v[2:3], v[68:69]
	v_add_f64 v[4:5], v[4:5], v[12:13]
	s_andn2_b64 exec, exec, s[2:3]
	s_cbranch_execnz .LBB17_72
; %bb.73:
	s_or_b64 exec, exec, s[2:3]
.LBB17_74:
	s_or_b64 exec, exec, s[8:9]
	v_mov_b32_e32 v6, 0
	ds_read_b128 v[10:13], v6 offset:128
	s_waitcnt lgkmcnt(0)
	v_mul_f64 v[6:7], v[4:5], v[12:13]
	v_mul_f64 v[70:71], v[2:3], v[12:13]
	v_fma_f64 v[68:69], v[2:3], v[10:11], -v[6:7]
	v_fmac_f64_e32 v[70:71], v[4:5], v[10:11]
	scratch_store_dwordx4 off, v[68:71], off offset:128
.LBB17_75:
	s_or_b64 exec, exec, s[4:5]
	scratch_load_dwordx4 v[2:5], v60, off
	v_cmp_lt_u32_e64 s[2:3], 7, v0
	s_waitcnt vmcnt(0)
	ds_write_b128 v9, v[2:5]
	s_waitcnt lgkmcnt(0)
	; wave barrier
	s_waitcnt lgkmcnt(0)
	s_and_saveexec_b64 s[4:5], s[2:3]
	s_cbranch_execz .LBB17_83
; %bb.76:
	ds_read_b128 v[2:5], v9
	s_andn2_b64 vcc, exec, s[6:7]
	s_cbranch_vccnz .LBB17_78
; %bb.77:
	scratch_load_dwordx4 v[10:13], v8, off
	s_waitcnt vmcnt(0) lgkmcnt(0)
	v_mul_f64 v[6:7], v[4:5], v[12:13]
	v_mul_f64 v[12:13], v[2:3], v[12:13]
	v_fmac_f64_e32 v[12:13], v[4:5], v[10:11]
	v_fma_f64 v[2:3], v[2:3], v[10:11], -v[6:7]
	v_mov_b64_e32 v[4:5], v[12:13]
.LBB17_78:
	s_and_saveexec_b64 s[8:9], s[0:1]
	s_cbranch_execz .LBB17_82
; %bb.79:
	v_mov_b32_e32 v7, 0
	v_add_u32_e32 v6, -8, v0
	v_add_u32_e32 v7, 0x88, v7
	s_movk_i32 s10, 0x1a0
	s_mov_b64 s[0:1], 0
.LBB17_80:                              ; =>This Inner Loop Header: Depth=1
	v_add_u32_e32 v10, -8, v7
	scratch_load_dwordx4 v[10:13], v10, off
	v_mov_b32_e32 v67, s10
	ds_read_b128 v[68:71], v67
	v_add_u32_e32 v6, -1, v6
	s_add_i32 s10, s10, 16
	v_cmp_eq_u32_e32 vcc, 0, v6
	v_add_u32_e32 v7, 16, v7
	s_or_b64 s[0:1], vcc, s[0:1]
	s_waitcnt vmcnt(0) lgkmcnt(0)
	v_mul_f64 v[72:73], v[70:71], v[12:13]
	v_mul_f64 v[12:13], v[68:69], v[12:13]
	v_fma_f64 v[68:69], v[68:69], v[10:11], -v[72:73]
	v_fmac_f64_e32 v[12:13], v[70:71], v[10:11]
	v_add_f64 v[2:3], v[2:3], v[68:69]
	v_add_f64 v[4:5], v[4:5], v[12:13]
	s_andn2_b64 exec, exec, s[0:1]
	s_cbranch_execnz .LBB17_80
; %bb.81:
	s_or_b64 exec, exec, s[0:1]
.LBB17_82:
	s_or_b64 exec, exec, s[8:9]
	v_mov_b32_e32 v6, 0
	ds_read_b128 v[10:13], v6 offset:112
	s_waitcnt lgkmcnt(0)
	v_mul_f64 v[6:7], v[4:5], v[12:13]
	v_mul_f64 v[70:71], v[2:3], v[12:13]
	v_fma_f64 v[68:69], v[2:3], v[10:11], -v[6:7]
	v_fmac_f64_e32 v[70:71], v[4:5], v[10:11]
	scratch_store_dwordx4 off, v[68:71], off offset:112
.LBB17_83:
	s_or_b64 exec, exec, s[4:5]
	scratch_load_dwordx4 v[2:5], v61, off
	v_cmp_lt_u32_e64 s[0:1], 6, v0
	s_waitcnt vmcnt(0)
	ds_write_b128 v9, v[2:5]
	s_waitcnt lgkmcnt(0)
	; wave barrier
	s_waitcnt lgkmcnt(0)
	s_and_saveexec_b64 s[4:5], s[0:1]
	s_cbranch_execz .LBB17_91
; %bb.84:
	ds_read_b128 v[2:5], v9
	s_andn2_b64 vcc, exec, s[6:7]
	s_cbranch_vccnz .LBB17_86
; %bb.85:
	scratch_load_dwordx4 v[10:13], v8, off
	s_waitcnt vmcnt(0) lgkmcnt(0)
	v_mul_f64 v[6:7], v[4:5], v[12:13]
	v_mul_f64 v[12:13], v[2:3], v[12:13]
	v_fmac_f64_e32 v[12:13], v[4:5], v[10:11]
	v_fma_f64 v[2:3], v[2:3], v[10:11], -v[6:7]
	v_mov_b64_e32 v[4:5], v[12:13]
.LBB17_86:
	s_and_saveexec_b64 s[8:9], s[2:3]
	s_cbranch_execz .LBB17_90
; %bb.87:
	v_mov_b32_e32 v7, 0
	v_add_u32_e32 v6, -7, v0
	v_add_u32_e32 v7, 0x78, v7
	s_movk_i32 s10, 0x190
	s_mov_b64 s[2:3], 0
.LBB17_88:                              ; =>This Inner Loop Header: Depth=1
	v_add_u32_e32 v10, -8, v7
	scratch_load_dwordx4 v[10:13], v10, off
	v_mov_b32_e32 v67, s10
	ds_read_b128 v[68:71], v67
	v_add_u32_e32 v6, -1, v6
	s_add_i32 s10, s10, 16
	v_cmp_eq_u32_e32 vcc, 0, v6
	v_add_u32_e32 v7, 16, v7
	s_or_b64 s[2:3], vcc, s[2:3]
	s_waitcnt vmcnt(0) lgkmcnt(0)
	v_mul_f64 v[72:73], v[70:71], v[12:13]
	v_mul_f64 v[12:13], v[68:69], v[12:13]
	v_fma_f64 v[68:69], v[68:69], v[10:11], -v[72:73]
	v_fmac_f64_e32 v[12:13], v[70:71], v[10:11]
	v_add_f64 v[2:3], v[2:3], v[68:69]
	v_add_f64 v[4:5], v[4:5], v[12:13]
	s_andn2_b64 exec, exec, s[2:3]
	s_cbranch_execnz .LBB17_88
; %bb.89:
	s_or_b64 exec, exec, s[2:3]
.LBB17_90:
	s_or_b64 exec, exec, s[8:9]
	v_mov_b32_e32 v6, 0
	ds_read_b128 v[10:13], v6 offset:96
	s_waitcnt lgkmcnt(0)
	v_mul_f64 v[6:7], v[4:5], v[12:13]
	v_mul_f64 v[70:71], v[2:3], v[12:13]
	v_fma_f64 v[68:69], v[2:3], v[10:11], -v[6:7]
	v_fmac_f64_e32 v[70:71], v[4:5], v[10:11]
	scratch_store_dwordx4 off, v[68:71], off offset:96
.LBB17_91:
	s_or_b64 exec, exec, s[4:5]
	scratch_load_dwordx4 v[2:5], v66, off
	v_cmp_lt_u32_e64 s[2:3], 5, v0
	s_waitcnt vmcnt(0)
	ds_write_b128 v9, v[2:5]
	s_waitcnt lgkmcnt(0)
	; wave barrier
	s_waitcnt lgkmcnt(0)
	s_and_saveexec_b64 s[4:5], s[2:3]
	s_cbranch_execz .LBB17_99
; %bb.92:
	ds_read_b128 v[2:5], v9
	s_andn2_b64 vcc, exec, s[6:7]
	s_cbranch_vccnz .LBB17_94
; %bb.93:
	scratch_load_dwordx4 v[10:13], v8, off
	s_waitcnt vmcnt(0) lgkmcnt(0)
	v_mul_f64 v[6:7], v[4:5], v[12:13]
	v_mul_f64 v[12:13], v[2:3], v[12:13]
	v_fmac_f64_e32 v[12:13], v[4:5], v[10:11]
	v_fma_f64 v[2:3], v[2:3], v[10:11], -v[6:7]
	v_mov_b64_e32 v[4:5], v[12:13]
.LBB17_94:
	s_and_saveexec_b64 s[8:9], s[0:1]
	s_cbranch_execz .LBB17_98
; %bb.95:
	v_mov_b32_e32 v7, 0
	v_add_u32_e32 v6, -6, v0
	v_add_u32_e32 v7, 0x68, v7
	s_movk_i32 s10, 0x180
	s_mov_b64 s[0:1], 0
.LBB17_96:                              ; =>This Inner Loop Header: Depth=1
	v_add_u32_e32 v10, -8, v7
	scratch_load_dwordx4 v[10:13], v10, off
	v_mov_b32_e32 v67, s10
	ds_read_b128 v[68:71], v67
	v_add_u32_e32 v6, -1, v6
	s_add_i32 s10, s10, 16
	v_cmp_eq_u32_e32 vcc, 0, v6
	v_add_u32_e32 v7, 16, v7
	s_or_b64 s[0:1], vcc, s[0:1]
	s_waitcnt vmcnt(0) lgkmcnt(0)
	v_mul_f64 v[72:73], v[70:71], v[12:13]
	v_mul_f64 v[12:13], v[68:69], v[12:13]
	v_fma_f64 v[68:69], v[68:69], v[10:11], -v[72:73]
	v_fmac_f64_e32 v[12:13], v[70:71], v[10:11]
	v_add_f64 v[2:3], v[2:3], v[68:69]
	v_add_f64 v[4:5], v[4:5], v[12:13]
	s_andn2_b64 exec, exec, s[0:1]
	s_cbranch_execnz .LBB17_96
; %bb.97:
	s_or_b64 exec, exec, s[0:1]
.LBB17_98:
	s_or_b64 exec, exec, s[8:9]
	v_mov_b32_e32 v6, 0
	ds_read_b128 v[10:13], v6 offset:80
	s_waitcnt lgkmcnt(0)
	v_mul_f64 v[6:7], v[4:5], v[12:13]
	v_mul_f64 v[70:71], v[2:3], v[12:13]
	v_fma_f64 v[68:69], v[2:3], v[10:11], -v[6:7]
	v_fmac_f64_e32 v[70:71], v[4:5], v[10:11]
	scratch_store_dwordx4 off, v[68:71], off offset:80
.LBB17_99:
	s_or_b64 exec, exec, s[4:5]
	scratch_load_dwordx4 v[2:5], v63, off
	v_cmp_lt_u32_e64 s[0:1], 4, v0
	s_waitcnt vmcnt(0)
	ds_write_b128 v9, v[2:5]
	s_waitcnt lgkmcnt(0)
	; wave barrier
	s_waitcnt lgkmcnt(0)
	s_and_saveexec_b64 s[4:5], s[0:1]
	s_cbranch_execz .LBB17_107
; %bb.100:
	ds_read_b128 v[2:5], v9
	s_andn2_b64 vcc, exec, s[6:7]
	s_cbranch_vccnz .LBB17_102
; %bb.101:
	scratch_load_dwordx4 v[10:13], v8, off
	s_waitcnt vmcnt(0) lgkmcnt(0)
	v_mul_f64 v[6:7], v[4:5], v[12:13]
	v_mul_f64 v[12:13], v[2:3], v[12:13]
	v_fmac_f64_e32 v[12:13], v[4:5], v[10:11]
	v_fma_f64 v[2:3], v[2:3], v[10:11], -v[6:7]
	v_mov_b64_e32 v[4:5], v[12:13]
.LBB17_102:
	s_and_saveexec_b64 s[8:9], s[2:3]
	s_cbranch_execz .LBB17_106
; %bb.103:
	v_mov_b32_e32 v7, 0
	v_add_u32_e32 v6, -5, v0
	v_add_u32_e32 v7, 0x58, v7
	s_movk_i32 s10, 0x170
	s_mov_b64 s[2:3], 0
.LBB17_104:                             ; =>This Inner Loop Header: Depth=1
	v_add_u32_e32 v10, -8, v7
	scratch_load_dwordx4 v[10:13], v10, off
	v_mov_b32_e32 v67, s10
	ds_read_b128 v[68:71], v67
	v_add_u32_e32 v6, -1, v6
	s_add_i32 s10, s10, 16
	v_cmp_eq_u32_e32 vcc, 0, v6
	v_add_u32_e32 v7, 16, v7
	s_or_b64 s[2:3], vcc, s[2:3]
	s_waitcnt vmcnt(0) lgkmcnt(0)
	v_mul_f64 v[72:73], v[70:71], v[12:13]
	v_mul_f64 v[12:13], v[68:69], v[12:13]
	v_fma_f64 v[68:69], v[68:69], v[10:11], -v[72:73]
	v_fmac_f64_e32 v[12:13], v[70:71], v[10:11]
	v_add_f64 v[2:3], v[2:3], v[68:69]
	v_add_f64 v[4:5], v[4:5], v[12:13]
	s_andn2_b64 exec, exec, s[2:3]
	s_cbranch_execnz .LBB17_104
; %bb.105:
	s_or_b64 exec, exec, s[2:3]
.LBB17_106:
	s_or_b64 exec, exec, s[8:9]
	v_mov_b32_e32 v6, 0
	ds_read_b128 v[10:13], v6 offset:64
	s_waitcnt lgkmcnt(0)
	v_mul_f64 v[6:7], v[4:5], v[12:13]
	v_mul_f64 v[70:71], v[2:3], v[12:13]
	v_fma_f64 v[68:69], v[2:3], v[10:11], -v[6:7]
	v_fmac_f64_e32 v[70:71], v[4:5], v[10:11]
	scratch_store_dwordx4 off, v[68:71], off offset:64
.LBB17_107:
	s_or_b64 exec, exec, s[4:5]
	scratch_load_dwordx4 v[2:5], v65, off
	v_cmp_lt_u32_e64 s[2:3], 3, v0
	s_waitcnt vmcnt(0)
	ds_write_b128 v9, v[2:5]
	s_waitcnt lgkmcnt(0)
	; wave barrier
	s_waitcnt lgkmcnt(0)
	s_and_saveexec_b64 s[4:5], s[2:3]
	s_cbranch_execz .LBB17_115
; %bb.108:
	ds_read_b128 v[2:5], v9
	s_andn2_b64 vcc, exec, s[6:7]
	s_cbranch_vccnz .LBB17_110
; %bb.109:
	scratch_load_dwordx4 v[10:13], v8, off
	s_waitcnt vmcnt(0) lgkmcnt(0)
	v_mul_f64 v[6:7], v[4:5], v[12:13]
	v_mul_f64 v[12:13], v[2:3], v[12:13]
	v_fmac_f64_e32 v[12:13], v[4:5], v[10:11]
	v_fma_f64 v[2:3], v[2:3], v[10:11], -v[6:7]
	v_mov_b64_e32 v[4:5], v[12:13]
.LBB17_110:
	s_and_saveexec_b64 s[8:9], s[0:1]
	s_cbranch_execz .LBB17_114
; %bb.111:
	v_mov_b32_e32 v7, 0
	v_add_u32_e32 v6, -4, v0
	v_add_u32_e32 v7, 0x48, v7
	s_movk_i32 s10, 0x160
	s_mov_b64 s[0:1], 0
.LBB17_112:                             ; =>This Inner Loop Header: Depth=1
	v_add_u32_e32 v10, -8, v7
	scratch_load_dwordx4 v[10:13], v10, off
	v_mov_b32_e32 v67, s10
	ds_read_b128 v[68:71], v67
	v_add_u32_e32 v6, -1, v6
	s_add_i32 s10, s10, 16
	v_cmp_eq_u32_e32 vcc, 0, v6
	v_add_u32_e32 v7, 16, v7
	s_or_b64 s[0:1], vcc, s[0:1]
	s_waitcnt vmcnt(0) lgkmcnt(0)
	v_mul_f64 v[72:73], v[70:71], v[12:13]
	v_mul_f64 v[12:13], v[68:69], v[12:13]
	v_fma_f64 v[68:69], v[68:69], v[10:11], -v[72:73]
	v_fmac_f64_e32 v[12:13], v[70:71], v[10:11]
	v_add_f64 v[2:3], v[2:3], v[68:69]
	v_add_f64 v[4:5], v[4:5], v[12:13]
	s_andn2_b64 exec, exec, s[0:1]
	s_cbranch_execnz .LBB17_112
; %bb.113:
	s_or_b64 exec, exec, s[0:1]
.LBB17_114:
	s_or_b64 exec, exec, s[8:9]
	v_mov_b32_e32 v6, 0
	ds_read_b128 v[10:13], v6 offset:48
	s_waitcnt lgkmcnt(0)
	v_mul_f64 v[6:7], v[4:5], v[12:13]
	v_mul_f64 v[70:71], v[2:3], v[12:13]
	v_fma_f64 v[68:69], v[2:3], v[10:11], -v[6:7]
	v_fmac_f64_e32 v[70:71], v[4:5], v[10:11]
	scratch_store_dwordx4 off, v[68:71], off offset:48
.LBB17_115:
	;; [unrolled: 63-line block ×4, first 2 shown]
	s_or_b64 exec, exec, s[2:3]
	scratch_load_dwordx4 v[2:5], off, off
	v_cmp_ne_u32_e32 vcc, 0, v0
	s_mov_b64 s[2:3], 0
	s_mov_b64 s[4:5], 0
                                        ; implicit-def: $vgpr6_vgpr7
                                        ; implicit-def: $vgpr10
	s_waitcnt vmcnt(0)
	ds_write_b128 v9, v[2:5]
	s_waitcnt lgkmcnt(0)
	; wave barrier
	s_waitcnt lgkmcnt(0)
	s_and_saveexec_b64 s[8:9], vcc
	s_cbranch_execz .LBB17_139
; %bb.132:
	ds_read_b128 v[2:5], v9
	s_andn2_b64 vcc, exec, s[6:7]
	s_cbranch_vccnz .LBB17_134
; %bb.133:
	scratch_load_dwordx4 v[10:13], v8, off
	s_waitcnt vmcnt(0) lgkmcnt(0)
	v_mul_f64 v[6:7], v[4:5], v[12:13]
	v_mul_f64 v[12:13], v[2:3], v[12:13]
	v_fmac_f64_e32 v[12:13], v[4:5], v[10:11]
	v_fma_f64 v[2:3], v[2:3], v[10:11], -v[6:7]
	v_mov_b64_e32 v[4:5], v[12:13]
.LBB17_134:
	s_and_saveexec_b64 s[4:5], s[0:1]
	s_cbranch_execz .LBB17_138
; %bb.135:
	v_mov_b32_e32 v7, 0
	v_add_u32_e32 v6, -1, v0
	v_add_u32_e32 v7, 24, v7
	s_movk_i32 s10, 0x130
	s_mov_b64 s[0:1], 0
.LBB17_136:                             ; =>This Inner Loop Header: Depth=1
	v_add_u32_e32 v10, -8, v7
	scratch_load_dwordx4 v[10:13], v10, off
	v_mov_b32_e32 v67, s10
	ds_read_b128 v[68:71], v67
	v_add_u32_e32 v6, -1, v6
	s_add_i32 s10, s10, 16
	v_cmp_eq_u32_e32 vcc, 0, v6
	v_add_u32_e32 v7, 16, v7
	s_or_b64 s[0:1], vcc, s[0:1]
	s_waitcnt vmcnt(0) lgkmcnt(0)
	v_mul_f64 v[72:73], v[70:71], v[12:13]
	v_mul_f64 v[12:13], v[68:69], v[12:13]
	v_fma_f64 v[68:69], v[68:69], v[10:11], -v[72:73]
	v_fmac_f64_e32 v[12:13], v[70:71], v[10:11]
	v_add_f64 v[2:3], v[2:3], v[68:69]
	v_add_f64 v[4:5], v[4:5], v[12:13]
	s_andn2_b64 exec, exec, s[0:1]
	s_cbranch_execnz .LBB17_136
; %bb.137:
	s_or_b64 exec, exec, s[0:1]
.LBB17_138:
	s_or_b64 exec, exec, s[4:5]
	v_mov_b32_e32 v6, 0
	ds_read_b128 v[68:71], v6
	v_mov_b32_e32 v6, 0
	v_or_b32_e32 v10, 8, v6
	s_mov_b64 s[4:5], exec
	s_waitcnt lgkmcnt(0)
	v_mul_f64 v[12:13], v[4:5], v[70:71]
	v_mul_f64 v[6:7], v[2:3], v[70:71]
	v_fma_f64 v[2:3], v[2:3], v[68:69], -v[12:13]
	v_fmac_f64_e32 v[6:7], v[4:5], v[68:69]
	scratch_store_dwordx2 off, v[2:3], off
.LBB17_139:
	s_or_b64 exec, exec, s[8:9]
	s_and_b64 vcc, exec, s[2:3]
	s_cbranch_vccnz .LBB17_141
	s_branch .LBB17_272
.LBB17_140:
	s_mov_b64 s[4:5], 0
                                        ; implicit-def: $vgpr6_vgpr7
                                        ; implicit-def: $vgpr10
	s_cbranch_execz .LBB17_272
.LBB17_141:
	scratch_load_dwordx4 v[2:5], v64, off
	v_cndmask_b32_e64 v6, 0, 1, s[6:7]
	v_cmp_eq_u32_e64 s[2:3], 0, v0
	v_cmp_ne_u32_e64 s[0:1], 1, v6
	s_waitcnt vmcnt(0)
	ds_write_b128 v9, v[2:5]
	s_waitcnt lgkmcnt(0)
	; wave barrier
	s_waitcnt lgkmcnt(0)
	s_and_saveexec_b64 s[6:7], s[2:3]
	s_cbranch_execz .LBB17_145
; %bb.142:
	ds_read_b128 v[2:5], v9
	s_and_b64 vcc, exec, s[0:1]
	s_cbranch_vccnz .LBB17_144
; %bb.143:
	scratch_load_dwordx4 v[10:13], v8, off
	s_waitcnt vmcnt(0) lgkmcnt(0)
	v_mul_f64 v[6:7], v[4:5], v[12:13]
	v_mul_f64 v[12:13], v[2:3], v[12:13]
	v_fmac_f64_e32 v[12:13], v[4:5], v[10:11]
	v_fma_f64 v[2:3], v[2:3], v[10:11], -v[6:7]
	v_mov_b64_e32 v[4:5], v[12:13]
.LBB17_144:
	v_mov_b32_e32 v6, 0
	ds_read_b128 v[10:13], v6 offset:16
	s_waitcnt lgkmcnt(0)
	v_mul_f64 v[6:7], v[4:5], v[12:13]
	v_mul_f64 v[70:71], v[2:3], v[12:13]
	v_fma_f64 v[68:69], v[2:3], v[10:11], -v[6:7]
	v_fmac_f64_e32 v[70:71], v[4:5], v[10:11]
	scratch_store_dwordx4 off, v[68:71], off offset:16
.LBB17_145:
	s_or_b64 exec, exec, s[6:7]
	scratch_load_dwordx4 v[2:5], v62, off
	v_cmp_gt_u32_e32 vcc, 2, v0
	s_waitcnt vmcnt(0)
	ds_write_b128 v9, v[2:5]
	s_waitcnt lgkmcnt(0)
	; wave barrier
	s_waitcnt lgkmcnt(0)
	s_and_saveexec_b64 s[6:7], vcc
	s_cbranch_execz .LBB17_151
; %bb.146:
	ds_read_b128 v[2:5], v9
	s_and_b64 vcc, exec, s[0:1]
	s_cbranch_vccnz .LBB17_148
; %bb.147:
	scratch_load_dwordx4 v[10:13], v8, off
	s_waitcnt vmcnt(0) lgkmcnt(0)
	v_mul_f64 v[6:7], v[4:5], v[12:13]
	v_mul_f64 v[12:13], v[2:3], v[12:13]
	v_fmac_f64_e32 v[12:13], v[4:5], v[10:11]
	v_fma_f64 v[2:3], v[2:3], v[10:11], -v[6:7]
	v_mov_b64_e32 v[4:5], v[12:13]
.LBB17_148:
	s_and_saveexec_b64 s[8:9], s[2:3]
	s_cbranch_execz .LBB17_150
; %bb.149:
	scratch_load_dwordx4 v[10:13], v8, off offset:16
	ds_read_b128 v[68:71], v9 offset:16
	s_waitcnt vmcnt(0) lgkmcnt(0)
	v_mul_f64 v[6:7], v[70:71], v[12:13]
	v_mul_f64 v[12:13], v[68:69], v[12:13]
	v_fma_f64 v[6:7], v[68:69], v[10:11], -v[6:7]
	v_fmac_f64_e32 v[12:13], v[70:71], v[10:11]
	v_add_f64 v[2:3], v[2:3], v[6:7]
	v_add_f64 v[4:5], v[4:5], v[12:13]
.LBB17_150:
	s_or_b64 exec, exec, s[8:9]
	v_mov_b32_e32 v6, 0
	ds_read_b128 v[10:13], v6 offset:32
	s_waitcnt lgkmcnt(0)
	v_mul_f64 v[6:7], v[4:5], v[12:13]
	v_mul_f64 v[70:71], v[2:3], v[12:13]
	v_fma_f64 v[68:69], v[2:3], v[10:11], -v[6:7]
	v_fmac_f64_e32 v[70:71], v[4:5], v[10:11]
	scratch_store_dwordx4 off, v[68:71], off offset:32
.LBB17_151:
	s_or_b64 exec, exec, s[6:7]
	scratch_load_dwordx4 v[2:5], v65, off
	v_cmp_gt_u32_e32 vcc, 3, v0
	s_waitcnt vmcnt(0)
	ds_write_b128 v9, v[2:5]
	s_waitcnt lgkmcnt(0)
	; wave barrier
	s_waitcnt lgkmcnt(0)
	s_and_saveexec_b64 s[6:7], vcc
	s_cbranch_execz .LBB17_159
; %bb.152:
	ds_read_b128 v[2:5], v9
	s_and_b64 vcc, exec, s[0:1]
	s_cbranch_vccnz .LBB17_154
; %bb.153:
	scratch_load_dwordx4 v[10:13], v8, off
	s_waitcnt vmcnt(0) lgkmcnt(0)
	v_mul_f64 v[6:7], v[4:5], v[12:13]
	v_mul_f64 v[12:13], v[2:3], v[12:13]
	v_fmac_f64_e32 v[12:13], v[4:5], v[10:11]
	v_fma_f64 v[2:3], v[2:3], v[10:11], -v[6:7]
	v_mov_b64_e32 v[4:5], v[12:13]
.LBB17_154:
	v_cmp_ne_u32_e32 vcc, 2, v0
	s_and_saveexec_b64 s[8:9], vcc
	s_cbranch_execz .LBB17_158
; %bb.155:
	scratch_load_dwordx4 v[10:13], v8, off offset:16
	ds_read_b128 v[68:71], v9 offset:16
	s_waitcnt vmcnt(0) lgkmcnt(0)
	v_mul_f64 v[6:7], v[70:71], v[12:13]
	v_mul_f64 v[12:13], v[68:69], v[12:13]
	v_fma_f64 v[6:7], v[68:69], v[10:11], -v[6:7]
	v_fmac_f64_e32 v[12:13], v[70:71], v[10:11]
	v_add_f64 v[2:3], v[2:3], v[6:7]
	v_add_f64 v[4:5], v[4:5], v[12:13]
	s_and_saveexec_b64 s[10:11], s[2:3]
	s_cbranch_execz .LBB17_157
; %bb.156:
	scratch_load_dwordx4 v[10:13], off, off offset:32
	v_mov_b32_e32 v6, 0
	ds_read_b128 v[68:71], v6 offset:320
	s_waitcnt vmcnt(0) lgkmcnt(0)
	v_mul_f64 v[6:7], v[68:69], v[12:13]
	v_mul_f64 v[12:13], v[70:71], v[12:13]
	v_fmac_f64_e32 v[6:7], v[70:71], v[10:11]
	v_fma_f64 v[10:11], v[68:69], v[10:11], -v[12:13]
	v_add_f64 v[4:5], v[4:5], v[6:7]
	v_add_f64 v[2:3], v[2:3], v[10:11]
.LBB17_157:
	s_or_b64 exec, exec, s[10:11]
.LBB17_158:
	s_or_b64 exec, exec, s[8:9]
	v_mov_b32_e32 v6, 0
	ds_read_b128 v[10:13], v6 offset:48
	s_waitcnt lgkmcnt(0)
	v_mul_f64 v[6:7], v[4:5], v[12:13]
	v_mul_f64 v[70:71], v[2:3], v[12:13]
	v_fma_f64 v[68:69], v[2:3], v[10:11], -v[6:7]
	v_fmac_f64_e32 v[70:71], v[4:5], v[10:11]
	scratch_store_dwordx4 off, v[68:71], off offset:48
.LBB17_159:
	s_or_b64 exec, exec, s[6:7]
	scratch_load_dwordx4 v[2:5], v63, off
	v_cmp_gt_u32_e32 vcc, 4, v0
	s_waitcnt vmcnt(0)
	ds_write_b128 v9, v[2:5]
	s_waitcnt lgkmcnt(0)
	; wave barrier
	s_waitcnt lgkmcnt(0)
	s_and_saveexec_b64 s[2:3], vcc
	s_cbranch_execz .LBB17_167
; %bb.160:
	ds_read_b128 v[2:5], v9
	s_and_b64 vcc, exec, s[0:1]
	s_cbranch_vccnz .LBB17_162
; %bb.161:
	scratch_load_dwordx4 v[10:13], v8, off
	s_waitcnt vmcnt(0) lgkmcnt(0)
	v_mul_f64 v[6:7], v[4:5], v[12:13]
	v_mul_f64 v[12:13], v[2:3], v[12:13]
	v_fmac_f64_e32 v[12:13], v[4:5], v[10:11]
	v_fma_f64 v[2:3], v[2:3], v[10:11], -v[6:7]
	v_mov_b64_e32 v[4:5], v[12:13]
.LBB17_162:
	v_cmp_ne_u32_e32 vcc, 3, v0
	s_and_saveexec_b64 s[6:7], vcc
	s_cbranch_execz .LBB17_166
; %bb.163:
	v_mov_b32_e32 v7, 0
	v_add_u32_e32 v6, 0x130, v42
	v_add3_u32 v7, v42, v7, 24
	s_mov_b64 s[8:9], 0
	v_mov_b32_e32 v10, v0
.LBB17_164:                             ; =>This Inner Loop Header: Depth=1
	v_add_u32_e32 v11, -8, v7
	scratch_load_dwordx4 v[68:71], v11, off
	ds_read_b128 v[72:75], v6
	v_add_u32_e32 v10, 1, v10
	v_cmp_lt_u32_e32 vcc, 2, v10
	v_add_u32_e32 v6, 16, v6
	v_add_u32_e32 v7, 16, v7
	s_or_b64 s[8:9], vcc, s[8:9]
	s_waitcnt vmcnt(0) lgkmcnt(0)
	v_mul_f64 v[12:13], v[74:75], v[70:71]
	v_mul_f64 v[70:71], v[72:73], v[70:71]
	v_fma_f64 v[12:13], v[72:73], v[68:69], -v[12:13]
	v_fmac_f64_e32 v[70:71], v[74:75], v[68:69]
	v_add_f64 v[2:3], v[2:3], v[12:13]
	v_add_f64 v[4:5], v[4:5], v[70:71]
	s_andn2_b64 exec, exec, s[8:9]
	s_cbranch_execnz .LBB17_164
; %bb.165:
	s_or_b64 exec, exec, s[8:9]
.LBB17_166:
	s_or_b64 exec, exec, s[6:7]
	v_mov_b32_e32 v6, 0
	ds_read_b128 v[10:13], v6 offset:64
	s_waitcnt lgkmcnt(0)
	v_mul_f64 v[6:7], v[4:5], v[12:13]
	v_mul_f64 v[70:71], v[2:3], v[12:13]
	v_fma_f64 v[68:69], v[2:3], v[10:11], -v[6:7]
	v_fmac_f64_e32 v[70:71], v[4:5], v[10:11]
	scratch_store_dwordx4 off, v[68:71], off offset:64
.LBB17_167:
	s_or_b64 exec, exec, s[2:3]
	scratch_load_dwordx4 v[2:5], v66, off
	v_cmp_gt_u32_e32 vcc, 5, v0
	s_waitcnt vmcnt(0)
	ds_write_b128 v9, v[2:5]
	s_waitcnt lgkmcnt(0)
	; wave barrier
	s_waitcnt lgkmcnt(0)
	s_and_saveexec_b64 s[2:3], vcc
	s_cbranch_execz .LBB17_175
; %bb.168:
	ds_read_b128 v[2:5], v9
	s_and_b64 vcc, exec, s[0:1]
	s_cbranch_vccnz .LBB17_170
; %bb.169:
	scratch_load_dwordx4 v[10:13], v8, off
	s_waitcnt vmcnt(0) lgkmcnt(0)
	v_mul_f64 v[6:7], v[4:5], v[12:13]
	v_mul_f64 v[12:13], v[2:3], v[12:13]
	v_fmac_f64_e32 v[12:13], v[4:5], v[10:11]
	v_fma_f64 v[2:3], v[2:3], v[10:11], -v[6:7]
	v_mov_b64_e32 v[4:5], v[12:13]
.LBB17_170:
	v_cmp_ne_u32_e32 vcc, 4, v0
	s_and_saveexec_b64 s[6:7], vcc
	s_cbranch_execz .LBB17_174
; %bb.171:
	v_mov_b32_e32 v7, 0
	v_add_u32_e32 v6, 0x130, v42
	v_add3_u32 v7, v42, v7, 24
	s_mov_b64 s[8:9], 0
	v_mov_b32_e32 v10, v0
.LBB17_172:                             ; =>This Inner Loop Header: Depth=1
	v_add_u32_e32 v11, -8, v7
	scratch_load_dwordx4 v[68:71], v11, off
	ds_read_b128 v[72:75], v6
	v_add_u32_e32 v10, 1, v10
	v_cmp_lt_u32_e32 vcc, 3, v10
	v_add_u32_e32 v6, 16, v6
	v_add_u32_e32 v7, 16, v7
	s_or_b64 s[8:9], vcc, s[8:9]
	s_waitcnt vmcnt(0) lgkmcnt(0)
	v_mul_f64 v[12:13], v[74:75], v[70:71]
	v_mul_f64 v[70:71], v[72:73], v[70:71]
	v_fma_f64 v[12:13], v[72:73], v[68:69], -v[12:13]
	v_fmac_f64_e32 v[70:71], v[74:75], v[68:69]
	v_add_f64 v[2:3], v[2:3], v[12:13]
	v_add_f64 v[4:5], v[4:5], v[70:71]
	s_andn2_b64 exec, exec, s[8:9]
	s_cbranch_execnz .LBB17_172
; %bb.173:
	s_or_b64 exec, exec, s[8:9]
.LBB17_174:
	s_or_b64 exec, exec, s[6:7]
	v_mov_b32_e32 v6, 0
	ds_read_b128 v[10:13], v6 offset:80
	s_waitcnt lgkmcnt(0)
	v_mul_f64 v[6:7], v[4:5], v[12:13]
	v_mul_f64 v[70:71], v[2:3], v[12:13]
	v_fma_f64 v[68:69], v[2:3], v[10:11], -v[6:7]
	v_fmac_f64_e32 v[70:71], v[4:5], v[10:11]
	scratch_store_dwordx4 off, v[68:71], off offset:80
.LBB17_175:
	;; [unrolled: 63-line block ×12, first 2 shown]
	s_or_b64 exec, exec, s[2:3]
	scratch_load_dwordx4 v[2:5], v1, off
	v_cmp_gt_u32_e64 s[2:3], 16, v0
	s_waitcnt vmcnt(0)
	ds_write_b128 v9, v[2:5]
	s_waitcnt lgkmcnt(0)
	; wave barrier
	s_waitcnt lgkmcnt(0)
	s_and_saveexec_b64 s[6:7], s[2:3]
	s_cbranch_execz .LBB17_263
; %bb.256:
	ds_read_b128 v[2:5], v9
	s_and_b64 vcc, exec, s[0:1]
	s_cbranch_vccnz .LBB17_258
; %bb.257:
	scratch_load_dwordx4 v[10:13], v8, off
	s_waitcnt vmcnt(0) lgkmcnt(0)
	v_mul_f64 v[6:7], v[4:5], v[12:13]
	v_mul_f64 v[12:13], v[2:3], v[12:13]
	v_fmac_f64_e32 v[12:13], v[4:5], v[10:11]
	v_fma_f64 v[2:3], v[2:3], v[10:11], -v[6:7]
	v_mov_b64_e32 v[4:5], v[12:13]
.LBB17_258:
	v_cmp_ne_u32_e32 vcc, 15, v0
	s_and_saveexec_b64 s[8:9], vcc
	s_cbranch_execz .LBB17_262
; %bb.259:
	v_mov_b32_e32 v7, 0
	v_add_u32_e32 v6, 0x130, v42
	v_add3_u32 v7, v42, v7, 24
	s_mov_b64 s[10:11], 0
	v_mov_b32_e32 v10, v0
.LBB17_260:                             ; =>This Inner Loop Header: Depth=1
	v_add_u32_e32 v11, -8, v7
	scratch_load_dwordx4 v[68:71], v11, off
	ds_read_b128 v[72:75], v6
	v_add_u32_e32 v10, 1, v10
	v_cmp_lt_u32_e32 vcc, 14, v10
	v_add_u32_e32 v6, 16, v6
	v_add_u32_e32 v7, 16, v7
	s_or_b64 s[10:11], vcc, s[10:11]
	s_waitcnt vmcnt(0) lgkmcnt(0)
	v_mul_f64 v[12:13], v[74:75], v[70:71]
	v_mul_f64 v[70:71], v[72:73], v[70:71]
	v_fma_f64 v[12:13], v[72:73], v[68:69], -v[12:13]
	v_fmac_f64_e32 v[70:71], v[74:75], v[68:69]
	v_add_f64 v[2:3], v[2:3], v[12:13]
	v_add_f64 v[4:5], v[4:5], v[70:71]
	s_andn2_b64 exec, exec, s[10:11]
	s_cbranch_execnz .LBB17_260
; %bb.261:
	s_or_b64 exec, exec, s[10:11]
.LBB17_262:
	s_or_b64 exec, exec, s[8:9]
	v_mov_b32_e32 v6, 0
	ds_read_b128 v[10:13], v6 offset:256
	s_waitcnt lgkmcnt(0)
	v_mul_f64 v[6:7], v[4:5], v[12:13]
	v_mul_f64 v[70:71], v[2:3], v[12:13]
	v_fma_f64 v[68:69], v[2:3], v[10:11], -v[6:7]
	v_fmac_f64_e32 v[70:71], v[4:5], v[10:11]
	scratch_store_dwordx4 off, v[68:71], off offset:256
.LBB17_263:
	s_or_b64 exec, exec, s[6:7]
	scratch_load_dwordx4 v[2:5], v43, off
	v_cmp_ne_u32_e32 vcc, 17, v0
                                        ; implicit-def: $vgpr6_vgpr7
                                        ; implicit-def: $vgpr10
	s_waitcnt vmcnt(0)
	ds_write_b128 v9, v[2:5]
	s_waitcnt lgkmcnt(0)
	; wave barrier
	s_waitcnt lgkmcnt(0)
	s_and_saveexec_b64 s[6:7], vcc
	s_cbranch_execz .LBB17_271
; %bb.264:
	ds_read_b128 v[2:5], v9
	s_and_b64 vcc, exec, s[0:1]
	s_cbranch_vccnz .LBB17_266
; %bb.265:
	scratch_load_dwordx4 v[6:9], v8, off
	s_waitcnt vmcnt(0) lgkmcnt(0)
	v_mul_f64 v[10:11], v[4:5], v[8:9]
	v_mul_f64 v[8:9], v[2:3], v[8:9]
	v_fmac_f64_e32 v[8:9], v[4:5], v[6:7]
	v_fma_f64 v[2:3], v[2:3], v[6:7], -v[10:11]
	v_mov_b64_e32 v[4:5], v[8:9]
.LBB17_266:
	s_and_saveexec_b64 s[0:1], s[2:3]
	s_cbranch_execz .LBB17_270
; %bb.267:
	v_mov_b32_e32 v7, 0
	v_add_u32_e32 v6, 0x130, v42
	v_add3_u32 v7, v42, v7, 24
	s_mov_b64 s[2:3], 0
.LBB17_268:                             ; =>This Inner Loop Header: Depth=1
	v_add_u32_e32 v8, -8, v7
	scratch_load_dwordx4 v[8:11], v8, off
	ds_read_b128 v[68:71], v6
	v_add_u32_e32 v0, 1, v0
	v_cmp_lt_u32_e32 vcc, 15, v0
	v_add_u32_e32 v6, 16, v6
	v_add_u32_e32 v7, 16, v7
	s_or_b64 s[2:3], vcc, s[2:3]
	s_waitcnt vmcnt(0) lgkmcnt(0)
	v_mul_f64 v[12:13], v[70:71], v[10:11]
	v_mul_f64 v[10:11], v[68:69], v[10:11]
	v_fma_f64 v[12:13], v[68:69], v[8:9], -v[12:13]
	v_fmac_f64_e32 v[10:11], v[70:71], v[8:9]
	v_add_f64 v[2:3], v[2:3], v[12:13]
	v_add_f64 v[4:5], v[4:5], v[10:11]
	s_andn2_b64 exec, exec, s[2:3]
	s_cbranch_execnz .LBB17_268
; %bb.269:
	s_or_b64 exec, exec, s[2:3]
.LBB17_270:
	s_or_b64 exec, exec, s[0:1]
	v_mov_b32_e32 v0, 0
	ds_read_b128 v[68:71], v0 offset:272
	v_mov_b32_e32 v0, 0
	v_add_u32_e32 v10, 0x118, v0
	s_or_b64 s[4:5], s[4:5], exec
	s_waitcnt lgkmcnt(0)
	v_mul_f64 v[8:9], v[4:5], v[70:71]
	v_mul_f64 v[6:7], v[2:3], v[70:71]
	v_fma_f64 v[2:3], v[2:3], v[68:69], -v[8:9]
	v_fmac_f64_e32 v[6:7], v[4:5], v[68:69]
	scratch_store_dwordx2 off, v[2:3], off offset:272
.LBB17_271:
	s_or_b64 exec, exec, s[6:7]
.LBB17_272:
	s_and_saveexec_b64 s[0:1], s[4:5]
	s_cbranch_execz .LBB17_274
; %bb.273:
	scratch_store_dwordx2 v10, v[6:7], off
.LBB17_274:
	s_or_b64 exec, exec, s[0:1]
	scratch_load_dwordx4 v[2:5], off, off
	scratch_load_dwordx4 v[6:9], v64, off
	scratch_load_dwordx4 v[10:13], v62, off
	;; [unrolled: 1-line block ×5, first 2 shown]
	s_waitcnt vmcnt(5)
	global_store_dwordx4 v[20:21], v[2:5], off
	scratch_load_dwordx4 v[2:5], v61, off
	s_nop 0
	scratch_load_dwordx4 v[62:65], v60, off
	s_waitcnt vmcnt(7)
	global_store_dwordx4 v[14:15], v[6:9], off
	scratch_load_dwordx4 v[6:9], v59, off
	s_nop 0
	scratch_load_dwordx4 v[80:83], v58, off
	;; [unrolled: 5-line block ×6, first 2 shown]
	s_waitcnt vmcnt(16)
	global_store_dwordx4 v[24:25], v[2:5], off
	s_waitcnt vmcnt(16)
	global_store_dwordx4 v[28:29], v[62:65], off
	;; [unrolled: 2-line block ×12, first 2 shown]
.LBB17_275:
	s_endpgm
	.section	.rodata,"a",@progbits
	.p2align	6, 0x0
	.amdhsa_kernel _ZN9rocsolver6v33100L18trti2_kernel_smallILi18E19rocblas_complex_numIdEPS3_EEv13rocblas_fill_17rocblas_diagonal_T1_iil
		.amdhsa_group_segment_fixed_size 576
		.amdhsa_private_segment_fixed_size 304
		.amdhsa_kernarg_size 32
		.amdhsa_user_sgpr_count 2
		.amdhsa_user_sgpr_dispatch_ptr 0
		.amdhsa_user_sgpr_queue_ptr 0
		.amdhsa_user_sgpr_kernarg_segment_ptr 1
		.amdhsa_user_sgpr_dispatch_id 0
		.amdhsa_user_sgpr_kernarg_preload_length 0
		.amdhsa_user_sgpr_kernarg_preload_offset 0
		.amdhsa_user_sgpr_private_segment_size 0
		.amdhsa_uses_dynamic_stack 0
		.amdhsa_enable_private_segment 1
		.amdhsa_system_sgpr_workgroup_id_x 1
		.amdhsa_system_sgpr_workgroup_id_y 0
		.amdhsa_system_sgpr_workgroup_id_z 0
		.amdhsa_system_sgpr_workgroup_info 0
		.amdhsa_system_vgpr_workitem_id 0
		.amdhsa_next_free_vgpr 88
		.amdhsa_next_free_sgpr 12
		.amdhsa_accum_offset 88
		.amdhsa_reserve_vcc 1
		.amdhsa_float_round_mode_32 0
		.amdhsa_float_round_mode_16_64 0
		.amdhsa_float_denorm_mode_32 3
		.amdhsa_float_denorm_mode_16_64 3
		.amdhsa_dx10_clamp 1
		.amdhsa_ieee_mode 1
		.amdhsa_fp16_overflow 0
		.amdhsa_tg_split 0
		.amdhsa_exception_fp_ieee_invalid_op 0
		.amdhsa_exception_fp_denorm_src 0
		.amdhsa_exception_fp_ieee_div_zero 0
		.amdhsa_exception_fp_ieee_overflow 0
		.amdhsa_exception_fp_ieee_underflow 0
		.amdhsa_exception_fp_ieee_inexact 0
		.amdhsa_exception_int_div_zero 0
	.end_amdhsa_kernel
	.section	.text._ZN9rocsolver6v33100L18trti2_kernel_smallILi18E19rocblas_complex_numIdEPS3_EEv13rocblas_fill_17rocblas_diagonal_T1_iil,"axG",@progbits,_ZN9rocsolver6v33100L18trti2_kernel_smallILi18E19rocblas_complex_numIdEPS3_EEv13rocblas_fill_17rocblas_diagonal_T1_iil,comdat
.Lfunc_end17:
	.size	_ZN9rocsolver6v33100L18trti2_kernel_smallILi18E19rocblas_complex_numIdEPS3_EEv13rocblas_fill_17rocblas_diagonal_T1_iil, .Lfunc_end17-_ZN9rocsolver6v33100L18trti2_kernel_smallILi18E19rocblas_complex_numIdEPS3_EEv13rocblas_fill_17rocblas_diagonal_T1_iil
                                        ; -- End function
	.section	.AMDGPU.csdata,"",@progbits
; Kernel info:
; codeLenInByte = 11684
; NumSgprs: 18
; NumVgprs: 88
; NumAgprs: 0
; TotalNumVgprs: 88
; ScratchSize: 304
; MemoryBound: 0
; FloatMode: 240
; IeeeMode: 1
; LDSByteSize: 576 bytes/workgroup (compile time only)
; SGPRBlocks: 2
; VGPRBlocks: 10
; NumSGPRsForWavesPerEU: 18
; NumVGPRsForWavesPerEU: 88
; AccumOffset: 88
; Occupancy: 5
; WaveLimiterHint : 0
; COMPUTE_PGM_RSRC2:SCRATCH_EN: 1
; COMPUTE_PGM_RSRC2:USER_SGPR: 2
; COMPUTE_PGM_RSRC2:TRAP_HANDLER: 0
; COMPUTE_PGM_RSRC2:TGID_X_EN: 1
; COMPUTE_PGM_RSRC2:TGID_Y_EN: 0
; COMPUTE_PGM_RSRC2:TGID_Z_EN: 0
; COMPUTE_PGM_RSRC2:TIDIG_COMP_CNT: 0
; COMPUTE_PGM_RSRC3_GFX90A:ACCUM_OFFSET: 21
; COMPUTE_PGM_RSRC3_GFX90A:TG_SPLIT: 0
	.section	.text._ZN9rocsolver6v33100L18trti2_kernel_smallILi19E19rocblas_complex_numIdEPS3_EEv13rocblas_fill_17rocblas_diagonal_T1_iil,"axG",@progbits,_ZN9rocsolver6v33100L18trti2_kernel_smallILi19E19rocblas_complex_numIdEPS3_EEv13rocblas_fill_17rocblas_diagonal_T1_iil,comdat
	.globl	_ZN9rocsolver6v33100L18trti2_kernel_smallILi19E19rocblas_complex_numIdEPS3_EEv13rocblas_fill_17rocblas_diagonal_T1_iil ; -- Begin function _ZN9rocsolver6v33100L18trti2_kernel_smallILi19E19rocblas_complex_numIdEPS3_EEv13rocblas_fill_17rocblas_diagonal_T1_iil
	.p2align	8
	.type	_ZN9rocsolver6v33100L18trti2_kernel_smallILi19E19rocblas_complex_numIdEPS3_EEv13rocblas_fill_17rocblas_diagonal_T1_iil,@function
_ZN9rocsolver6v33100L18trti2_kernel_smallILi19E19rocblas_complex_numIdEPS3_EEv13rocblas_fill_17rocblas_diagonal_T1_iil: ; @_ZN9rocsolver6v33100L18trti2_kernel_smallILi19E19rocblas_complex_numIdEPS3_EEv13rocblas_fill_17rocblas_diagonal_T1_iil
; %bb.0:
	v_cmp_gt_u32_e32 vcc, 19, v0
	s_and_saveexec_b64 s[4:5], vcc
	s_cbranch_execz .LBB18_291
; %bb.1:
	s_load_dwordx8 s[4:11], s[0:1], 0x0
	s_ashr_i32 s3, s2, 31
	v_lshlrev_b32_e32 v52, 4, v0
	v_mov_b32_e32 v53, 0
	s_waitcnt lgkmcnt(0)
	s_ashr_i32 s1, s8, 31
	s_mov_b32 s0, s8
	s_mul_i32 s8, s2, s11
	s_mul_hi_u32 s11, s2, s10
	s_add_i32 s8, s11, s8
	s_mul_i32 s3, s3, s10
	s_add_i32 s3, s8, s3
	s_mul_i32 s2, s2, s10
	s_lshl_b64 s[2:3], s[2:3], 4
	s_add_u32 s2, s6, s2
	s_addc_u32 s3, s7, s3
	s_lshl_b64 s[0:1], s[0:1], 4
	s_add_u32 s0, s2, s0
	s_addc_u32 s1, s3, s1
	v_lshl_add_u64 v[14:15], s[0:1], 0, v[52:53]
	s_ashr_i32 s3, s9, 31
	s_mov_b32 s2, s9
	v_lshl_add_u64 v[16:17], s[2:3], 4, v[14:15]
	s_add_i32 s2, s9, s9
	v_add_u32_e32 v20, s2, v0
	v_add_u32_e32 v22, s9, v20
	;; [unrolled: 1-line block ×3, first 2 shown]
	v_ashrrev_i32_e32 v21, 31, v20
	v_add_u32_e32 v26, s9, v24
	global_load_dwordx4 v[2:5], v52, s[0:1]
	v_lshl_add_u64 v[18:19], v[20:21], 4, s[0:1]
	global_load_dwordx4 v[6:9], v[16:17], off
	global_load_dwordx4 v[10:13], v[18:19], off
	v_add_u32_e32 v28, s9, v26
	v_ashrrev_i32_e32 v23, 31, v22
	v_add_u32_e32 v30, s9, v28
	v_lshl_add_u64 v[20:21], v[22:23], 4, s[0:1]
	v_ashrrev_i32_e32 v25, 31, v24
	v_add_u32_e32 v32, s9, v30
	v_lshl_add_u64 v[22:23], v[24:25], 4, s[0:1]
	global_load_dwordx4 v[44:47], v[20:21], off
	global_load_dwordx4 v[48:51], v[22:23], off
	v_ashrrev_i32_e32 v27, 31, v26
	v_ashrrev_i32_e32 v29, 31, v28
	;; [unrolled: 1-line block ×3, first 2 shown]
	v_add_u32_e32 v34, s9, v32
	v_lshl_add_u64 v[24:25], v[26:27], 4, s[0:1]
	v_lshl_add_u64 v[26:27], v[28:29], 4, s[0:1]
	;; [unrolled: 1-line block ×3, first 2 shown]
	v_ashrrev_i32_e32 v33, 31, v32
	v_ashrrev_i32_e32 v35, 31, v34
	global_load_dwordx4 v[54:57], v[24:25], off
	global_load_dwordx4 v[58:61], v[26:27], off
	v_lshl_add_u64 v[30:31], v[32:33], 4, s[0:1]
	global_load_dwordx4 v[62:65], v[28:29], off
	global_load_dwordx4 v[66:69], v[30:31], off
	v_lshl_add_u64 v[32:33], v[34:35], 4, s[0:1]
	global_load_dwordx4 v[70:73], v[32:33], off
	v_add_u32_e32 v36, s9, v34
	v_ashrrev_i32_e32 v37, 31, v36
	v_lshl_add_u64 v[34:35], v[36:37], 4, s[0:1]
	global_load_dwordx4 v[74:77], v[34:35], off
	v_add_u32_e32 v36, s9, v36
	v_add_u32_e32 v38, s9, v36
	;; [unrolled: 1-line block ×4, first 2 shown]
	v_ashrrev_i32_e32 v37, 31, v36
	v_lshl_add_u64 v[36:37], v[36:37], 4, s[0:1]
	v_ashrrev_i32_e32 v39, 31, v38
	v_lshl_add_u64 v[38:39], v[38:39], 4, s[0:1]
	;; [unrolled: 2-line block ×3, first 2 shown]
	v_ashrrev_i32_e32 v43, 31, v42
	s_cmpk_lg_i32 s5, 0x84
	s_cselect_b64 s[6:7], -1, 0
	s_cmpk_eq_i32 s5, 0x84
	s_waitcnt vmcnt(10)
	scratch_store_dwordx4 off, v[2:5], off
	s_waitcnt vmcnt(10)
	scratch_store_dwordx4 off, v[6:9], off offset:16
	s_waitcnt vmcnt(10)
	scratch_store_dwordx4 off, v[10:13], off offset:32
	global_load_dwordx4 v[2:5], v[36:37], off
	global_load_dwordx4 v[6:9], v[38:39], off
	v_add_u32_e32 v10, s9, v42
	v_ashrrev_i32_e32 v11, 31, v10
	v_add_u32_e32 v12, s9, v10
	v_ashrrev_i32_e32 v13, 31, v12
	v_lshl_add_u64 v[42:43], v[42:43], 4, s[0:1]
	s_waitcnt vmcnt(12)
	scratch_store_dwordx4 off, v[44:47], off offset:48
	s_waitcnt vmcnt(12)
	scratch_store_dwordx4 off, v[48:51], off offset:64
	;; [unrolled: 2-line block ×3, first 2 shown]
	v_lshl_add_u64 v[44:45], v[10:11], 4, s[0:1]
	v_add_u32_e32 v10, s9, v12
	v_lshl_add_u64 v[46:47], v[12:13], 4, s[0:1]
	v_add_u32_e32 v12, s9, v10
	v_ashrrev_i32_e32 v11, 31, v10
	v_ashrrev_i32_e32 v13, 31, v12
	global_load_dwordx4 v[54:57], v[40:41], off
	global_load_dwordx4 v[78:81], v[42:43], off
	v_lshl_add_u64 v[48:49], v[10:11], 4, s[0:1]
	s_waitcnt vmcnt(14)
	scratch_store_dwordx4 off, v[58:61], off offset:96
	s_waitcnt vmcnt(14)
	scratch_store_dwordx4 off, v[62:65], off offset:112
	;; [unrolled: 2-line block ×3, first 2 shown]
	v_lshl_add_u64 v[50:51], v[12:13], 4, s[0:1]
	global_load_dwordx4 v[58:61], v[44:45], off
	global_load_dwordx4 v[62:65], v[46:47], off
	;; [unrolled: 1-line block ×3, first 2 shown]
	v_mov_b32_e32 v12, 0
	s_waitcnt vmcnt(17)
	scratch_store_dwordx4 off, v[70:73], off offset:144
	global_load_dwordx4 v[70:73], v[50:51], off
	s_waitcnt vmcnt(18)
	scratch_store_dwordx4 off, v[74:77], off offset:160
	s_waitcnt vmcnt(15)
	scratch_store_dwordx4 off, v[2:5], off offset:176
	s_waitcnt vmcnt(15)
	scratch_store_dwordx4 off, v[6:9], off offset:192
	s_waitcnt vmcnt(12)
	scratch_store_dwordx4 off, v[54:57], off offset:208
	s_waitcnt vmcnt(12)
	scratch_store_dwordx4 off, v[78:81], off offset:224
	s_waitcnt vmcnt(9)
	scratch_store_dwordx4 off, v[58:61], off offset:240
	s_waitcnt vmcnt(9)
	scratch_store_dwordx4 off, v[62:65], off offset:256
	s_waitcnt vmcnt(9)
	scratch_store_dwordx4 off, v[66:69], off offset:272
	s_waitcnt vmcnt(8)
	scratch_store_dwordx4 off, v[70:73], off offset:288
	s_cbranch_scc1 .LBB18_7
; %bb.2:
	scratch_load_dwordx4 v[2:5], v52, off
                                        ; implicit-def: $vgpr10_vgpr11
	s_waitcnt vmcnt(0)
	v_xor_b32_e32 v1, 0x80000000, v3
	v_cmp_gt_f64_e32 vcc, 0, v[2:3]
	v_xor_b32_e32 v8, 0x80000000, v5
	v_mov_b32_e32 v6, v2
	v_cndmask_b32_e32 v7, v3, v1, vcc
	v_cmp_gt_f64_e32 vcc, 0, v[4:5]
	s_nop 1
	v_cndmask_b32_e32 v9, v5, v8, vcc
	v_mov_b32_e32 v8, v4
	v_cmp_ngt_f64_e32 vcc, v[6:7], v[8:9]
                                        ; implicit-def: $vgpr6_vgpr7
	s_and_saveexec_b64 s[0:1], vcc
	s_xor_b64 s[0:1], exec, s[0:1]
	s_cbranch_execz .LBB18_4
; %bb.3:
	v_div_scale_f64 v[6:7], s[2:3], v[4:5], v[4:5], v[2:3]
	v_rcp_f64_e32 v[8:9], v[6:7]
	v_div_scale_f64 v[10:11], vcc, v[2:3], v[4:5], v[2:3]
	v_fma_f64 v[54:55], -v[6:7], v[8:9], 1.0
	v_fmac_f64_e32 v[8:9], v[8:9], v[54:55]
	v_fma_f64 v[54:55], -v[6:7], v[8:9], 1.0
	v_fmac_f64_e32 v[8:9], v[8:9], v[54:55]
	v_mul_f64 v[54:55], v[10:11], v[8:9]
	v_fma_f64 v[6:7], -v[6:7], v[54:55], v[10:11]
	v_div_fmas_f64 v[6:7], v[6:7], v[8:9], v[54:55]
	v_div_fixup_f64 v[6:7], v[6:7], v[4:5], v[2:3]
	v_fmac_f64_e32 v[4:5], v[2:3], v[6:7]
	v_div_scale_f64 v[2:3], s[2:3], v[4:5], v[4:5], 1.0
	v_rcp_f64_e32 v[8:9], v[2:3]
	s_nop 0
	v_fma_f64 v[10:11], -v[2:3], v[8:9], 1.0
	v_fmac_f64_e32 v[8:9], v[8:9], v[10:11]
	v_fma_f64 v[10:11], -v[2:3], v[8:9], 1.0
	v_fmac_f64_e32 v[8:9], v[8:9], v[10:11]
	v_div_scale_f64 v[10:11], vcc, 1.0, v[4:5], 1.0
	v_mul_f64 v[54:55], v[10:11], v[8:9]
	v_fma_f64 v[2:3], -v[2:3], v[54:55], v[10:11]
	s_nop 1
	v_div_fmas_f64 v[2:3], v[2:3], v[8:9], v[54:55]
	v_div_fixup_f64 v[8:9], v[2:3], v[4:5], 1.0
	v_mul_f64 v[6:7], v[6:7], v[8:9]
	v_xor_b32_e32 v9, 0x80000000, v9
	v_xor_b32_e32 v11, 0x80000000, v7
	v_mov_b32_e32 v10, v6
                                        ; implicit-def: $vgpr2_vgpr3
.LBB18_4:
	s_or_saveexec_b64 s[0:1], s[0:1]
	v_add_u32_e32 v1, 0, v52
	s_xor_b64 exec, exec, s[0:1]
	s_cbranch_execz .LBB18_6
; %bb.5:
	v_div_scale_f64 v[6:7], s[2:3], v[2:3], v[2:3], v[4:5]
	v_rcp_f64_e32 v[8:9], v[6:7]
	v_div_scale_f64 v[10:11], vcc, v[4:5], v[2:3], v[4:5]
	v_fma_f64 v[54:55], -v[6:7], v[8:9], 1.0
	v_fmac_f64_e32 v[8:9], v[8:9], v[54:55]
	v_fma_f64 v[54:55], -v[6:7], v[8:9], 1.0
	v_fmac_f64_e32 v[8:9], v[8:9], v[54:55]
	v_mul_f64 v[54:55], v[10:11], v[8:9]
	v_fma_f64 v[6:7], -v[6:7], v[54:55], v[10:11]
	v_div_fmas_f64 v[6:7], v[6:7], v[8:9], v[54:55]
	v_div_fixup_f64 v[8:9], v[6:7], v[2:3], v[4:5]
	v_fmac_f64_e32 v[2:3], v[4:5], v[8:9]
	v_div_scale_f64 v[4:5], s[2:3], v[2:3], v[2:3], 1.0
	v_rcp_f64_e32 v[6:7], v[4:5]
	s_nop 0
	v_fma_f64 v[10:11], -v[4:5], v[6:7], 1.0
	v_fmac_f64_e32 v[6:7], v[6:7], v[10:11]
	v_fma_f64 v[10:11], -v[4:5], v[6:7], 1.0
	v_fmac_f64_e32 v[6:7], v[6:7], v[10:11]
	v_div_scale_f64 v[10:11], vcc, 1.0, v[2:3], 1.0
	v_mul_f64 v[54:55], v[10:11], v[6:7]
	v_fma_f64 v[4:5], -v[4:5], v[54:55], v[10:11]
	s_nop 1
	v_div_fmas_f64 v[4:5], v[4:5], v[6:7], v[54:55]
	v_div_fixup_f64 v[6:7], v[4:5], v[2:3], 1.0
	v_xor_b32_e32 v11, 0x80000000, v7
	v_mov_b32_e32 v10, v6
	v_mul_f64 v[8:9], v[8:9], -v[6:7]
.LBB18_6:
	s_or_b64 exec, exec, s[0:1]
	scratch_store_dwordx4 v1, v[6:9], off
	s_nop 1
	v_xor_b32_e32 v9, 0x80000000, v9
	s_branch .LBB18_8
.LBB18_7:
	v_mov_b64_e32 v[8:9], 0
	v_mov_b64_e32 v[10:11], -1.0
.LBB18_8:
	v_add_u32_e32 v65, 16, v12
	v_add_u32_e32 v68, 32, v12
	;; [unrolled: 1-line block ×18, first 2 shown]
	v_mov_b32_e32 v12, v8
	v_mov_b32_e32 v13, v9
	s_cmpk_eq_i32 s4, 0x79
	v_add_u32_e32 v9, 0x130, v52
	v_add_u32_e32 v8, 0, v52
	ds_write_b128 v52, v[10:13]
	s_cbranch_scc1 .LBB18_148
; %bb.9:
	scratch_load_dwordx4 v[2:5], v1, off
	v_cmp_eq_u32_e64 s[0:1], 18, v0
	s_waitcnt vmcnt(0)
	ds_write_b128 v9, v[2:5]
	s_waitcnt lgkmcnt(0)
	; wave barrier
	s_waitcnt lgkmcnt(0)
	s_and_saveexec_b64 s[2:3], s[0:1]
	s_cbranch_execz .LBB18_13
; %bb.10:
	ds_read_b128 v[2:5], v9
	s_andn2_b64 vcc, exec, s[6:7]
	s_cbranch_vccnz .LBB18_12
; %bb.11:
	scratch_load_dwordx4 v[10:13], v8, off
	s_waitcnt vmcnt(0) lgkmcnt(0)
	v_mul_f64 v[6:7], v[4:5], v[12:13]
	v_mul_f64 v[12:13], v[2:3], v[12:13]
	v_fmac_f64_e32 v[12:13], v[4:5], v[10:11]
	v_fma_f64 v[2:3], v[2:3], v[10:11], -v[6:7]
	v_mov_b64_e32 v[4:5], v[12:13]
.LBB18_12:
	v_mov_b32_e32 v6, 0
	ds_read_b128 v[10:13], v6 offset:272
	s_waitcnt lgkmcnt(0)
	v_mul_f64 v[6:7], v[4:5], v[12:13]
	v_mul_f64 v[72:73], v[2:3], v[12:13]
	v_fma_f64 v[70:71], v[2:3], v[10:11], -v[6:7]
	v_fmac_f64_e32 v[72:73], v[4:5], v[10:11]
	scratch_store_dwordx4 off, v[70:73], off offset:272
.LBB18_13:
	s_or_b64 exec, exec, s[2:3]
	scratch_load_dwordx4 v[2:5], v55, off
	v_cmp_lt_u32_e64 s[2:3], 16, v0
	s_waitcnt vmcnt(0)
	ds_write_b128 v9, v[2:5]
	s_waitcnt lgkmcnt(0)
	; wave barrier
	s_waitcnt lgkmcnt(0)
	s_and_saveexec_b64 s[4:5], s[2:3]
	s_cbranch_execz .LBB18_19
; %bb.14:
	ds_read_b128 v[2:5], v9
	s_andn2_b64 vcc, exec, s[6:7]
	s_cbranch_vccnz .LBB18_16
; %bb.15:
	scratch_load_dwordx4 v[10:13], v8, off
	s_waitcnt vmcnt(0) lgkmcnt(0)
	v_mul_f64 v[6:7], v[4:5], v[12:13]
	v_mul_f64 v[12:13], v[2:3], v[12:13]
	v_fmac_f64_e32 v[12:13], v[4:5], v[10:11]
	v_fma_f64 v[2:3], v[2:3], v[10:11], -v[6:7]
	v_mov_b64_e32 v[4:5], v[12:13]
.LBB18_16:
	s_and_saveexec_b64 s[8:9], s[0:1]
	s_cbranch_execz .LBB18_18
; %bb.17:
	scratch_load_dwordx4 v[10:13], off, off offset:272
	v_mov_b32_e32 v6, 0
	ds_read_b128 v[70:73], v6 offset:576
	s_waitcnt vmcnt(0) lgkmcnt(0)
	v_mul_f64 v[6:7], v[70:71], v[12:13]
	v_mul_f64 v[12:13], v[72:73], v[12:13]
	v_fmac_f64_e32 v[6:7], v[72:73], v[10:11]
	v_fma_f64 v[10:11], v[70:71], v[10:11], -v[12:13]
	v_add_f64 v[4:5], v[4:5], v[6:7]
	v_add_f64 v[2:3], v[2:3], v[10:11]
.LBB18_18:
	s_or_b64 exec, exec, s[8:9]
	v_mov_b32_e32 v6, 0
	ds_read_b128 v[10:13], v6 offset:256
	s_waitcnt lgkmcnt(0)
	v_mul_f64 v[6:7], v[4:5], v[12:13]
	v_mul_f64 v[72:73], v[2:3], v[12:13]
	v_fma_f64 v[70:71], v[2:3], v[10:11], -v[6:7]
	v_fmac_f64_e32 v[72:73], v[4:5], v[10:11]
	scratch_store_dwordx4 off, v[70:73], off offset:256
.LBB18_19:
	s_or_b64 exec, exec, s[4:5]
	scratch_load_dwordx4 v[2:5], v54, off
	v_cmp_lt_u32_e64 s[0:1], 15, v0
	s_waitcnt vmcnt(0)
	ds_write_b128 v9, v[2:5]
	s_waitcnt lgkmcnt(0)
	; wave barrier
	s_waitcnt lgkmcnt(0)
	s_and_saveexec_b64 s[4:5], s[0:1]
	s_cbranch_execz .LBB18_27
; %bb.20:
	ds_read_b128 v[2:5], v9
	s_andn2_b64 vcc, exec, s[6:7]
	s_cbranch_vccnz .LBB18_22
; %bb.21:
	scratch_load_dwordx4 v[10:13], v8, off
	s_waitcnt vmcnt(0) lgkmcnt(0)
	v_mul_f64 v[6:7], v[4:5], v[12:13]
	v_mul_f64 v[12:13], v[2:3], v[12:13]
	v_fmac_f64_e32 v[12:13], v[4:5], v[10:11]
	v_fma_f64 v[2:3], v[2:3], v[10:11], -v[6:7]
	v_mov_b64_e32 v[4:5], v[12:13]
.LBB18_22:
	s_and_saveexec_b64 s[8:9], s[2:3]
	s_cbranch_execz .LBB18_26
; %bb.23:
	v_mov_b32_e32 v7, 0
	v_add_u32_e32 v6, -16, v0
	v_add_u32_e32 v7, 0x108, v7
	s_movk_i32 s10, 0x230
	s_mov_b64 s[2:3], 0
.LBB18_24:                              ; =>This Inner Loop Header: Depth=1
	v_add_u32_e32 v10, -8, v7
	scratch_load_dwordx4 v[10:13], v10, off
	v_mov_b32_e32 v70, s10
	ds_read_b128 v[70:73], v70
	v_add_u32_e32 v6, -1, v6
	s_add_i32 s10, s10, 16
	v_cmp_eq_u32_e32 vcc, 0, v6
	v_add_u32_e32 v7, 16, v7
	s_or_b64 s[2:3], vcc, s[2:3]
	s_waitcnt vmcnt(0) lgkmcnt(0)
	v_mul_f64 v[74:75], v[72:73], v[12:13]
	v_mul_f64 v[12:13], v[70:71], v[12:13]
	v_fma_f64 v[70:71], v[70:71], v[10:11], -v[74:75]
	v_fmac_f64_e32 v[12:13], v[72:73], v[10:11]
	v_add_f64 v[2:3], v[2:3], v[70:71]
	v_add_f64 v[4:5], v[4:5], v[12:13]
	s_andn2_b64 exec, exec, s[2:3]
	s_cbranch_execnz .LBB18_24
; %bb.25:
	s_or_b64 exec, exec, s[2:3]
.LBB18_26:
	s_or_b64 exec, exec, s[8:9]
	v_mov_b32_e32 v6, 0
	ds_read_b128 v[10:13], v6 offset:240
	s_waitcnt lgkmcnt(0)
	v_mul_f64 v[6:7], v[4:5], v[12:13]
	v_mul_f64 v[72:73], v[2:3], v[12:13]
	v_fma_f64 v[70:71], v[2:3], v[10:11], -v[6:7]
	v_fmac_f64_e32 v[72:73], v[4:5], v[10:11]
	scratch_store_dwordx4 off, v[70:73], off offset:240
.LBB18_27:
	s_or_b64 exec, exec, s[4:5]
	scratch_load_dwordx4 v[2:5], v57, off
	v_cmp_lt_u32_e64 s[2:3], 14, v0
	s_waitcnt vmcnt(0)
	ds_write_b128 v9, v[2:5]
	s_waitcnt lgkmcnt(0)
	; wave barrier
	s_waitcnt lgkmcnt(0)
	s_and_saveexec_b64 s[4:5], s[2:3]
	s_cbranch_execz .LBB18_35
; %bb.28:
	ds_read_b128 v[2:5], v9
	s_andn2_b64 vcc, exec, s[6:7]
	s_cbranch_vccnz .LBB18_30
; %bb.29:
	scratch_load_dwordx4 v[10:13], v8, off
	s_waitcnt vmcnt(0) lgkmcnt(0)
	v_mul_f64 v[6:7], v[4:5], v[12:13]
	v_mul_f64 v[12:13], v[2:3], v[12:13]
	v_fmac_f64_e32 v[12:13], v[4:5], v[10:11]
	v_fma_f64 v[2:3], v[2:3], v[10:11], -v[6:7]
	v_mov_b64_e32 v[4:5], v[12:13]
.LBB18_30:
	s_and_saveexec_b64 s[8:9], s[0:1]
	s_cbranch_execz .LBB18_34
; %bb.31:
	v_mov_b32_e32 v7, 0
	v_add_u32_e32 v6, -15, v0
	v_add_u32_e32 v7, 0xf8, v7
	s_movk_i32 s10, 0x220
	s_mov_b64 s[0:1], 0
.LBB18_32:                              ; =>This Inner Loop Header: Depth=1
	v_add_u32_e32 v10, -8, v7
	scratch_load_dwordx4 v[10:13], v10, off
	v_mov_b32_e32 v70, s10
	ds_read_b128 v[70:73], v70
	v_add_u32_e32 v6, -1, v6
	s_add_i32 s10, s10, 16
	v_cmp_eq_u32_e32 vcc, 0, v6
	v_add_u32_e32 v7, 16, v7
	s_or_b64 s[0:1], vcc, s[0:1]
	s_waitcnt vmcnt(0) lgkmcnt(0)
	v_mul_f64 v[74:75], v[72:73], v[12:13]
	v_mul_f64 v[12:13], v[70:71], v[12:13]
	v_fma_f64 v[70:71], v[70:71], v[10:11], -v[74:75]
	v_fmac_f64_e32 v[12:13], v[72:73], v[10:11]
	v_add_f64 v[2:3], v[2:3], v[70:71]
	v_add_f64 v[4:5], v[4:5], v[12:13]
	s_andn2_b64 exec, exec, s[0:1]
	s_cbranch_execnz .LBB18_32
; %bb.33:
	s_or_b64 exec, exec, s[0:1]
.LBB18_34:
	s_or_b64 exec, exec, s[8:9]
	v_mov_b32_e32 v6, 0
	ds_read_b128 v[10:13], v6 offset:224
	s_waitcnt lgkmcnt(0)
	v_mul_f64 v[6:7], v[4:5], v[12:13]
	v_mul_f64 v[72:73], v[2:3], v[12:13]
	v_fma_f64 v[70:71], v[2:3], v[10:11], -v[6:7]
	v_fmac_f64_e32 v[72:73], v[4:5], v[10:11]
	scratch_store_dwordx4 off, v[70:73], off offset:224
.LBB18_35:
	;; [unrolled: 63-line block ×10, first 2 shown]
	s_or_b64 exec, exec, s[4:5]
	scratch_load_dwordx4 v[2:5], v67, off
	v_cmp_lt_u32_e64 s[0:1], 5, v0
	s_waitcnt vmcnt(0)
	ds_write_b128 v9, v[2:5]
	s_waitcnt lgkmcnt(0)
	; wave barrier
	s_waitcnt lgkmcnt(0)
	s_and_saveexec_b64 s[4:5], s[0:1]
	s_cbranch_execz .LBB18_107
; %bb.100:
	ds_read_b128 v[2:5], v9
	s_andn2_b64 vcc, exec, s[6:7]
	s_cbranch_vccnz .LBB18_102
; %bb.101:
	scratch_load_dwordx4 v[10:13], v8, off
	s_waitcnt vmcnt(0) lgkmcnt(0)
	v_mul_f64 v[6:7], v[4:5], v[12:13]
	v_mul_f64 v[12:13], v[2:3], v[12:13]
	v_fmac_f64_e32 v[12:13], v[4:5], v[10:11]
	v_fma_f64 v[2:3], v[2:3], v[10:11], -v[6:7]
	v_mov_b64_e32 v[4:5], v[12:13]
.LBB18_102:
	s_and_saveexec_b64 s[8:9], s[2:3]
	s_cbranch_execz .LBB18_106
; %bb.103:
	v_mov_b32_e32 v7, 0
	v_add_u32_e32 v6, -6, v0
	v_add_u32_e32 v7, 0x68, v7
	s_movk_i32 s10, 0x190
	s_mov_b64 s[2:3], 0
.LBB18_104:                             ; =>This Inner Loop Header: Depth=1
	v_add_u32_e32 v10, -8, v7
	scratch_load_dwordx4 v[10:13], v10, off
	v_mov_b32_e32 v70, s10
	ds_read_b128 v[70:73], v70
	v_add_u32_e32 v6, -1, v6
	s_add_i32 s10, s10, 16
	v_cmp_eq_u32_e32 vcc, 0, v6
	v_add_u32_e32 v7, 16, v7
	s_or_b64 s[2:3], vcc, s[2:3]
	s_waitcnt vmcnt(0) lgkmcnt(0)
	v_mul_f64 v[74:75], v[72:73], v[12:13]
	v_mul_f64 v[12:13], v[70:71], v[12:13]
	v_fma_f64 v[70:71], v[70:71], v[10:11], -v[74:75]
	v_fmac_f64_e32 v[12:13], v[72:73], v[10:11]
	v_add_f64 v[2:3], v[2:3], v[70:71]
	v_add_f64 v[4:5], v[4:5], v[12:13]
	s_andn2_b64 exec, exec, s[2:3]
	s_cbranch_execnz .LBB18_104
; %bb.105:
	s_or_b64 exec, exec, s[2:3]
.LBB18_106:
	s_or_b64 exec, exec, s[8:9]
	v_mov_b32_e32 v6, 0
	ds_read_b128 v[10:13], v6 offset:80
	s_waitcnt lgkmcnt(0)
	v_mul_f64 v[6:7], v[4:5], v[12:13]
	v_mul_f64 v[72:73], v[2:3], v[12:13]
	v_fma_f64 v[70:71], v[2:3], v[10:11], -v[6:7]
	v_fmac_f64_e32 v[72:73], v[4:5], v[10:11]
	scratch_store_dwordx4 off, v[70:73], off offset:80
.LBB18_107:
	s_or_b64 exec, exec, s[4:5]
	scratch_load_dwordx4 v[2:5], v69, off
	v_cmp_lt_u32_e64 s[2:3], 4, v0
	s_waitcnt vmcnt(0)
	ds_write_b128 v9, v[2:5]
	s_waitcnt lgkmcnt(0)
	; wave barrier
	s_waitcnt lgkmcnt(0)
	s_and_saveexec_b64 s[4:5], s[2:3]
	s_cbranch_execz .LBB18_115
; %bb.108:
	ds_read_b128 v[2:5], v9
	s_andn2_b64 vcc, exec, s[6:7]
	s_cbranch_vccnz .LBB18_110
; %bb.109:
	scratch_load_dwordx4 v[10:13], v8, off
	s_waitcnt vmcnt(0) lgkmcnt(0)
	v_mul_f64 v[6:7], v[4:5], v[12:13]
	v_mul_f64 v[12:13], v[2:3], v[12:13]
	v_fmac_f64_e32 v[12:13], v[4:5], v[10:11]
	v_fma_f64 v[2:3], v[2:3], v[10:11], -v[6:7]
	v_mov_b64_e32 v[4:5], v[12:13]
.LBB18_110:
	s_and_saveexec_b64 s[8:9], s[0:1]
	s_cbranch_execz .LBB18_114
; %bb.111:
	v_mov_b32_e32 v7, 0
	v_add_u32_e32 v6, -5, v0
	v_add_u32_e32 v7, 0x58, v7
	s_movk_i32 s10, 0x180
	s_mov_b64 s[0:1], 0
.LBB18_112:                             ; =>This Inner Loop Header: Depth=1
	v_add_u32_e32 v10, -8, v7
	scratch_load_dwordx4 v[10:13], v10, off
	v_mov_b32_e32 v70, s10
	ds_read_b128 v[70:73], v70
	v_add_u32_e32 v6, -1, v6
	s_add_i32 s10, s10, 16
	v_cmp_eq_u32_e32 vcc, 0, v6
	v_add_u32_e32 v7, 16, v7
	s_or_b64 s[0:1], vcc, s[0:1]
	s_waitcnt vmcnt(0) lgkmcnt(0)
	v_mul_f64 v[74:75], v[72:73], v[12:13]
	v_mul_f64 v[12:13], v[70:71], v[12:13]
	v_fma_f64 v[70:71], v[70:71], v[10:11], -v[74:75]
	v_fmac_f64_e32 v[12:13], v[72:73], v[10:11]
	v_add_f64 v[2:3], v[2:3], v[70:71]
	v_add_f64 v[4:5], v[4:5], v[12:13]
	s_andn2_b64 exec, exec, s[0:1]
	s_cbranch_execnz .LBB18_112
; %bb.113:
	s_or_b64 exec, exec, s[0:1]
.LBB18_114:
	s_or_b64 exec, exec, s[8:9]
	v_mov_b32_e32 v6, 0
	ds_read_b128 v[10:13], v6 offset:64
	s_waitcnt lgkmcnt(0)
	v_mul_f64 v[6:7], v[4:5], v[12:13]
	v_mul_f64 v[72:73], v[2:3], v[12:13]
	v_fma_f64 v[70:71], v[2:3], v[10:11], -v[6:7]
	v_fmac_f64_e32 v[72:73], v[4:5], v[10:11]
	scratch_store_dwordx4 off, v[70:73], off offset:64
.LBB18_115:
	;; [unrolled: 63-line block ×5, first 2 shown]
	s_or_b64 exec, exec, s[4:5]
	scratch_load_dwordx4 v[2:5], off, off
	v_cmp_ne_u32_e32 vcc, 0, v0
	s_mov_b64 s[2:3], 0
	s_mov_b64 s[4:5], 0
                                        ; implicit-def: $vgpr6_vgpr7
                                        ; implicit-def: $vgpr10
	s_waitcnt vmcnt(0)
	ds_write_b128 v9, v[2:5]
	s_waitcnt lgkmcnt(0)
	; wave barrier
	s_waitcnt lgkmcnt(0)
	s_and_saveexec_b64 s[8:9], vcc
	s_cbranch_execz .LBB18_147
; %bb.140:
	ds_read_b128 v[2:5], v9
	s_andn2_b64 vcc, exec, s[6:7]
	s_cbranch_vccnz .LBB18_142
; %bb.141:
	scratch_load_dwordx4 v[10:13], v8, off
	s_waitcnt vmcnt(0) lgkmcnt(0)
	v_mul_f64 v[6:7], v[4:5], v[12:13]
	v_mul_f64 v[12:13], v[2:3], v[12:13]
	v_fmac_f64_e32 v[12:13], v[4:5], v[10:11]
	v_fma_f64 v[2:3], v[2:3], v[10:11], -v[6:7]
	v_mov_b64_e32 v[4:5], v[12:13]
.LBB18_142:
	s_and_saveexec_b64 s[4:5], s[0:1]
	s_cbranch_execz .LBB18_146
; %bb.143:
	v_mov_b32_e32 v7, 0
	v_add_u32_e32 v6, -1, v0
	v_add_u32_e32 v7, 24, v7
	s_movk_i32 s10, 0x140
	s_mov_b64 s[0:1], 0
.LBB18_144:                             ; =>This Inner Loop Header: Depth=1
	v_add_u32_e32 v10, -8, v7
	scratch_load_dwordx4 v[10:13], v10, off
	v_mov_b32_e32 v70, s10
	ds_read_b128 v[70:73], v70
	v_add_u32_e32 v6, -1, v6
	s_add_i32 s10, s10, 16
	v_cmp_eq_u32_e32 vcc, 0, v6
	v_add_u32_e32 v7, 16, v7
	s_or_b64 s[0:1], vcc, s[0:1]
	s_waitcnt vmcnt(0) lgkmcnt(0)
	v_mul_f64 v[74:75], v[72:73], v[12:13]
	v_mul_f64 v[12:13], v[70:71], v[12:13]
	v_fma_f64 v[70:71], v[70:71], v[10:11], -v[74:75]
	v_fmac_f64_e32 v[12:13], v[72:73], v[10:11]
	v_add_f64 v[2:3], v[2:3], v[70:71]
	v_add_f64 v[4:5], v[4:5], v[12:13]
	s_andn2_b64 exec, exec, s[0:1]
	s_cbranch_execnz .LBB18_144
; %bb.145:
	s_or_b64 exec, exec, s[0:1]
.LBB18_146:
	s_or_b64 exec, exec, s[4:5]
	v_mov_b32_e32 v6, 0
	ds_read_b128 v[70:73], v6
	v_mov_b32_e32 v6, 0
	v_or_b32_e32 v10, 8, v6
	s_mov_b64 s[4:5], exec
	s_waitcnt lgkmcnt(0)
	v_mul_f64 v[12:13], v[4:5], v[72:73]
	v_mul_f64 v[6:7], v[2:3], v[72:73]
	v_fma_f64 v[2:3], v[2:3], v[70:71], -v[12:13]
	v_fmac_f64_e32 v[6:7], v[4:5], v[70:71]
	scratch_store_dwordx2 off, v[2:3], off
.LBB18_147:
	s_or_b64 exec, exec, s[8:9]
	s_and_b64 vcc, exec, s[2:3]
	s_cbranch_vccnz .LBB18_149
	s_branch .LBB18_288
.LBB18_148:
	s_mov_b64 s[4:5], 0
                                        ; implicit-def: $vgpr6_vgpr7
                                        ; implicit-def: $vgpr10
	s_cbranch_execz .LBB18_288
.LBB18_149:
	scratch_load_dwordx4 v[2:5], v65, off
	v_cmp_eq_u32_e64 s[2:3], 0, v0
	s_waitcnt vmcnt(0)
	ds_write_b128 v9, v[2:5]
	v_cndmask_b32_e64 v2, 0, 1, s[6:7]
	v_cmp_ne_u32_e64 s[0:1], 1, v2
	s_waitcnt lgkmcnt(0)
	; wave barrier
	s_waitcnt lgkmcnt(0)
	s_and_saveexec_b64 s[6:7], s[2:3]
	s_cbranch_execz .LBB18_153
; %bb.150:
	ds_read_b128 v[2:5], v9
	s_and_b64 vcc, exec, s[0:1]
	s_cbranch_vccnz .LBB18_152
; %bb.151:
	scratch_load_dwordx4 v[10:13], v8, off
	s_waitcnt vmcnt(0) lgkmcnt(0)
	v_mul_f64 v[6:7], v[4:5], v[12:13]
	v_mul_f64 v[12:13], v[2:3], v[12:13]
	v_fmac_f64_e32 v[12:13], v[4:5], v[10:11]
	v_fma_f64 v[2:3], v[2:3], v[10:11], -v[6:7]
	v_mov_b64_e32 v[4:5], v[12:13]
.LBB18_152:
	v_mov_b32_e32 v6, 0
	ds_read_b128 v[10:13], v6 offset:16
	s_waitcnt lgkmcnt(0)
	v_mul_f64 v[6:7], v[4:5], v[12:13]
	v_mul_f64 v[72:73], v[2:3], v[12:13]
	v_fma_f64 v[70:71], v[2:3], v[10:11], -v[6:7]
	v_fmac_f64_e32 v[72:73], v[4:5], v[10:11]
	scratch_store_dwordx4 off, v[70:73], off offset:16
.LBB18_153:
	s_or_b64 exec, exec, s[6:7]
	scratch_load_dwordx4 v[2:5], v68, off
	v_cmp_gt_u32_e32 vcc, 2, v0
	s_waitcnt vmcnt(0)
	ds_write_b128 v9, v[2:5]
	s_waitcnt lgkmcnt(0)
	; wave barrier
	s_waitcnt lgkmcnt(0)
	s_and_saveexec_b64 s[6:7], vcc
	s_cbranch_execz .LBB18_159
; %bb.154:
	ds_read_b128 v[2:5], v9
	s_and_b64 vcc, exec, s[0:1]
	s_cbranch_vccnz .LBB18_156
; %bb.155:
	scratch_load_dwordx4 v[10:13], v8, off
	s_waitcnt vmcnt(0) lgkmcnt(0)
	v_mul_f64 v[6:7], v[4:5], v[12:13]
	v_mul_f64 v[12:13], v[2:3], v[12:13]
	v_fmac_f64_e32 v[12:13], v[4:5], v[10:11]
	v_fma_f64 v[2:3], v[2:3], v[10:11], -v[6:7]
	v_mov_b64_e32 v[4:5], v[12:13]
.LBB18_156:
	s_and_saveexec_b64 s[8:9], s[2:3]
	s_cbranch_execz .LBB18_158
; %bb.157:
	scratch_load_dwordx4 v[10:13], v8, off offset:16
	ds_read_b128 v[70:73], v9 offset:16
	s_waitcnt vmcnt(0) lgkmcnt(0)
	v_mul_f64 v[6:7], v[72:73], v[12:13]
	v_mul_f64 v[12:13], v[70:71], v[12:13]
	v_fma_f64 v[6:7], v[70:71], v[10:11], -v[6:7]
	v_fmac_f64_e32 v[12:13], v[72:73], v[10:11]
	v_add_f64 v[2:3], v[2:3], v[6:7]
	v_add_f64 v[4:5], v[4:5], v[12:13]
.LBB18_158:
	s_or_b64 exec, exec, s[8:9]
	v_mov_b32_e32 v6, 0
	ds_read_b128 v[10:13], v6 offset:32
	s_waitcnt lgkmcnt(0)
	v_mul_f64 v[6:7], v[4:5], v[12:13]
	v_mul_f64 v[72:73], v[2:3], v[12:13]
	v_fma_f64 v[70:71], v[2:3], v[10:11], -v[6:7]
	v_fmac_f64_e32 v[72:73], v[4:5], v[10:11]
	scratch_store_dwordx4 off, v[70:73], off offset:32
.LBB18_159:
	s_or_b64 exec, exec, s[6:7]
	scratch_load_dwordx4 v[2:5], v66, off
	v_cmp_gt_u32_e32 vcc, 3, v0
	s_waitcnt vmcnt(0)
	ds_write_b128 v9, v[2:5]
	s_waitcnt lgkmcnt(0)
	; wave barrier
	s_waitcnt lgkmcnt(0)
	s_and_saveexec_b64 s[6:7], vcc
	s_cbranch_execz .LBB18_167
; %bb.160:
	ds_read_b128 v[2:5], v9
	s_and_b64 vcc, exec, s[0:1]
	s_cbranch_vccnz .LBB18_162
; %bb.161:
	scratch_load_dwordx4 v[10:13], v8, off
	s_waitcnt vmcnt(0) lgkmcnt(0)
	v_mul_f64 v[6:7], v[4:5], v[12:13]
	v_mul_f64 v[12:13], v[2:3], v[12:13]
	v_fmac_f64_e32 v[12:13], v[4:5], v[10:11]
	v_fma_f64 v[2:3], v[2:3], v[10:11], -v[6:7]
	v_mov_b64_e32 v[4:5], v[12:13]
.LBB18_162:
	v_cmp_ne_u32_e32 vcc, 2, v0
	s_and_saveexec_b64 s[8:9], vcc
	s_cbranch_execz .LBB18_166
; %bb.163:
	scratch_load_dwordx4 v[10:13], v8, off offset:16
	ds_read_b128 v[70:73], v9 offset:16
	s_waitcnt vmcnt(0) lgkmcnt(0)
	v_mul_f64 v[6:7], v[72:73], v[12:13]
	v_mul_f64 v[12:13], v[70:71], v[12:13]
	v_fma_f64 v[6:7], v[70:71], v[10:11], -v[6:7]
	v_fmac_f64_e32 v[12:13], v[72:73], v[10:11]
	v_add_f64 v[2:3], v[2:3], v[6:7]
	v_add_f64 v[4:5], v[4:5], v[12:13]
	s_and_saveexec_b64 s[10:11], s[2:3]
	s_cbranch_execz .LBB18_165
; %bb.164:
	scratch_load_dwordx4 v[10:13], off, off offset:32
	v_mov_b32_e32 v6, 0
	ds_read_b128 v[70:73], v6 offset:336
	s_waitcnt vmcnt(0) lgkmcnt(0)
	v_mul_f64 v[6:7], v[70:71], v[12:13]
	v_mul_f64 v[12:13], v[72:73], v[12:13]
	v_fmac_f64_e32 v[6:7], v[72:73], v[10:11]
	v_fma_f64 v[10:11], v[70:71], v[10:11], -v[12:13]
	v_add_f64 v[4:5], v[4:5], v[6:7]
	v_add_f64 v[2:3], v[2:3], v[10:11]
.LBB18_165:
	s_or_b64 exec, exec, s[10:11]
.LBB18_166:
	s_or_b64 exec, exec, s[8:9]
	v_mov_b32_e32 v6, 0
	ds_read_b128 v[10:13], v6 offset:48
	s_waitcnt lgkmcnt(0)
	v_mul_f64 v[6:7], v[4:5], v[12:13]
	v_mul_f64 v[72:73], v[2:3], v[12:13]
	v_fma_f64 v[70:71], v[2:3], v[10:11], -v[6:7]
	v_fmac_f64_e32 v[72:73], v[4:5], v[10:11]
	scratch_store_dwordx4 off, v[70:73], off offset:48
.LBB18_167:
	s_or_b64 exec, exec, s[6:7]
	scratch_load_dwordx4 v[2:5], v69, off
	v_cmp_gt_u32_e32 vcc, 4, v0
	s_waitcnt vmcnt(0)
	ds_write_b128 v9, v[2:5]
	s_waitcnt lgkmcnt(0)
	; wave barrier
	s_waitcnt lgkmcnt(0)
	s_and_saveexec_b64 s[2:3], vcc
	s_cbranch_execz .LBB18_175
; %bb.168:
	ds_read_b128 v[2:5], v9
	s_and_b64 vcc, exec, s[0:1]
	s_cbranch_vccnz .LBB18_170
; %bb.169:
	scratch_load_dwordx4 v[10:13], v8, off
	s_waitcnt vmcnt(0) lgkmcnt(0)
	v_mul_f64 v[6:7], v[4:5], v[12:13]
	v_mul_f64 v[12:13], v[2:3], v[12:13]
	v_fmac_f64_e32 v[12:13], v[4:5], v[10:11]
	v_fma_f64 v[2:3], v[2:3], v[10:11], -v[6:7]
	v_mov_b64_e32 v[4:5], v[12:13]
.LBB18_170:
	v_cmp_ne_u32_e32 vcc, 3, v0
	s_and_saveexec_b64 s[6:7], vcc
	s_cbranch_execz .LBB18_174
; %bb.171:
	v_mov_b32_e32 v7, 0
	v_add_u32_e32 v6, 0x140, v52
	v_add3_u32 v7, v52, v7, 24
	s_mov_b64 s[8:9], 0
	v_mov_b32_e32 v10, v0
.LBB18_172:                             ; =>This Inner Loop Header: Depth=1
	v_add_u32_e32 v11, -8, v7
	scratch_load_dwordx4 v[70:73], v11, off
	ds_read_b128 v[74:77], v6
	v_add_u32_e32 v10, 1, v10
	v_cmp_lt_u32_e32 vcc, 2, v10
	v_add_u32_e32 v6, 16, v6
	v_add_u32_e32 v7, 16, v7
	s_or_b64 s[8:9], vcc, s[8:9]
	s_waitcnt vmcnt(0) lgkmcnt(0)
	v_mul_f64 v[12:13], v[76:77], v[72:73]
	v_mul_f64 v[72:73], v[74:75], v[72:73]
	v_fma_f64 v[12:13], v[74:75], v[70:71], -v[12:13]
	v_fmac_f64_e32 v[72:73], v[76:77], v[70:71]
	v_add_f64 v[2:3], v[2:3], v[12:13]
	v_add_f64 v[4:5], v[4:5], v[72:73]
	s_andn2_b64 exec, exec, s[8:9]
	s_cbranch_execnz .LBB18_172
; %bb.173:
	s_or_b64 exec, exec, s[8:9]
.LBB18_174:
	s_or_b64 exec, exec, s[6:7]
	v_mov_b32_e32 v6, 0
	ds_read_b128 v[10:13], v6 offset:64
	s_waitcnt lgkmcnt(0)
	v_mul_f64 v[6:7], v[4:5], v[12:13]
	v_mul_f64 v[72:73], v[2:3], v[12:13]
	v_fma_f64 v[70:71], v[2:3], v[10:11], -v[6:7]
	v_fmac_f64_e32 v[72:73], v[4:5], v[10:11]
	scratch_store_dwordx4 off, v[70:73], off offset:64
.LBB18_175:
	s_or_b64 exec, exec, s[2:3]
	scratch_load_dwordx4 v[2:5], v67, off
	v_cmp_gt_u32_e32 vcc, 5, v0
	s_waitcnt vmcnt(0)
	ds_write_b128 v9, v[2:5]
	s_waitcnt lgkmcnt(0)
	; wave barrier
	s_waitcnt lgkmcnt(0)
	s_and_saveexec_b64 s[2:3], vcc
	s_cbranch_execz .LBB18_183
; %bb.176:
	ds_read_b128 v[2:5], v9
	s_and_b64 vcc, exec, s[0:1]
	s_cbranch_vccnz .LBB18_178
; %bb.177:
	scratch_load_dwordx4 v[10:13], v8, off
	s_waitcnt vmcnt(0) lgkmcnt(0)
	v_mul_f64 v[6:7], v[4:5], v[12:13]
	v_mul_f64 v[12:13], v[2:3], v[12:13]
	v_fmac_f64_e32 v[12:13], v[4:5], v[10:11]
	v_fma_f64 v[2:3], v[2:3], v[10:11], -v[6:7]
	v_mov_b64_e32 v[4:5], v[12:13]
.LBB18_178:
	v_cmp_ne_u32_e32 vcc, 4, v0
	s_and_saveexec_b64 s[6:7], vcc
	s_cbranch_execz .LBB18_182
; %bb.179:
	v_mov_b32_e32 v7, 0
	v_add_u32_e32 v6, 0x140, v52
	v_add3_u32 v7, v52, v7, 24
	s_mov_b64 s[8:9], 0
	v_mov_b32_e32 v10, v0
.LBB18_180:                             ; =>This Inner Loop Header: Depth=1
	v_add_u32_e32 v11, -8, v7
	scratch_load_dwordx4 v[70:73], v11, off
	ds_read_b128 v[74:77], v6
	v_add_u32_e32 v10, 1, v10
	v_cmp_lt_u32_e32 vcc, 3, v10
	v_add_u32_e32 v6, 16, v6
	v_add_u32_e32 v7, 16, v7
	s_or_b64 s[8:9], vcc, s[8:9]
	s_waitcnt vmcnt(0) lgkmcnt(0)
	v_mul_f64 v[12:13], v[76:77], v[72:73]
	v_mul_f64 v[72:73], v[74:75], v[72:73]
	v_fma_f64 v[12:13], v[74:75], v[70:71], -v[12:13]
	v_fmac_f64_e32 v[72:73], v[76:77], v[70:71]
	v_add_f64 v[2:3], v[2:3], v[12:13]
	v_add_f64 v[4:5], v[4:5], v[72:73]
	s_andn2_b64 exec, exec, s[8:9]
	s_cbranch_execnz .LBB18_180
; %bb.181:
	s_or_b64 exec, exec, s[8:9]
.LBB18_182:
	s_or_b64 exec, exec, s[6:7]
	v_mov_b32_e32 v6, 0
	ds_read_b128 v[10:13], v6 offset:80
	s_waitcnt lgkmcnt(0)
	v_mul_f64 v[6:7], v[4:5], v[12:13]
	v_mul_f64 v[72:73], v[2:3], v[12:13]
	v_fma_f64 v[70:71], v[2:3], v[10:11], -v[6:7]
	v_fmac_f64_e32 v[72:73], v[4:5], v[10:11]
	scratch_store_dwordx4 off, v[70:73], off offset:80
.LBB18_183:
	;; [unrolled: 63-line block ×13, first 2 shown]
	s_or_b64 exec, exec, s[2:3]
	scratch_load_dwordx4 v[2:5], v1, off
	v_cmp_gt_u32_e64 s[2:3], 17, v0
	s_waitcnt vmcnt(0)
	ds_write_b128 v9, v[2:5]
	s_waitcnt lgkmcnt(0)
	; wave barrier
	s_waitcnt lgkmcnt(0)
	s_and_saveexec_b64 s[6:7], s[2:3]
	s_cbranch_execz .LBB18_279
; %bb.272:
	ds_read_b128 v[2:5], v9
	s_and_b64 vcc, exec, s[0:1]
	s_cbranch_vccnz .LBB18_274
; %bb.273:
	scratch_load_dwordx4 v[10:13], v8, off
	s_waitcnt vmcnt(0) lgkmcnt(0)
	v_mul_f64 v[6:7], v[4:5], v[12:13]
	v_mul_f64 v[12:13], v[2:3], v[12:13]
	v_fmac_f64_e32 v[12:13], v[4:5], v[10:11]
	v_fma_f64 v[2:3], v[2:3], v[10:11], -v[6:7]
	v_mov_b64_e32 v[4:5], v[12:13]
.LBB18_274:
	v_cmp_ne_u32_e32 vcc, 16, v0
	s_and_saveexec_b64 s[8:9], vcc
	s_cbranch_execz .LBB18_278
; %bb.275:
	v_mov_b32_e32 v7, 0
	v_add_u32_e32 v6, 0x140, v52
	v_add3_u32 v7, v52, v7, 24
	s_mov_b64 s[10:11], 0
	v_mov_b32_e32 v10, v0
.LBB18_276:                             ; =>This Inner Loop Header: Depth=1
	v_add_u32_e32 v11, -8, v7
	scratch_load_dwordx4 v[70:73], v11, off
	ds_read_b128 v[74:77], v6
	v_add_u32_e32 v10, 1, v10
	v_cmp_lt_u32_e32 vcc, 15, v10
	v_add_u32_e32 v6, 16, v6
	v_add_u32_e32 v7, 16, v7
	s_or_b64 s[10:11], vcc, s[10:11]
	s_waitcnt vmcnt(0) lgkmcnt(0)
	v_mul_f64 v[12:13], v[76:77], v[72:73]
	v_mul_f64 v[72:73], v[74:75], v[72:73]
	v_fma_f64 v[12:13], v[74:75], v[70:71], -v[12:13]
	v_fmac_f64_e32 v[72:73], v[76:77], v[70:71]
	v_add_f64 v[2:3], v[2:3], v[12:13]
	v_add_f64 v[4:5], v[4:5], v[72:73]
	s_andn2_b64 exec, exec, s[10:11]
	s_cbranch_execnz .LBB18_276
; %bb.277:
	s_or_b64 exec, exec, s[10:11]
.LBB18_278:
	s_or_b64 exec, exec, s[8:9]
	v_mov_b32_e32 v6, 0
	ds_read_b128 v[10:13], v6 offset:272
	s_waitcnt lgkmcnt(0)
	v_mul_f64 v[6:7], v[4:5], v[12:13]
	v_mul_f64 v[72:73], v[2:3], v[12:13]
	v_fma_f64 v[70:71], v[2:3], v[10:11], -v[6:7]
	v_fmac_f64_e32 v[72:73], v[4:5], v[10:11]
	scratch_store_dwordx4 off, v[70:73], off offset:272
.LBB18_279:
	s_or_b64 exec, exec, s[6:7]
	scratch_load_dwordx4 v[2:5], v53, off
	v_cmp_ne_u32_e32 vcc, 18, v0
                                        ; implicit-def: $vgpr6_vgpr7
                                        ; implicit-def: $vgpr10
	s_waitcnt vmcnt(0)
	ds_write_b128 v9, v[2:5]
	s_waitcnt lgkmcnt(0)
	; wave barrier
	s_waitcnt lgkmcnt(0)
	s_and_saveexec_b64 s[6:7], vcc
	s_cbranch_execz .LBB18_287
; %bb.280:
	ds_read_b128 v[2:5], v9
	s_and_b64 vcc, exec, s[0:1]
	s_cbranch_vccnz .LBB18_282
; %bb.281:
	scratch_load_dwordx4 v[6:9], v8, off
	s_waitcnt vmcnt(0) lgkmcnt(0)
	v_mul_f64 v[10:11], v[4:5], v[8:9]
	v_mul_f64 v[8:9], v[2:3], v[8:9]
	v_fmac_f64_e32 v[8:9], v[4:5], v[6:7]
	v_fma_f64 v[2:3], v[2:3], v[6:7], -v[10:11]
	v_mov_b64_e32 v[4:5], v[8:9]
.LBB18_282:
	s_and_saveexec_b64 s[0:1], s[2:3]
	s_cbranch_execz .LBB18_286
; %bb.283:
	v_mov_b32_e32 v7, 0
	v_add_u32_e32 v6, 0x140, v52
	v_add3_u32 v7, v52, v7, 24
	s_mov_b64 s[2:3], 0
.LBB18_284:                             ; =>This Inner Loop Header: Depth=1
	v_add_u32_e32 v8, -8, v7
	scratch_load_dwordx4 v[8:11], v8, off
	ds_read_b128 v[70:73], v6
	v_add_u32_e32 v0, 1, v0
	v_cmp_lt_u32_e32 vcc, 16, v0
	v_add_u32_e32 v6, 16, v6
	v_add_u32_e32 v7, 16, v7
	s_or_b64 s[2:3], vcc, s[2:3]
	s_waitcnt vmcnt(0) lgkmcnt(0)
	v_mul_f64 v[12:13], v[72:73], v[10:11]
	v_mul_f64 v[10:11], v[70:71], v[10:11]
	v_fma_f64 v[12:13], v[70:71], v[8:9], -v[12:13]
	v_fmac_f64_e32 v[10:11], v[72:73], v[8:9]
	v_add_f64 v[2:3], v[2:3], v[12:13]
	v_add_f64 v[4:5], v[4:5], v[10:11]
	s_andn2_b64 exec, exec, s[2:3]
	s_cbranch_execnz .LBB18_284
; %bb.285:
	s_or_b64 exec, exec, s[2:3]
.LBB18_286:
	s_or_b64 exec, exec, s[0:1]
	v_mov_b32_e32 v0, 0
	ds_read_b128 v[70:73], v0 offset:288
	v_mov_b32_e32 v0, 0
	v_add_u32_e32 v10, 0x128, v0
	s_or_b64 s[4:5], s[4:5], exec
	s_waitcnt lgkmcnt(0)
	v_mul_f64 v[8:9], v[4:5], v[72:73]
	v_mul_f64 v[6:7], v[2:3], v[72:73]
	v_fma_f64 v[2:3], v[2:3], v[70:71], -v[8:9]
	v_fmac_f64_e32 v[6:7], v[4:5], v[70:71]
	scratch_store_dwordx2 off, v[2:3], off offset:288
.LBB18_287:
	s_or_b64 exec, exec, s[6:7]
.LBB18_288:
	s_and_saveexec_b64 s[0:1], s[4:5]
	s_cbranch_execz .LBB18_290
; %bb.289:
	scratch_store_dwordx2 v10, v[6:7], off
.LBB18_290:
	s_or_b64 exec, exec, s[0:1]
	scratch_load_dwordx4 v[2:5], off, off
	scratch_load_dwordx4 v[6:9], v65, off
	scratch_load_dwordx4 v[10:13], v68, off
	;; [unrolled: 1-line block ×5, first 2 shown]
	s_waitcnt vmcnt(5)
	global_store_dwordx4 v[14:15], v[2:5], off
	scratch_load_dwordx4 v[2:5], v64, off
	s_waitcnt vmcnt(6)
	global_store_dwordx4 v[16:17], v[6:9], off
	scratch_load_dwordx4 v[6:9], v62, off
	s_nop 0
	scratch_load_dwordx4 v[14:17], v63, off
	s_waitcnt vmcnt(8)
	global_store_dwordx4 v[18:19], v[10:13], off
	scratch_load_dwordx4 v[10:13], v61, off
	s_nop 0
	;; [unrolled: 5-line block ×3, first 2 shown]
	scratch_load_dwordx4 v[66:69], v58, off
	s_waitcnt vmcnt(12)
	global_store_dwordx4 v[22:23], v[74:77], off
	scratch_load_dwordx4 v[58:61], v56, off
	scratch_load_dwordx4 v[70:73], v57, off
	s_waitcnt vmcnt(14)
	global_store_dwordx4 v[24:25], v[78:81], off
	scratch_load_dwordx4 v[22:25], v54, off
	s_nop 0
	scratch_load_dwordx4 v[74:77], v55, off
	s_waitcnt vmcnt(15)
	global_store_dwordx4 v[26:27], v[2:5], off
	scratch_load_dwordx4 v[2:5], v1, off
	s_nop 0
	scratch_load_dwordx4 v[54:57], v53, off
	s_waitcnt vmcnt(16)
	global_store_dwordx4 v[28:29], v[6:9], off
	s_waitcnt vmcnt(16)
	global_store_dwordx4 v[30:31], v[14:17], off
	;; [unrolled: 2-line block ×12, first 2 shown]
.LBB18_291:
	s_endpgm
	.section	.rodata,"a",@progbits
	.p2align	6, 0x0
	.amdhsa_kernel _ZN9rocsolver6v33100L18trti2_kernel_smallILi19E19rocblas_complex_numIdEPS3_EEv13rocblas_fill_17rocblas_diagonal_T1_iil
		.amdhsa_group_segment_fixed_size 608
		.amdhsa_private_segment_fixed_size 320
		.amdhsa_kernarg_size 32
		.amdhsa_user_sgpr_count 2
		.amdhsa_user_sgpr_dispatch_ptr 0
		.amdhsa_user_sgpr_queue_ptr 0
		.amdhsa_user_sgpr_kernarg_segment_ptr 1
		.amdhsa_user_sgpr_dispatch_id 0
		.amdhsa_user_sgpr_kernarg_preload_length 0
		.amdhsa_user_sgpr_kernarg_preload_offset 0
		.amdhsa_user_sgpr_private_segment_size 0
		.amdhsa_uses_dynamic_stack 0
		.amdhsa_enable_private_segment 1
		.amdhsa_system_sgpr_workgroup_id_x 1
		.amdhsa_system_sgpr_workgroup_id_y 0
		.amdhsa_system_sgpr_workgroup_id_z 0
		.amdhsa_system_sgpr_workgroup_info 0
		.amdhsa_system_vgpr_workitem_id 0
		.amdhsa_next_free_vgpr 82
		.amdhsa_next_free_sgpr 12
		.amdhsa_accum_offset 84
		.amdhsa_reserve_vcc 1
		.amdhsa_float_round_mode_32 0
		.amdhsa_float_round_mode_16_64 0
		.amdhsa_float_denorm_mode_32 3
		.amdhsa_float_denorm_mode_16_64 3
		.amdhsa_dx10_clamp 1
		.amdhsa_ieee_mode 1
		.amdhsa_fp16_overflow 0
		.amdhsa_tg_split 0
		.amdhsa_exception_fp_ieee_invalid_op 0
		.amdhsa_exception_fp_denorm_src 0
		.amdhsa_exception_fp_ieee_div_zero 0
		.amdhsa_exception_fp_ieee_overflow 0
		.amdhsa_exception_fp_ieee_underflow 0
		.amdhsa_exception_fp_ieee_inexact 0
		.amdhsa_exception_int_div_zero 0
	.end_amdhsa_kernel
	.section	.text._ZN9rocsolver6v33100L18trti2_kernel_smallILi19E19rocblas_complex_numIdEPS3_EEv13rocblas_fill_17rocblas_diagonal_T1_iil,"axG",@progbits,_ZN9rocsolver6v33100L18trti2_kernel_smallILi19E19rocblas_complex_numIdEPS3_EEv13rocblas_fill_17rocblas_diagonal_T1_iil,comdat
.Lfunc_end18:
	.size	_ZN9rocsolver6v33100L18trti2_kernel_smallILi19E19rocblas_complex_numIdEPS3_EEv13rocblas_fill_17rocblas_diagonal_T1_iil, .Lfunc_end18-_ZN9rocsolver6v33100L18trti2_kernel_smallILi19E19rocblas_complex_numIdEPS3_EEv13rocblas_fill_17rocblas_diagonal_T1_iil
                                        ; -- End function
	.section	.AMDGPU.csdata,"",@progbits
; Kernel info:
; codeLenInByte = 12340
; NumSgprs: 18
; NumVgprs: 82
; NumAgprs: 0
; TotalNumVgprs: 82
; ScratchSize: 320
; MemoryBound: 0
; FloatMode: 240
; IeeeMode: 1
; LDSByteSize: 608 bytes/workgroup (compile time only)
; SGPRBlocks: 2
; VGPRBlocks: 10
; NumSGPRsForWavesPerEU: 18
; NumVGPRsForWavesPerEU: 82
; AccumOffset: 84
; Occupancy: 5
; WaveLimiterHint : 0
; COMPUTE_PGM_RSRC2:SCRATCH_EN: 1
; COMPUTE_PGM_RSRC2:USER_SGPR: 2
; COMPUTE_PGM_RSRC2:TRAP_HANDLER: 0
; COMPUTE_PGM_RSRC2:TGID_X_EN: 1
; COMPUTE_PGM_RSRC2:TGID_Y_EN: 0
; COMPUTE_PGM_RSRC2:TGID_Z_EN: 0
; COMPUTE_PGM_RSRC2:TIDIG_COMP_CNT: 0
; COMPUTE_PGM_RSRC3_GFX90A:ACCUM_OFFSET: 20
; COMPUTE_PGM_RSRC3_GFX90A:TG_SPLIT: 0
	.section	.text._ZN9rocsolver6v33100L18trti2_kernel_smallILi20E19rocblas_complex_numIdEPS3_EEv13rocblas_fill_17rocblas_diagonal_T1_iil,"axG",@progbits,_ZN9rocsolver6v33100L18trti2_kernel_smallILi20E19rocblas_complex_numIdEPS3_EEv13rocblas_fill_17rocblas_diagonal_T1_iil,comdat
	.globl	_ZN9rocsolver6v33100L18trti2_kernel_smallILi20E19rocblas_complex_numIdEPS3_EEv13rocblas_fill_17rocblas_diagonal_T1_iil ; -- Begin function _ZN9rocsolver6v33100L18trti2_kernel_smallILi20E19rocblas_complex_numIdEPS3_EEv13rocblas_fill_17rocblas_diagonal_T1_iil
	.p2align	8
	.type	_ZN9rocsolver6v33100L18trti2_kernel_smallILi20E19rocblas_complex_numIdEPS3_EEv13rocblas_fill_17rocblas_diagonal_T1_iil,@function
_ZN9rocsolver6v33100L18trti2_kernel_smallILi20E19rocblas_complex_numIdEPS3_EEv13rocblas_fill_17rocblas_diagonal_T1_iil: ; @_ZN9rocsolver6v33100L18trti2_kernel_smallILi20E19rocblas_complex_numIdEPS3_EEv13rocblas_fill_17rocblas_diagonal_T1_iil
; %bb.0:
	v_cmp_gt_u32_e32 vcc, 20, v0
	s_and_saveexec_b64 s[4:5], vcc
	s_cbranch_execz .LBB19_307
; %bb.1:
	s_load_dwordx8 s[4:11], s[0:1], 0x0
	s_ashr_i32 s3, s2, 31
	v_lshlrev_b32_e32 v38, 4, v0
	v_mov_b32_e32 v39, 0
	s_waitcnt lgkmcnt(0)
	s_ashr_i32 s1, s8, 31
	s_mov_b32 s0, s8
	s_mul_i32 s8, s2, s11
	s_mul_hi_u32 s11, s2, s10
	s_add_i32 s8, s11, s8
	s_mul_i32 s3, s3, s10
	s_add_i32 s3, s8, s3
	s_mul_i32 s2, s2, s10
	s_lshl_b64 s[2:3], s[2:3], 4
	s_add_u32 s2, s6, s2
	s_addc_u32 s3, s7, s3
	s_lshl_b64 s[0:1], s[0:1], 4
	s_add_u32 s0, s2, s0
	s_addc_u32 s1, s3, s1
	s_add_i32 s6, s9, s9
	v_add_u32_e32 v10, s6, v0
	v_add_u32_e32 v18, s9, v10
	;; [unrolled: 1-line block ×3, first 2 shown]
	s_mov_b32 s2, s9
	s_ashr_i32 s3, s9, 31
	v_lshl_add_u64 v[16:17], s[0:1], 0, v[38:39]
	v_ashrrev_i32_e32 v11, 31, v10
	v_add_u32_e32 v26, s9, v22
	global_load_dwordx4 v[2:5], v38, s[0:1]
	v_lshl_add_u64 v[14:15], s[2:3], 4, v[16:17]
	global_load_dwordx4 v[6:9], v[14:15], off
	v_lshl_add_u64 v[20:21], v[10:11], 4, s[0:1]
	v_ashrrev_i32_e32 v19, 31, v18
	v_add_u32_e32 v28, s9, v26
	v_ashrrev_i32_e32 v23, 31, v22
	global_load_dwordx4 v[10:13], v[20:21], off
	v_lshl_add_u64 v[18:19], v[18:19], 4, s[0:1]
	global_load_dwordx4 v[48:51], v[18:19], off
	v_add_u32_e32 v30, s9, v28
	v_lshl_add_u64 v[24:25], v[22:23], 4, s[0:1]
	v_ashrrev_i32_e32 v27, 31, v26
	v_ashrrev_i32_e32 v29, 31, v28
	global_load_dwordx4 v[52:55], v[24:25], off
	v_lshl_add_u64 v[22:23], v[26:27], 4, s[0:1]
	global_load_dwordx4 v[56:59], v[22:23], off
	v_lshl_add_u64 v[26:27], v[28:29], 4, s[0:1]
	v_ashrrev_i32_e32 v31, 31, v30
	global_load_dwordx4 v[60:63], v[26:27], off
	v_lshl_add_u64 v[28:29], v[30:31], 4, s[0:1]
	global_load_dwordx4 v[64:67], v[28:29], off
	v_add_u32_e32 v30, s9, v30
	v_add_u32_e32 v32, s9, v30
	;; [unrolled: 1-line block ×12, first 2 shown]
	v_ashrrev_i32_e32 v31, 31, v30
	v_ashrrev_i32_e32 v33, 31, v32
	;; [unrolled: 1-line block ×3, first 2 shown]
	v_lshl_add_u64 v[30:31], v[30:31], 4, s[0:1]
	v_lshl_add_u64 v[32:33], v[32:33], 4, s[0:1]
	v_ashrrev_i32_e32 v35, 31, v34
	v_ashrrev_i32_e32 v37, 31, v36
	v_lshl_add_u64 v[42:43], v[42:43], 4, s[0:1]
	global_load_dwordx4 v[68:71], v[30:31], off
	v_lshl_add_u64 v[34:35], v[34:35], 4, s[0:1]
	global_load_dwordx4 v[72:75], v[32:33], off
	global_load_dwordx4 v[76:79], v[34:35], off
	v_lshl_add_u64 v[36:37], v[36:37], 4, s[0:1]
	v_ashrrev_i32_e32 v41, 31, v40
	v_ashrrev_i32_e32 v45, 31, v44
	global_load_dwordx4 v[80:83], v[42:43], off
	v_lshl_add_u64 v[40:41], v[40:41], 4, s[0:1]
	v_lshl_add_u64 v[44:45], v[44:45], 4, s[0:1]
	v_ashrrev_i32_e32 v47, 31, v46
	v_ashrrev_i32_e32 v89, 31, v88
	v_lshl_add_u64 v[46:47], v[46:47], 4, s[0:1]
	v_ashrrev_i32_e32 v91, 31, v90
	v_ashrrev_i32_e32 v93, 31, v92
	;; [unrolled: 1-line block ×3, first 2 shown]
	s_cmpk_lg_i32 s5, 0x84
	s_cselect_b64 s[6:7], -1, 0
	s_cmpk_eq_i32 s5, 0x84
	s_waitcnt vmcnt(11)
	scratch_store_dwordx4 off, v[2:5], off
	s_waitcnt vmcnt(11)
	scratch_store_dwordx4 off, v[6:9], off offset:16
	global_load_dwordx4 v[2:5], v[36:37], off
	s_nop 0
	global_load_dwordx4 v[6:9], v[40:41], off
	s_waitcnt vmcnt(13)
	scratch_store_dwordx4 off, v[10:13], off offset:32
	s_waitcnt vmcnt(13)
	scratch_store_dwordx4 off, v[48:51], off offset:48
	global_load_dwordx4 v[10:13], v[44:45], off
	global_load_dwordx4 v[84:87], v[46:47], off
	v_lshl_add_u64 v[48:49], v[88:89], 4, s[0:1]
	s_waitcnt vmcnt(15)
	scratch_store_dwordx4 off, v[52:55], off offset:64
	s_waitcnt vmcnt(15)
	scratch_store_dwordx4 off, v[56:59], off offset:80
	v_lshl_add_u64 v[50:51], v[90:91], 4, s[0:1]
	global_load_dwordx4 v[56:59], v[48:49], off
	global_load_dwordx4 v[88:91], v[50:51], off
	v_lshl_add_u64 v[52:53], v[92:93], 4, s[0:1]
	s_waitcnt vmcnt(17)
	scratch_store_dwordx4 off, v[60:63], off offset:96
	s_waitcnt vmcnt(17)
	scratch_store_dwordx4 off, v[64:67], off offset:112
	v_lshl_add_u64 v[54:55], v[94:95], 4, s[0:1]
	global_load_dwordx4 v[60:63], v[52:53], off
	global_load_dwordx4 v[64:67], v[54:55], off
	s_waitcnt vmcnt(19)
	scratch_store_dwordx4 off, v[68:71], off offset:128
	s_waitcnt vmcnt(19)
	scratch_store_dwordx4 off, v[72:75], off offset:144
	;; [unrolled: 2-line block ×8, first 2 shown]
	v_mov_b32_e32 v12, 0
	s_waitcnt vmcnt(12)
	scratch_store_dwordx4 off, v[88:91], off offset:256
	s_waitcnt vmcnt(10)
	scratch_store_dwordx4 off, v[60:63], off offset:272
	;; [unrolled: 2-line block ×3, first 2 shown]
	scratch_store_dwordx4 off, v[80:83], off offset:304
	s_cbranch_scc1 .LBB19_7
; %bb.2:
	scratch_load_dwordx4 v[2:5], v38, off
                                        ; implicit-def: $vgpr10_vgpr11
	s_waitcnt vmcnt(0)
	v_xor_b32_e32 v1, 0x80000000, v3
	v_cmp_gt_f64_e32 vcc, 0, v[2:3]
	v_xor_b32_e32 v8, 0x80000000, v5
	v_mov_b32_e32 v6, v2
	v_cndmask_b32_e32 v7, v3, v1, vcc
	v_cmp_gt_f64_e32 vcc, 0, v[4:5]
	s_nop 1
	v_cndmask_b32_e32 v9, v5, v8, vcc
	v_mov_b32_e32 v8, v4
	v_cmp_ngt_f64_e32 vcc, v[6:7], v[8:9]
                                        ; implicit-def: $vgpr6_vgpr7
	s_and_saveexec_b64 s[0:1], vcc
	s_xor_b64 s[0:1], exec, s[0:1]
	s_cbranch_execz .LBB19_4
; %bb.3:
	v_div_scale_f64 v[6:7], s[2:3], v[4:5], v[4:5], v[2:3]
	v_rcp_f64_e32 v[8:9], v[6:7]
	v_div_scale_f64 v[10:11], vcc, v[2:3], v[4:5], v[2:3]
	v_fma_f64 v[56:57], -v[6:7], v[8:9], 1.0
	v_fmac_f64_e32 v[8:9], v[8:9], v[56:57]
	v_fma_f64 v[56:57], -v[6:7], v[8:9], 1.0
	v_fmac_f64_e32 v[8:9], v[8:9], v[56:57]
	v_mul_f64 v[56:57], v[10:11], v[8:9]
	v_fma_f64 v[6:7], -v[6:7], v[56:57], v[10:11]
	v_div_fmas_f64 v[6:7], v[6:7], v[8:9], v[56:57]
	v_div_fixup_f64 v[6:7], v[6:7], v[4:5], v[2:3]
	v_fmac_f64_e32 v[4:5], v[2:3], v[6:7]
	v_div_scale_f64 v[2:3], s[2:3], v[4:5], v[4:5], 1.0
	v_rcp_f64_e32 v[8:9], v[2:3]
	s_nop 0
	v_fma_f64 v[10:11], -v[2:3], v[8:9], 1.0
	v_fmac_f64_e32 v[8:9], v[8:9], v[10:11]
	v_fma_f64 v[10:11], -v[2:3], v[8:9], 1.0
	v_fmac_f64_e32 v[8:9], v[8:9], v[10:11]
	v_div_scale_f64 v[10:11], vcc, 1.0, v[4:5], 1.0
	v_mul_f64 v[56:57], v[10:11], v[8:9]
	v_fma_f64 v[2:3], -v[2:3], v[56:57], v[10:11]
	s_nop 1
	v_div_fmas_f64 v[2:3], v[2:3], v[8:9], v[56:57]
	v_div_fixup_f64 v[8:9], v[2:3], v[4:5], 1.0
	v_mul_f64 v[6:7], v[6:7], v[8:9]
	v_xor_b32_e32 v9, 0x80000000, v9
	v_xor_b32_e32 v11, 0x80000000, v7
	v_mov_b32_e32 v10, v6
                                        ; implicit-def: $vgpr2_vgpr3
.LBB19_4:
	s_or_saveexec_b64 s[0:1], s[0:1]
	v_add_u32_e32 v1, 0, v38
	s_xor_b64 exec, exec, s[0:1]
	s_cbranch_execz .LBB19_6
; %bb.5:
	v_div_scale_f64 v[6:7], s[2:3], v[2:3], v[2:3], v[4:5]
	v_rcp_f64_e32 v[8:9], v[6:7]
	v_div_scale_f64 v[10:11], vcc, v[4:5], v[2:3], v[4:5]
	v_fma_f64 v[56:57], -v[6:7], v[8:9], 1.0
	v_fmac_f64_e32 v[8:9], v[8:9], v[56:57]
	v_fma_f64 v[56:57], -v[6:7], v[8:9], 1.0
	v_fmac_f64_e32 v[8:9], v[8:9], v[56:57]
	v_mul_f64 v[56:57], v[10:11], v[8:9]
	v_fma_f64 v[6:7], -v[6:7], v[56:57], v[10:11]
	v_div_fmas_f64 v[6:7], v[6:7], v[8:9], v[56:57]
	v_div_fixup_f64 v[8:9], v[6:7], v[2:3], v[4:5]
	v_fmac_f64_e32 v[2:3], v[4:5], v[8:9]
	v_div_scale_f64 v[4:5], s[2:3], v[2:3], v[2:3], 1.0
	v_rcp_f64_e32 v[6:7], v[4:5]
	s_nop 0
	v_fma_f64 v[10:11], -v[4:5], v[6:7], 1.0
	v_fmac_f64_e32 v[6:7], v[6:7], v[10:11]
	v_fma_f64 v[10:11], -v[4:5], v[6:7], 1.0
	v_fmac_f64_e32 v[6:7], v[6:7], v[10:11]
	v_div_scale_f64 v[10:11], vcc, 1.0, v[2:3], 1.0
	v_mul_f64 v[56:57], v[10:11], v[6:7]
	v_fma_f64 v[4:5], -v[4:5], v[56:57], v[10:11]
	s_nop 1
	v_div_fmas_f64 v[4:5], v[4:5], v[6:7], v[56:57]
	v_div_fixup_f64 v[6:7], v[4:5], v[2:3], 1.0
	v_xor_b32_e32 v11, 0x80000000, v7
	v_mov_b32_e32 v10, v6
	v_mul_f64 v[8:9], v[8:9], -v[6:7]
.LBB19_6:
	s_or_b64 exec, exec, s[0:1]
	scratch_store_dwordx4 v1, v[6:9], off
	s_nop 1
	v_xor_b32_e32 v9, 0x80000000, v9
	s_branch .LBB19_8
.LBB19_7:
	v_mov_b64_e32 v[8:9], 0
	v_mov_b64_e32 v[10:11], -1.0
.LBB19_8:
	v_add_u32_e32 v64, 16, v12
	v_add_u32_e32 v65, 32, v12
	v_add_u32_e32 v70, 48, v12
	v_add_u32_e32 v67, 64, v12
	v_add_u32_e32 v71, 0x50, v12
	v_add_u32_e32 v69, 0x60, v12
	v_add_u32_e32 v72, 0x70, v12
	v_add_u32_e32 v68, 0x80, v12
	v_add_u32_e32 v66, 0x90, v12
	v_add_u32_e32 v63, 0xa0, v12
	v_add_u32_e32 v62, 0xb0, v12
	v_add_u32_e32 v61, 0xc0, v12
	v_add_u32_e32 v60, 0xd0, v12
	v_add_u32_e32 v59, 0xe0, v12
	v_add_u32_e32 v58, 0xf0, v12
	v_add_u32_e32 v56, 0x100, v12
	v_add_u32_e32 v57, 0x110, v12
	v_add_u32_e32 v1, 0x120, v12
	v_add_u32_e32 v39, 0x130, v12
	v_mov_b32_e32 v12, v8
	v_mov_b32_e32 v13, v9
	s_cmpk_eq_i32 s4, 0x79
	v_add_u32_e32 v9, 0x140, v38
	v_add_u32_e32 v8, 0, v38
	ds_write_b128 v38, v[10:13]
	s_cbranch_scc1 .LBB19_156
; %bb.9:
	scratch_load_dwordx4 v[2:5], v1, off
	v_cmp_eq_u32_e64 s[0:1], 19, v0
	s_waitcnt vmcnt(0)
	ds_write_b128 v9, v[2:5]
	s_waitcnt lgkmcnt(0)
	; wave barrier
	s_waitcnt lgkmcnt(0)
	s_and_saveexec_b64 s[2:3], s[0:1]
	s_cbranch_execz .LBB19_13
; %bb.10:
	ds_read_b128 v[2:5], v9
	s_andn2_b64 vcc, exec, s[6:7]
	s_cbranch_vccnz .LBB19_12
; %bb.11:
	scratch_load_dwordx4 v[10:13], v8, off
	s_waitcnt vmcnt(0) lgkmcnt(0)
	v_mul_f64 v[6:7], v[4:5], v[12:13]
	v_mul_f64 v[12:13], v[2:3], v[12:13]
	v_fmac_f64_e32 v[12:13], v[4:5], v[10:11]
	v_fma_f64 v[2:3], v[2:3], v[10:11], -v[6:7]
	v_mov_b64_e32 v[4:5], v[12:13]
.LBB19_12:
	v_mov_b32_e32 v6, 0
	ds_read_b128 v[10:13], v6 offset:288
	s_waitcnt lgkmcnt(0)
	v_mul_f64 v[6:7], v[4:5], v[12:13]
	v_mul_f64 v[76:77], v[2:3], v[12:13]
	v_fma_f64 v[74:75], v[2:3], v[10:11], -v[6:7]
	v_fmac_f64_e32 v[76:77], v[4:5], v[10:11]
	scratch_store_dwordx4 off, v[74:77], off offset:288
.LBB19_13:
	s_or_b64 exec, exec, s[2:3]
	scratch_load_dwordx4 v[2:5], v57, off
	v_cmp_lt_u32_e64 s[2:3], 17, v0
	s_waitcnt vmcnt(0)
	ds_write_b128 v9, v[2:5]
	s_waitcnt lgkmcnt(0)
	; wave barrier
	s_waitcnt lgkmcnt(0)
	s_and_saveexec_b64 s[4:5], s[2:3]
	s_cbranch_execz .LBB19_19
; %bb.14:
	ds_read_b128 v[2:5], v9
	s_andn2_b64 vcc, exec, s[6:7]
	s_cbranch_vccnz .LBB19_16
; %bb.15:
	scratch_load_dwordx4 v[10:13], v8, off
	s_waitcnt vmcnt(0) lgkmcnt(0)
	v_mul_f64 v[6:7], v[4:5], v[12:13]
	v_mul_f64 v[12:13], v[2:3], v[12:13]
	v_fmac_f64_e32 v[12:13], v[4:5], v[10:11]
	v_fma_f64 v[2:3], v[2:3], v[10:11], -v[6:7]
	v_mov_b64_e32 v[4:5], v[12:13]
.LBB19_16:
	s_and_saveexec_b64 s[8:9], s[0:1]
	s_cbranch_execz .LBB19_18
; %bb.17:
	scratch_load_dwordx4 v[10:13], off, off offset:288
	v_mov_b32_e32 v6, 0
	ds_read_b128 v[74:77], v6 offset:608
	s_waitcnt vmcnt(0) lgkmcnt(0)
	v_mul_f64 v[6:7], v[74:75], v[12:13]
	v_mul_f64 v[12:13], v[76:77], v[12:13]
	v_fmac_f64_e32 v[6:7], v[76:77], v[10:11]
	v_fma_f64 v[10:11], v[74:75], v[10:11], -v[12:13]
	v_add_f64 v[4:5], v[4:5], v[6:7]
	v_add_f64 v[2:3], v[2:3], v[10:11]
.LBB19_18:
	s_or_b64 exec, exec, s[8:9]
	v_mov_b32_e32 v6, 0
	ds_read_b128 v[10:13], v6 offset:272
	s_waitcnt lgkmcnt(0)
	v_mul_f64 v[6:7], v[4:5], v[12:13]
	v_mul_f64 v[76:77], v[2:3], v[12:13]
	v_fma_f64 v[74:75], v[2:3], v[10:11], -v[6:7]
	v_fmac_f64_e32 v[76:77], v[4:5], v[10:11]
	scratch_store_dwordx4 off, v[74:77], off offset:272
.LBB19_19:
	s_or_b64 exec, exec, s[4:5]
	scratch_load_dwordx4 v[2:5], v56, off
	v_cmp_lt_u32_e64 s[0:1], 16, v0
	s_waitcnt vmcnt(0)
	ds_write_b128 v9, v[2:5]
	s_waitcnt lgkmcnt(0)
	; wave barrier
	s_waitcnt lgkmcnt(0)
	s_and_saveexec_b64 s[4:5], s[0:1]
	s_cbranch_execz .LBB19_27
; %bb.20:
	ds_read_b128 v[2:5], v9
	s_andn2_b64 vcc, exec, s[6:7]
	s_cbranch_vccnz .LBB19_22
; %bb.21:
	scratch_load_dwordx4 v[10:13], v8, off
	s_waitcnt vmcnt(0) lgkmcnt(0)
	v_mul_f64 v[6:7], v[4:5], v[12:13]
	v_mul_f64 v[12:13], v[2:3], v[12:13]
	v_fmac_f64_e32 v[12:13], v[4:5], v[10:11]
	v_fma_f64 v[2:3], v[2:3], v[10:11], -v[6:7]
	v_mov_b64_e32 v[4:5], v[12:13]
.LBB19_22:
	s_and_saveexec_b64 s[8:9], s[2:3]
	s_cbranch_execz .LBB19_26
; %bb.23:
	v_mov_b32_e32 v7, 0
	v_subrev_u32_e32 v6, 17, v0
	v_add_u32_e32 v7, 0x118, v7
	s_movk_i32 s10, 0x250
	s_mov_b64 s[2:3], 0
.LBB19_24:                              ; =>This Inner Loop Header: Depth=1
	v_add_u32_e32 v10, -8, v7
	scratch_load_dwordx4 v[10:13], v10, off
	v_mov_b32_e32 v73, s10
	ds_read_b128 v[74:77], v73
	v_add_u32_e32 v6, -1, v6
	s_add_i32 s10, s10, 16
	v_cmp_eq_u32_e32 vcc, 0, v6
	v_add_u32_e32 v7, 16, v7
	s_or_b64 s[2:3], vcc, s[2:3]
	s_waitcnt vmcnt(0) lgkmcnt(0)
	v_mul_f64 v[78:79], v[76:77], v[12:13]
	v_mul_f64 v[12:13], v[74:75], v[12:13]
	v_fma_f64 v[74:75], v[74:75], v[10:11], -v[78:79]
	v_fmac_f64_e32 v[12:13], v[76:77], v[10:11]
	v_add_f64 v[2:3], v[2:3], v[74:75]
	v_add_f64 v[4:5], v[4:5], v[12:13]
	s_andn2_b64 exec, exec, s[2:3]
	s_cbranch_execnz .LBB19_24
; %bb.25:
	s_or_b64 exec, exec, s[2:3]
.LBB19_26:
	s_or_b64 exec, exec, s[8:9]
	v_mov_b32_e32 v6, 0
	ds_read_b128 v[10:13], v6 offset:256
	s_waitcnt lgkmcnt(0)
	v_mul_f64 v[6:7], v[4:5], v[12:13]
	v_mul_f64 v[76:77], v[2:3], v[12:13]
	v_fma_f64 v[74:75], v[2:3], v[10:11], -v[6:7]
	v_fmac_f64_e32 v[76:77], v[4:5], v[10:11]
	scratch_store_dwordx4 off, v[74:77], off offset:256
.LBB19_27:
	s_or_b64 exec, exec, s[4:5]
	scratch_load_dwordx4 v[2:5], v58, off
	v_cmp_lt_u32_e64 s[2:3], 15, v0
	s_waitcnt vmcnt(0)
	ds_write_b128 v9, v[2:5]
	s_waitcnt lgkmcnt(0)
	; wave barrier
	s_waitcnt lgkmcnt(0)
	s_and_saveexec_b64 s[4:5], s[2:3]
	s_cbranch_execz .LBB19_35
; %bb.28:
	ds_read_b128 v[2:5], v9
	s_andn2_b64 vcc, exec, s[6:7]
	s_cbranch_vccnz .LBB19_30
; %bb.29:
	scratch_load_dwordx4 v[10:13], v8, off
	s_waitcnt vmcnt(0) lgkmcnt(0)
	v_mul_f64 v[6:7], v[4:5], v[12:13]
	v_mul_f64 v[12:13], v[2:3], v[12:13]
	v_fmac_f64_e32 v[12:13], v[4:5], v[10:11]
	v_fma_f64 v[2:3], v[2:3], v[10:11], -v[6:7]
	v_mov_b64_e32 v[4:5], v[12:13]
.LBB19_30:
	s_and_saveexec_b64 s[8:9], s[0:1]
	s_cbranch_execz .LBB19_34
; %bb.31:
	v_mov_b32_e32 v7, 0
	v_add_u32_e32 v6, -16, v0
	v_add_u32_e32 v7, 0x108, v7
	s_movk_i32 s10, 0x240
	s_mov_b64 s[0:1], 0
.LBB19_32:                              ; =>This Inner Loop Header: Depth=1
	v_add_u32_e32 v10, -8, v7
	scratch_load_dwordx4 v[10:13], v10, off
	v_mov_b32_e32 v73, s10
	ds_read_b128 v[74:77], v73
	v_add_u32_e32 v6, -1, v6
	s_add_i32 s10, s10, 16
	v_cmp_eq_u32_e32 vcc, 0, v6
	v_add_u32_e32 v7, 16, v7
	s_or_b64 s[0:1], vcc, s[0:1]
	s_waitcnt vmcnt(0) lgkmcnt(0)
	v_mul_f64 v[78:79], v[76:77], v[12:13]
	v_mul_f64 v[12:13], v[74:75], v[12:13]
	v_fma_f64 v[74:75], v[74:75], v[10:11], -v[78:79]
	v_fmac_f64_e32 v[12:13], v[76:77], v[10:11]
	v_add_f64 v[2:3], v[2:3], v[74:75]
	v_add_f64 v[4:5], v[4:5], v[12:13]
	s_andn2_b64 exec, exec, s[0:1]
	s_cbranch_execnz .LBB19_32
; %bb.33:
	s_or_b64 exec, exec, s[0:1]
.LBB19_34:
	s_or_b64 exec, exec, s[8:9]
	v_mov_b32_e32 v6, 0
	ds_read_b128 v[10:13], v6 offset:240
	s_waitcnt lgkmcnt(0)
	v_mul_f64 v[6:7], v[4:5], v[12:13]
	v_mul_f64 v[76:77], v[2:3], v[12:13]
	v_fma_f64 v[74:75], v[2:3], v[10:11], -v[6:7]
	v_fmac_f64_e32 v[76:77], v[4:5], v[10:11]
	scratch_store_dwordx4 off, v[74:77], off offset:240
.LBB19_35:
	s_or_b64 exec, exec, s[4:5]
	scratch_load_dwordx4 v[2:5], v59, off
	v_cmp_lt_u32_e64 s[0:1], 14, v0
	s_waitcnt vmcnt(0)
	ds_write_b128 v9, v[2:5]
	s_waitcnt lgkmcnt(0)
	; wave barrier
	s_waitcnt lgkmcnt(0)
	s_and_saveexec_b64 s[4:5], s[0:1]
	s_cbranch_execz .LBB19_43
; %bb.36:
	ds_read_b128 v[2:5], v9
	s_andn2_b64 vcc, exec, s[6:7]
	s_cbranch_vccnz .LBB19_38
; %bb.37:
	scratch_load_dwordx4 v[10:13], v8, off
	s_waitcnt vmcnt(0) lgkmcnt(0)
	v_mul_f64 v[6:7], v[4:5], v[12:13]
	v_mul_f64 v[12:13], v[2:3], v[12:13]
	v_fmac_f64_e32 v[12:13], v[4:5], v[10:11]
	v_fma_f64 v[2:3], v[2:3], v[10:11], -v[6:7]
	v_mov_b64_e32 v[4:5], v[12:13]
.LBB19_38:
	s_and_saveexec_b64 s[8:9], s[2:3]
	s_cbranch_execz .LBB19_42
; %bb.39:
	v_mov_b32_e32 v7, 0
	v_add_u32_e32 v6, -15, v0
	v_add_u32_e32 v7, 0xf8, v7
	s_movk_i32 s10, 0x230
	s_mov_b64 s[2:3], 0
.LBB19_40:                              ; =>This Inner Loop Header: Depth=1
	v_add_u32_e32 v10, -8, v7
	scratch_load_dwordx4 v[10:13], v10, off
	v_mov_b32_e32 v73, s10
	ds_read_b128 v[74:77], v73
	v_add_u32_e32 v6, -1, v6
	s_add_i32 s10, s10, 16
	v_cmp_eq_u32_e32 vcc, 0, v6
	v_add_u32_e32 v7, 16, v7
	s_or_b64 s[2:3], vcc, s[2:3]
	s_waitcnt vmcnt(0) lgkmcnt(0)
	v_mul_f64 v[78:79], v[76:77], v[12:13]
	v_mul_f64 v[12:13], v[74:75], v[12:13]
	v_fma_f64 v[74:75], v[74:75], v[10:11], -v[78:79]
	v_fmac_f64_e32 v[12:13], v[76:77], v[10:11]
	v_add_f64 v[2:3], v[2:3], v[74:75]
	v_add_f64 v[4:5], v[4:5], v[12:13]
	s_andn2_b64 exec, exec, s[2:3]
	s_cbranch_execnz .LBB19_40
; %bb.41:
	s_or_b64 exec, exec, s[2:3]
.LBB19_42:
	s_or_b64 exec, exec, s[8:9]
	v_mov_b32_e32 v6, 0
	ds_read_b128 v[10:13], v6 offset:224
	s_waitcnt lgkmcnt(0)
	v_mul_f64 v[6:7], v[4:5], v[12:13]
	v_mul_f64 v[76:77], v[2:3], v[12:13]
	v_fma_f64 v[74:75], v[2:3], v[10:11], -v[6:7]
	v_fmac_f64_e32 v[76:77], v[4:5], v[10:11]
	scratch_store_dwordx4 off, v[74:77], off offset:224
.LBB19_43:
	;; [unrolled: 63-line block ×9, first 2 shown]
	s_or_b64 exec, exec, s[4:5]
	scratch_load_dwordx4 v[2:5], v69, off
	v_cmp_lt_u32_e64 s[0:1], 6, v0
	s_waitcnt vmcnt(0)
	ds_write_b128 v9, v[2:5]
	s_waitcnt lgkmcnt(0)
	; wave barrier
	s_waitcnt lgkmcnt(0)
	s_and_saveexec_b64 s[4:5], s[0:1]
	s_cbranch_execz .LBB19_107
; %bb.100:
	ds_read_b128 v[2:5], v9
	s_andn2_b64 vcc, exec, s[6:7]
	s_cbranch_vccnz .LBB19_102
; %bb.101:
	scratch_load_dwordx4 v[10:13], v8, off
	s_waitcnt vmcnt(0) lgkmcnt(0)
	v_mul_f64 v[6:7], v[4:5], v[12:13]
	v_mul_f64 v[12:13], v[2:3], v[12:13]
	v_fmac_f64_e32 v[12:13], v[4:5], v[10:11]
	v_fma_f64 v[2:3], v[2:3], v[10:11], -v[6:7]
	v_mov_b64_e32 v[4:5], v[12:13]
.LBB19_102:
	s_and_saveexec_b64 s[8:9], s[2:3]
	s_cbranch_execz .LBB19_106
; %bb.103:
	v_mov_b32_e32 v7, 0
	v_add_u32_e32 v6, -7, v0
	v_add_u32_e32 v7, 0x78, v7
	s_movk_i32 s10, 0x1b0
	s_mov_b64 s[2:3], 0
.LBB19_104:                             ; =>This Inner Loop Header: Depth=1
	v_add_u32_e32 v10, -8, v7
	scratch_load_dwordx4 v[10:13], v10, off
	v_mov_b32_e32 v73, s10
	ds_read_b128 v[74:77], v73
	v_add_u32_e32 v6, -1, v6
	s_add_i32 s10, s10, 16
	v_cmp_eq_u32_e32 vcc, 0, v6
	v_add_u32_e32 v7, 16, v7
	s_or_b64 s[2:3], vcc, s[2:3]
	s_waitcnt vmcnt(0) lgkmcnt(0)
	v_mul_f64 v[78:79], v[76:77], v[12:13]
	v_mul_f64 v[12:13], v[74:75], v[12:13]
	v_fma_f64 v[74:75], v[74:75], v[10:11], -v[78:79]
	v_fmac_f64_e32 v[12:13], v[76:77], v[10:11]
	v_add_f64 v[2:3], v[2:3], v[74:75]
	v_add_f64 v[4:5], v[4:5], v[12:13]
	s_andn2_b64 exec, exec, s[2:3]
	s_cbranch_execnz .LBB19_104
; %bb.105:
	s_or_b64 exec, exec, s[2:3]
.LBB19_106:
	s_or_b64 exec, exec, s[8:9]
	v_mov_b32_e32 v6, 0
	ds_read_b128 v[10:13], v6 offset:96
	s_waitcnt lgkmcnt(0)
	v_mul_f64 v[6:7], v[4:5], v[12:13]
	v_mul_f64 v[76:77], v[2:3], v[12:13]
	v_fma_f64 v[74:75], v[2:3], v[10:11], -v[6:7]
	v_fmac_f64_e32 v[76:77], v[4:5], v[10:11]
	scratch_store_dwordx4 off, v[74:77], off offset:96
.LBB19_107:
	s_or_b64 exec, exec, s[4:5]
	scratch_load_dwordx4 v[2:5], v71, off
	v_cmp_lt_u32_e64 s[2:3], 5, v0
	s_waitcnt vmcnt(0)
	ds_write_b128 v9, v[2:5]
	s_waitcnt lgkmcnt(0)
	; wave barrier
	s_waitcnt lgkmcnt(0)
	s_and_saveexec_b64 s[4:5], s[2:3]
	s_cbranch_execz .LBB19_115
; %bb.108:
	ds_read_b128 v[2:5], v9
	s_andn2_b64 vcc, exec, s[6:7]
	s_cbranch_vccnz .LBB19_110
; %bb.109:
	scratch_load_dwordx4 v[10:13], v8, off
	s_waitcnt vmcnt(0) lgkmcnt(0)
	v_mul_f64 v[6:7], v[4:5], v[12:13]
	v_mul_f64 v[12:13], v[2:3], v[12:13]
	v_fmac_f64_e32 v[12:13], v[4:5], v[10:11]
	v_fma_f64 v[2:3], v[2:3], v[10:11], -v[6:7]
	v_mov_b64_e32 v[4:5], v[12:13]
.LBB19_110:
	s_and_saveexec_b64 s[8:9], s[0:1]
	s_cbranch_execz .LBB19_114
; %bb.111:
	v_mov_b32_e32 v7, 0
	v_add_u32_e32 v6, -6, v0
	v_add_u32_e32 v7, 0x68, v7
	s_movk_i32 s10, 0x1a0
	s_mov_b64 s[0:1], 0
.LBB19_112:                             ; =>This Inner Loop Header: Depth=1
	v_add_u32_e32 v10, -8, v7
	scratch_load_dwordx4 v[10:13], v10, off
	v_mov_b32_e32 v73, s10
	ds_read_b128 v[74:77], v73
	v_add_u32_e32 v6, -1, v6
	s_add_i32 s10, s10, 16
	v_cmp_eq_u32_e32 vcc, 0, v6
	v_add_u32_e32 v7, 16, v7
	s_or_b64 s[0:1], vcc, s[0:1]
	s_waitcnt vmcnt(0) lgkmcnt(0)
	v_mul_f64 v[78:79], v[76:77], v[12:13]
	v_mul_f64 v[12:13], v[74:75], v[12:13]
	v_fma_f64 v[74:75], v[74:75], v[10:11], -v[78:79]
	v_fmac_f64_e32 v[12:13], v[76:77], v[10:11]
	v_add_f64 v[2:3], v[2:3], v[74:75]
	v_add_f64 v[4:5], v[4:5], v[12:13]
	s_andn2_b64 exec, exec, s[0:1]
	s_cbranch_execnz .LBB19_112
; %bb.113:
	s_or_b64 exec, exec, s[0:1]
.LBB19_114:
	s_or_b64 exec, exec, s[8:9]
	v_mov_b32_e32 v6, 0
	ds_read_b128 v[10:13], v6 offset:80
	s_waitcnt lgkmcnt(0)
	v_mul_f64 v[6:7], v[4:5], v[12:13]
	v_mul_f64 v[76:77], v[2:3], v[12:13]
	v_fma_f64 v[74:75], v[2:3], v[10:11], -v[6:7]
	v_fmac_f64_e32 v[76:77], v[4:5], v[10:11]
	scratch_store_dwordx4 off, v[74:77], off offset:80
.LBB19_115:
	;; [unrolled: 63-line block ×6, first 2 shown]
	s_or_b64 exec, exec, s[2:3]
	scratch_load_dwordx4 v[2:5], off, off
	v_cmp_ne_u32_e32 vcc, 0, v0
	s_mov_b64 s[2:3], 0
	s_mov_b64 s[4:5], 0
                                        ; implicit-def: $vgpr6_vgpr7
                                        ; implicit-def: $vgpr10
	s_waitcnt vmcnt(0)
	ds_write_b128 v9, v[2:5]
	s_waitcnt lgkmcnt(0)
	; wave barrier
	s_waitcnt lgkmcnt(0)
	s_and_saveexec_b64 s[8:9], vcc
	s_cbranch_execz .LBB19_155
; %bb.148:
	ds_read_b128 v[2:5], v9
	s_andn2_b64 vcc, exec, s[6:7]
	s_cbranch_vccnz .LBB19_150
; %bb.149:
	scratch_load_dwordx4 v[10:13], v8, off
	s_waitcnt vmcnt(0) lgkmcnt(0)
	v_mul_f64 v[6:7], v[4:5], v[12:13]
	v_mul_f64 v[12:13], v[2:3], v[12:13]
	v_fmac_f64_e32 v[12:13], v[4:5], v[10:11]
	v_fma_f64 v[2:3], v[2:3], v[10:11], -v[6:7]
	v_mov_b64_e32 v[4:5], v[12:13]
.LBB19_150:
	s_and_saveexec_b64 s[4:5], s[0:1]
	s_cbranch_execz .LBB19_154
; %bb.151:
	v_mov_b32_e32 v7, 0
	v_add_u32_e32 v6, -1, v0
	v_add_u32_e32 v7, 24, v7
	s_movk_i32 s10, 0x150
	s_mov_b64 s[0:1], 0
.LBB19_152:                             ; =>This Inner Loop Header: Depth=1
	v_add_u32_e32 v10, -8, v7
	scratch_load_dwordx4 v[10:13], v10, off
	v_mov_b32_e32 v73, s10
	ds_read_b128 v[74:77], v73
	v_add_u32_e32 v6, -1, v6
	s_add_i32 s10, s10, 16
	v_cmp_eq_u32_e32 vcc, 0, v6
	v_add_u32_e32 v7, 16, v7
	s_or_b64 s[0:1], vcc, s[0:1]
	s_waitcnt vmcnt(0) lgkmcnt(0)
	v_mul_f64 v[78:79], v[76:77], v[12:13]
	v_mul_f64 v[12:13], v[74:75], v[12:13]
	v_fma_f64 v[74:75], v[74:75], v[10:11], -v[78:79]
	v_fmac_f64_e32 v[12:13], v[76:77], v[10:11]
	v_add_f64 v[2:3], v[2:3], v[74:75]
	v_add_f64 v[4:5], v[4:5], v[12:13]
	s_andn2_b64 exec, exec, s[0:1]
	s_cbranch_execnz .LBB19_152
; %bb.153:
	s_or_b64 exec, exec, s[0:1]
.LBB19_154:
	s_or_b64 exec, exec, s[4:5]
	v_mov_b32_e32 v6, 0
	ds_read_b128 v[74:77], v6
	v_mov_b32_e32 v6, 0
	v_or_b32_e32 v10, 8, v6
	s_mov_b64 s[4:5], exec
	s_waitcnt lgkmcnt(0)
	v_mul_f64 v[12:13], v[4:5], v[76:77]
	v_mul_f64 v[6:7], v[2:3], v[76:77]
	v_fma_f64 v[2:3], v[2:3], v[74:75], -v[12:13]
	v_fmac_f64_e32 v[6:7], v[4:5], v[74:75]
	scratch_store_dwordx2 off, v[2:3], off
.LBB19_155:
	s_or_b64 exec, exec, s[8:9]
	s_and_b64 vcc, exec, s[2:3]
	s_cbranch_vccnz .LBB19_157
	s_branch .LBB19_304
.LBB19_156:
	s_mov_b64 s[4:5], 0
                                        ; implicit-def: $vgpr6_vgpr7
                                        ; implicit-def: $vgpr10
	s_cbranch_execz .LBB19_304
.LBB19_157:
	scratch_load_dwordx4 v[2:5], v64, off
	v_cndmask_b32_e64 v6, 0, 1, s[6:7]
	v_cmp_eq_u32_e64 s[2:3], 0, v0
	v_cmp_ne_u32_e64 s[0:1], 1, v6
	s_waitcnt vmcnt(0)
	ds_write_b128 v9, v[2:5]
	s_waitcnt lgkmcnt(0)
	; wave barrier
	s_waitcnt lgkmcnt(0)
	s_and_saveexec_b64 s[6:7], s[2:3]
	s_cbranch_execz .LBB19_161
; %bb.158:
	ds_read_b128 v[2:5], v9
	s_and_b64 vcc, exec, s[0:1]
	s_cbranch_vccnz .LBB19_160
; %bb.159:
	scratch_load_dwordx4 v[10:13], v8, off
	s_waitcnt vmcnt(0) lgkmcnt(0)
	v_mul_f64 v[6:7], v[4:5], v[12:13]
	v_mul_f64 v[12:13], v[2:3], v[12:13]
	v_fmac_f64_e32 v[12:13], v[4:5], v[10:11]
	v_fma_f64 v[2:3], v[2:3], v[10:11], -v[6:7]
	v_mov_b64_e32 v[4:5], v[12:13]
.LBB19_160:
	v_mov_b32_e32 v6, 0
	ds_read_b128 v[10:13], v6 offset:16
	s_waitcnt lgkmcnt(0)
	v_mul_f64 v[6:7], v[4:5], v[12:13]
	v_mul_f64 v[76:77], v[2:3], v[12:13]
	v_fma_f64 v[74:75], v[2:3], v[10:11], -v[6:7]
	v_fmac_f64_e32 v[76:77], v[4:5], v[10:11]
	scratch_store_dwordx4 off, v[74:77], off offset:16
.LBB19_161:
	s_or_b64 exec, exec, s[6:7]
	scratch_load_dwordx4 v[2:5], v65, off
	v_cmp_gt_u32_e32 vcc, 2, v0
	s_waitcnt vmcnt(0)
	ds_write_b128 v9, v[2:5]
	s_waitcnt lgkmcnt(0)
	; wave barrier
	s_waitcnt lgkmcnt(0)
	s_and_saveexec_b64 s[6:7], vcc
	s_cbranch_execz .LBB19_167
; %bb.162:
	ds_read_b128 v[2:5], v9
	s_and_b64 vcc, exec, s[0:1]
	s_cbranch_vccnz .LBB19_164
; %bb.163:
	scratch_load_dwordx4 v[10:13], v8, off
	s_waitcnt vmcnt(0) lgkmcnt(0)
	v_mul_f64 v[6:7], v[4:5], v[12:13]
	v_mul_f64 v[12:13], v[2:3], v[12:13]
	v_fmac_f64_e32 v[12:13], v[4:5], v[10:11]
	v_fma_f64 v[2:3], v[2:3], v[10:11], -v[6:7]
	v_mov_b64_e32 v[4:5], v[12:13]
.LBB19_164:
	s_and_saveexec_b64 s[8:9], s[2:3]
	s_cbranch_execz .LBB19_166
; %bb.165:
	scratch_load_dwordx4 v[10:13], v8, off offset:16
	ds_read_b128 v[74:77], v9 offset:16
	s_waitcnt vmcnt(0) lgkmcnt(0)
	v_mul_f64 v[6:7], v[76:77], v[12:13]
	v_mul_f64 v[12:13], v[74:75], v[12:13]
	v_fma_f64 v[6:7], v[74:75], v[10:11], -v[6:7]
	v_fmac_f64_e32 v[12:13], v[76:77], v[10:11]
	v_add_f64 v[2:3], v[2:3], v[6:7]
	v_add_f64 v[4:5], v[4:5], v[12:13]
.LBB19_166:
	s_or_b64 exec, exec, s[8:9]
	v_mov_b32_e32 v6, 0
	ds_read_b128 v[10:13], v6 offset:32
	s_waitcnt lgkmcnt(0)
	v_mul_f64 v[6:7], v[4:5], v[12:13]
	v_mul_f64 v[76:77], v[2:3], v[12:13]
	v_fma_f64 v[74:75], v[2:3], v[10:11], -v[6:7]
	v_fmac_f64_e32 v[76:77], v[4:5], v[10:11]
	scratch_store_dwordx4 off, v[74:77], off offset:32
.LBB19_167:
	s_or_b64 exec, exec, s[6:7]
	scratch_load_dwordx4 v[2:5], v70, off
	v_cmp_gt_u32_e32 vcc, 3, v0
	s_waitcnt vmcnt(0)
	ds_write_b128 v9, v[2:5]
	s_waitcnt lgkmcnt(0)
	; wave barrier
	s_waitcnt lgkmcnt(0)
	s_and_saveexec_b64 s[6:7], vcc
	s_cbranch_execz .LBB19_175
; %bb.168:
	ds_read_b128 v[2:5], v9
	s_and_b64 vcc, exec, s[0:1]
	s_cbranch_vccnz .LBB19_170
; %bb.169:
	scratch_load_dwordx4 v[10:13], v8, off
	s_waitcnt vmcnt(0) lgkmcnt(0)
	v_mul_f64 v[6:7], v[4:5], v[12:13]
	v_mul_f64 v[12:13], v[2:3], v[12:13]
	v_fmac_f64_e32 v[12:13], v[4:5], v[10:11]
	v_fma_f64 v[2:3], v[2:3], v[10:11], -v[6:7]
	v_mov_b64_e32 v[4:5], v[12:13]
.LBB19_170:
	v_cmp_ne_u32_e32 vcc, 2, v0
	s_and_saveexec_b64 s[8:9], vcc
	s_cbranch_execz .LBB19_174
; %bb.171:
	scratch_load_dwordx4 v[10:13], v8, off offset:16
	ds_read_b128 v[74:77], v9 offset:16
	s_waitcnt vmcnt(0) lgkmcnt(0)
	v_mul_f64 v[6:7], v[76:77], v[12:13]
	v_mul_f64 v[12:13], v[74:75], v[12:13]
	v_fma_f64 v[6:7], v[74:75], v[10:11], -v[6:7]
	v_fmac_f64_e32 v[12:13], v[76:77], v[10:11]
	v_add_f64 v[2:3], v[2:3], v[6:7]
	v_add_f64 v[4:5], v[4:5], v[12:13]
	s_and_saveexec_b64 s[10:11], s[2:3]
	s_cbranch_execz .LBB19_173
; %bb.172:
	scratch_load_dwordx4 v[10:13], off, off offset:32
	v_mov_b32_e32 v6, 0
	ds_read_b128 v[74:77], v6 offset:352
	s_waitcnt vmcnt(0) lgkmcnt(0)
	v_mul_f64 v[6:7], v[74:75], v[12:13]
	v_mul_f64 v[12:13], v[76:77], v[12:13]
	v_fmac_f64_e32 v[6:7], v[76:77], v[10:11]
	v_fma_f64 v[10:11], v[74:75], v[10:11], -v[12:13]
	v_add_f64 v[4:5], v[4:5], v[6:7]
	v_add_f64 v[2:3], v[2:3], v[10:11]
.LBB19_173:
	s_or_b64 exec, exec, s[10:11]
.LBB19_174:
	s_or_b64 exec, exec, s[8:9]
	v_mov_b32_e32 v6, 0
	ds_read_b128 v[10:13], v6 offset:48
	s_waitcnt lgkmcnt(0)
	v_mul_f64 v[6:7], v[4:5], v[12:13]
	v_mul_f64 v[76:77], v[2:3], v[12:13]
	v_fma_f64 v[74:75], v[2:3], v[10:11], -v[6:7]
	v_fmac_f64_e32 v[76:77], v[4:5], v[10:11]
	scratch_store_dwordx4 off, v[74:77], off offset:48
.LBB19_175:
	s_or_b64 exec, exec, s[6:7]
	scratch_load_dwordx4 v[2:5], v67, off
	v_cmp_gt_u32_e32 vcc, 4, v0
	s_waitcnt vmcnt(0)
	ds_write_b128 v9, v[2:5]
	s_waitcnt lgkmcnt(0)
	; wave barrier
	s_waitcnt lgkmcnt(0)
	s_and_saveexec_b64 s[2:3], vcc
	s_cbranch_execz .LBB19_183
; %bb.176:
	ds_read_b128 v[2:5], v9
	s_and_b64 vcc, exec, s[0:1]
	s_cbranch_vccnz .LBB19_178
; %bb.177:
	scratch_load_dwordx4 v[10:13], v8, off
	s_waitcnt vmcnt(0) lgkmcnt(0)
	v_mul_f64 v[6:7], v[4:5], v[12:13]
	v_mul_f64 v[12:13], v[2:3], v[12:13]
	v_fmac_f64_e32 v[12:13], v[4:5], v[10:11]
	v_fma_f64 v[2:3], v[2:3], v[10:11], -v[6:7]
	v_mov_b64_e32 v[4:5], v[12:13]
.LBB19_178:
	v_cmp_ne_u32_e32 vcc, 3, v0
	s_and_saveexec_b64 s[6:7], vcc
	s_cbranch_execz .LBB19_182
; %bb.179:
	v_mov_b32_e32 v7, 0
	v_add_u32_e32 v6, 0x150, v38
	v_add3_u32 v7, v38, v7, 24
	s_mov_b64 s[8:9], 0
	v_mov_b32_e32 v10, v0
.LBB19_180:                             ; =>This Inner Loop Header: Depth=1
	v_add_u32_e32 v11, -8, v7
	scratch_load_dwordx4 v[74:77], v11, off
	ds_read_b128 v[78:81], v6
	v_add_u32_e32 v10, 1, v10
	v_cmp_lt_u32_e32 vcc, 2, v10
	v_add_u32_e32 v6, 16, v6
	v_add_u32_e32 v7, 16, v7
	s_or_b64 s[8:9], vcc, s[8:9]
	s_waitcnt vmcnt(0) lgkmcnt(0)
	v_mul_f64 v[12:13], v[80:81], v[76:77]
	v_mul_f64 v[76:77], v[78:79], v[76:77]
	v_fma_f64 v[12:13], v[78:79], v[74:75], -v[12:13]
	v_fmac_f64_e32 v[76:77], v[80:81], v[74:75]
	v_add_f64 v[2:3], v[2:3], v[12:13]
	v_add_f64 v[4:5], v[4:5], v[76:77]
	s_andn2_b64 exec, exec, s[8:9]
	s_cbranch_execnz .LBB19_180
; %bb.181:
	s_or_b64 exec, exec, s[8:9]
.LBB19_182:
	s_or_b64 exec, exec, s[6:7]
	v_mov_b32_e32 v6, 0
	ds_read_b128 v[10:13], v6 offset:64
	s_waitcnt lgkmcnt(0)
	v_mul_f64 v[6:7], v[4:5], v[12:13]
	v_mul_f64 v[76:77], v[2:3], v[12:13]
	v_fma_f64 v[74:75], v[2:3], v[10:11], -v[6:7]
	v_fmac_f64_e32 v[76:77], v[4:5], v[10:11]
	scratch_store_dwordx4 off, v[74:77], off offset:64
.LBB19_183:
	s_or_b64 exec, exec, s[2:3]
	scratch_load_dwordx4 v[2:5], v71, off
	v_cmp_gt_u32_e32 vcc, 5, v0
	s_waitcnt vmcnt(0)
	ds_write_b128 v9, v[2:5]
	s_waitcnt lgkmcnt(0)
	; wave barrier
	s_waitcnt lgkmcnt(0)
	s_and_saveexec_b64 s[2:3], vcc
	s_cbranch_execz .LBB19_191
; %bb.184:
	ds_read_b128 v[2:5], v9
	s_and_b64 vcc, exec, s[0:1]
	s_cbranch_vccnz .LBB19_186
; %bb.185:
	scratch_load_dwordx4 v[10:13], v8, off
	s_waitcnt vmcnt(0) lgkmcnt(0)
	v_mul_f64 v[6:7], v[4:5], v[12:13]
	v_mul_f64 v[12:13], v[2:3], v[12:13]
	v_fmac_f64_e32 v[12:13], v[4:5], v[10:11]
	v_fma_f64 v[2:3], v[2:3], v[10:11], -v[6:7]
	v_mov_b64_e32 v[4:5], v[12:13]
.LBB19_186:
	v_cmp_ne_u32_e32 vcc, 4, v0
	s_and_saveexec_b64 s[6:7], vcc
	s_cbranch_execz .LBB19_190
; %bb.187:
	v_mov_b32_e32 v7, 0
	v_add_u32_e32 v6, 0x150, v38
	v_add3_u32 v7, v38, v7, 24
	s_mov_b64 s[8:9], 0
	v_mov_b32_e32 v10, v0
.LBB19_188:                             ; =>This Inner Loop Header: Depth=1
	v_add_u32_e32 v11, -8, v7
	scratch_load_dwordx4 v[74:77], v11, off
	ds_read_b128 v[78:81], v6
	v_add_u32_e32 v10, 1, v10
	v_cmp_lt_u32_e32 vcc, 3, v10
	v_add_u32_e32 v6, 16, v6
	v_add_u32_e32 v7, 16, v7
	s_or_b64 s[8:9], vcc, s[8:9]
	s_waitcnt vmcnt(0) lgkmcnt(0)
	v_mul_f64 v[12:13], v[80:81], v[76:77]
	v_mul_f64 v[76:77], v[78:79], v[76:77]
	v_fma_f64 v[12:13], v[78:79], v[74:75], -v[12:13]
	v_fmac_f64_e32 v[76:77], v[80:81], v[74:75]
	v_add_f64 v[2:3], v[2:3], v[12:13]
	v_add_f64 v[4:5], v[4:5], v[76:77]
	s_andn2_b64 exec, exec, s[8:9]
	s_cbranch_execnz .LBB19_188
; %bb.189:
	s_or_b64 exec, exec, s[8:9]
.LBB19_190:
	s_or_b64 exec, exec, s[6:7]
	v_mov_b32_e32 v6, 0
	ds_read_b128 v[10:13], v6 offset:80
	s_waitcnt lgkmcnt(0)
	v_mul_f64 v[6:7], v[4:5], v[12:13]
	v_mul_f64 v[76:77], v[2:3], v[12:13]
	v_fma_f64 v[74:75], v[2:3], v[10:11], -v[6:7]
	v_fmac_f64_e32 v[76:77], v[4:5], v[10:11]
	scratch_store_dwordx4 off, v[74:77], off offset:80
.LBB19_191:
	;; [unrolled: 63-line block ×14, first 2 shown]
	s_or_b64 exec, exec, s[2:3]
	scratch_load_dwordx4 v[2:5], v1, off
	v_cmp_gt_u32_e64 s[2:3], 18, v0
	s_waitcnt vmcnt(0)
	ds_write_b128 v9, v[2:5]
	s_waitcnt lgkmcnt(0)
	; wave barrier
	s_waitcnt lgkmcnt(0)
	s_and_saveexec_b64 s[6:7], s[2:3]
	s_cbranch_execz .LBB19_295
; %bb.288:
	ds_read_b128 v[2:5], v9
	s_and_b64 vcc, exec, s[0:1]
	s_cbranch_vccnz .LBB19_290
; %bb.289:
	scratch_load_dwordx4 v[10:13], v8, off
	s_waitcnt vmcnt(0) lgkmcnt(0)
	v_mul_f64 v[6:7], v[4:5], v[12:13]
	v_mul_f64 v[12:13], v[2:3], v[12:13]
	v_fmac_f64_e32 v[12:13], v[4:5], v[10:11]
	v_fma_f64 v[2:3], v[2:3], v[10:11], -v[6:7]
	v_mov_b64_e32 v[4:5], v[12:13]
.LBB19_290:
	v_cmp_ne_u32_e32 vcc, 17, v0
	s_and_saveexec_b64 s[8:9], vcc
	s_cbranch_execz .LBB19_294
; %bb.291:
	v_mov_b32_e32 v7, 0
	v_add_u32_e32 v6, 0x150, v38
	v_add3_u32 v7, v38, v7, 24
	s_mov_b64 s[10:11], 0
	v_mov_b32_e32 v10, v0
.LBB19_292:                             ; =>This Inner Loop Header: Depth=1
	v_add_u32_e32 v11, -8, v7
	scratch_load_dwordx4 v[74:77], v11, off
	ds_read_b128 v[78:81], v6
	v_add_u32_e32 v10, 1, v10
	v_cmp_lt_u32_e32 vcc, 16, v10
	v_add_u32_e32 v6, 16, v6
	v_add_u32_e32 v7, 16, v7
	s_or_b64 s[10:11], vcc, s[10:11]
	s_waitcnt vmcnt(0) lgkmcnt(0)
	v_mul_f64 v[12:13], v[80:81], v[76:77]
	v_mul_f64 v[76:77], v[78:79], v[76:77]
	v_fma_f64 v[12:13], v[78:79], v[74:75], -v[12:13]
	v_fmac_f64_e32 v[76:77], v[80:81], v[74:75]
	v_add_f64 v[2:3], v[2:3], v[12:13]
	v_add_f64 v[4:5], v[4:5], v[76:77]
	s_andn2_b64 exec, exec, s[10:11]
	s_cbranch_execnz .LBB19_292
; %bb.293:
	s_or_b64 exec, exec, s[10:11]
.LBB19_294:
	s_or_b64 exec, exec, s[8:9]
	v_mov_b32_e32 v6, 0
	ds_read_b128 v[10:13], v6 offset:288
	s_waitcnt lgkmcnt(0)
	v_mul_f64 v[6:7], v[4:5], v[12:13]
	v_mul_f64 v[76:77], v[2:3], v[12:13]
	v_fma_f64 v[74:75], v[2:3], v[10:11], -v[6:7]
	v_fmac_f64_e32 v[76:77], v[4:5], v[10:11]
	scratch_store_dwordx4 off, v[74:77], off offset:288
.LBB19_295:
	s_or_b64 exec, exec, s[6:7]
	scratch_load_dwordx4 v[2:5], v39, off
	v_cmp_ne_u32_e32 vcc, 19, v0
                                        ; implicit-def: $vgpr6_vgpr7
                                        ; implicit-def: $vgpr10
	s_waitcnt vmcnt(0)
	ds_write_b128 v9, v[2:5]
	s_waitcnt lgkmcnt(0)
	; wave barrier
	s_waitcnt lgkmcnt(0)
	s_and_saveexec_b64 s[6:7], vcc
	s_cbranch_execz .LBB19_303
; %bb.296:
	ds_read_b128 v[2:5], v9
	s_and_b64 vcc, exec, s[0:1]
	s_cbranch_vccnz .LBB19_298
; %bb.297:
	scratch_load_dwordx4 v[6:9], v8, off
	s_waitcnt vmcnt(0) lgkmcnt(0)
	v_mul_f64 v[10:11], v[4:5], v[8:9]
	v_mul_f64 v[8:9], v[2:3], v[8:9]
	v_fmac_f64_e32 v[8:9], v[4:5], v[6:7]
	v_fma_f64 v[2:3], v[2:3], v[6:7], -v[10:11]
	v_mov_b64_e32 v[4:5], v[8:9]
.LBB19_298:
	s_and_saveexec_b64 s[0:1], s[2:3]
	s_cbranch_execz .LBB19_302
; %bb.299:
	v_mov_b32_e32 v7, 0
	v_add_u32_e32 v6, 0x150, v38
	v_add3_u32 v7, v38, v7, 24
	s_mov_b64 s[2:3], 0
.LBB19_300:                             ; =>This Inner Loop Header: Depth=1
	v_add_u32_e32 v8, -8, v7
	scratch_load_dwordx4 v[8:11], v8, off
	ds_read_b128 v[74:77], v6
	v_add_u32_e32 v0, 1, v0
	v_cmp_lt_u32_e32 vcc, 17, v0
	v_add_u32_e32 v6, 16, v6
	v_add_u32_e32 v7, 16, v7
	s_or_b64 s[2:3], vcc, s[2:3]
	s_waitcnt vmcnt(0) lgkmcnt(0)
	v_mul_f64 v[12:13], v[76:77], v[10:11]
	v_mul_f64 v[10:11], v[74:75], v[10:11]
	v_fma_f64 v[12:13], v[74:75], v[8:9], -v[12:13]
	v_fmac_f64_e32 v[10:11], v[76:77], v[8:9]
	v_add_f64 v[2:3], v[2:3], v[12:13]
	v_add_f64 v[4:5], v[4:5], v[10:11]
	s_andn2_b64 exec, exec, s[2:3]
	s_cbranch_execnz .LBB19_300
; %bb.301:
	s_or_b64 exec, exec, s[2:3]
.LBB19_302:
	s_or_b64 exec, exec, s[0:1]
	v_mov_b32_e32 v0, 0
	ds_read_b128 v[74:77], v0 offset:304
	v_mov_b32_e32 v0, 0
	v_add_u32_e32 v10, 0x138, v0
	s_or_b64 s[4:5], s[4:5], exec
	s_waitcnt lgkmcnt(0)
	v_mul_f64 v[8:9], v[4:5], v[76:77]
	v_mul_f64 v[6:7], v[2:3], v[76:77]
	v_fma_f64 v[2:3], v[2:3], v[74:75], -v[8:9]
	v_fmac_f64_e32 v[6:7], v[4:5], v[74:75]
	scratch_store_dwordx2 off, v[2:3], off offset:304
.LBB19_303:
	s_or_b64 exec, exec, s[6:7]
.LBB19_304:
	s_and_saveexec_b64 s[0:1], s[4:5]
	s_cbranch_execz .LBB19_306
; %bb.305:
	scratch_store_dwordx2 v10, v[6:7], off
.LBB19_306:
	s_or_b64 exec, exec, s[0:1]
	scratch_load_dwordx4 v[2:5], off, off
	scratch_load_dwordx4 v[6:9], v64, off
	scratch_load_dwordx4 v[10:13], v65, off
	scratch_load_dwordx4 v[74:77], v70, off
	scratch_load_dwordx4 v[78:81], v67, off
	scratch_load_dwordx4 v[82:85], v71, off
	scratch_load_dwordx4 v[86:89], v69, off
	scratch_load_dwordx4 v[90:93], v72, off
	scratch_load_dwordx4 v[94:97], v68, off
                                        ; kill: killed $vgpr70
                                        ; kill: killed $vgpr71
                                        ; kill: killed $vgpr72
                                        ; kill: killed $vgpr65
                                        ; kill: killed $vgpr67
                                        ; kill: killed $vgpr69
                                        ; kill: killed $vgpr64
                                        ; kill: killed $vgpr68
	s_nop 0
	scratch_load_dwordx4 v[64:67], v66, off
	s_waitcnt vmcnt(9)
	global_store_dwordx4 v[16:17], v[2:5], off
	scratch_load_dwordx4 v[2:5], v63, off
	s_nop 0
	scratch_load_dwordx4 v[68:71], v62, off
	s_waitcnt vmcnt(11)
	global_store_dwordx4 v[14:15], v[6:9], off
	scratch_load_dwordx4 v[6:9], v61, off
	;; [unrolled: 5-line block ×5, first 2 shown]
	s_nop 0
	scratch_load_dwordx4 v[76:79], v39, off
	s_waitcnt vmcnt(19)
	global_store_dwordx4 v[22:23], v[82:85], off
	s_waitcnt vmcnt(19)
	global_store_dwordx4 v[26:27], v[86:89], off
	;; [unrolled: 2-line block ×15, first 2 shown]
.LBB19_307:
	s_endpgm
	.section	.rodata,"a",@progbits
	.p2align	6, 0x0
	.amdhsa_kernel _ZN9rocsolver6v33100L18trti2_kernel_smallILi20E19rocblas_complex_numIdEPS3_EEv13rocblas_fill_17rocblas_diagonal_T1_iil
		.amdhsa_group_segment_fixed_size 640
		.amdhsa_private_segment_fixed_size 336
		.amdhsa_kernarg_size 32
		.amdhsa_user_sgpr_count 2
		.amdhsa_user_sgpr_dispatch_ptr 0
		.amdhsa_user_sgpr_queue_ptr 0
		.amdhsa_user_sgpr_kernarg_segment_ptr 1
		.amdhsa_user_sgpr_dispatch_id 0
		.amdhsa_user_sgpr_kernarg_preload_length 0
		.amdhsa_user_sgpr_kernarg_preload_offset 0
		.amdhsa_user_sgpr_private_segment_size 0
		.amdhsa_uses_dynamic_stack 0
		.amdhsa_enable_private_segment 1
		.amdhsa_system_sgpr_workgroup_id_x 1
		.amdhsa_system_sgpr_workgroup_id_y 0
		.amdhsa_system_sgpr_workgroup_id_z 0
		.amdhsa_system_sgpr_workgroup_info 0
		.amdhsa_system_vgpr_workitem_id 0
		.amdhsa_next_free_vgpr 98
		.amdhsa_next_free_sgpr 12
		.amdhsa_accum_offset 100
		.amdhsa_reserve_vcc 1
		.amdhsa_float_round_mode_32 0
		.amdhsa_float_round_mode_16_64 0
		.amdhsa_float_denorm_mode_32 3
		.amdhsa_float_denorm_mode_16_64 3
		.amdhsa_dx10_clamp 1
		.amdhsa_ieee_mode 1
		.amdhsa_fp16_overflow 0
		.amdhsa_tg_split 0
		.amdhsa_exception_fp_ieee_invalid_op 0
		.amdhsa_exception_fp_denorm_src 0
		.amdhsa_exception_fp_ieee_div_zero 0
		.amdhsa_exception_fp_ieee_overflow 0
		.amdhsa_exception_fp_ieee_underflow 0
		.amdhsa_exception_fp_ieee_inexact 0
		.amdhsa_exception_int_div_zero 0
	.end_amdhsa_kernel
	.section	.text._ZN9rocsolver6v33100L18trti2_kernel_smallILi20E19rocblas_complex_numIdEPS3_EEv13rocblas_fill_17rocblas_diagonal_T1_iil,"axG",@progbits,_ZN9rocsolver6v33100L18trti2_kernel_smallILi20E19rocblas_complex_numIdEPS3_EEv13rocblas_fill_17rocblas_diagonal_T1_iil,comdat
.Lfunc_end19:
	.size	_ZN9rocsolver6v33100L18trti2_kernel_smallILi20E19rocblas_complex_numIdEPS3_EEv13rocblas_fill_17rocblas_diagonal_T1_iil, .Lfunc_end19-_ZN9rocsolver6v33100L18trti2_kernel_smallILi20E19rocblas_complex_numIdEPS3_EEv13rocblas_fill_17rocblas_diagonal_T1_iil
                                        ; -- End function
	.section	.AMDGPU.csdata,"",@progbits
; Kernel info:
; codeLenInByte = 13008
; NumSgprs: 18
; NumVgprs: 98
; NumAgprs: 0
; TotalNumVgprs: 98
; ScratchSize: 336
; MemoryBound: 0
; FloatMode: 240
; IeeeMode: 1
; LDSByteSize: 640 bytes/workgroup (compile time only)
; SGPRBlocks: 2
; VGPRBlocks: 12
; NumSGPRsForWavesPerEU: 18
; NumVGPRsForWavesPerEU: 98
; AccumOffset: 100
; Occupancy: 4
; WaveLimiterHint : 0
; COMPUTE_PGM_RSRC2:SCRATCH_EN: 1
; COMPUTE_PGM_RSRC2:USER_SGPR: 2
; COMPUTE_PGM_RSRC2:TRAP_HANDLER: 0
; COMPUTE_PGM_RSRC2:TGID_X_EN: 1
; COMPUTE_PGM_RSRC2:TGID_Y_EN: 0
; COMPUTE_PGM_RSRC2:TGID_Z_EN: 0
; COMPUTE_PGM_RSRC2:TIDIG_COMP_CNT: 0
; COMPUTE_PGM_RSRC3_GFX90A:ACCUM_OFFSET: 24
; COMPUTE_PGM_RSRC3_GFX90A:TG_SPLIT: 0
	.section	.text._ZN9rocsolver6v33100L18trti2_kernel_smallILi21E19rocblas_complex_numIdEPS3_EEv13rocblas_fill_17rocblas_diagonal_T1_iil,"axG",@progbits,_ZN9rocsolver6v33100L18trti2_kernel_smallILi21E19rocblas_complex_numIdEPS3_EEv13rocblas_fill_17rocblas_diagonal_T1_iil,comdat
	.globl	_ZN9rocsolver6v33100L18trti2_kernel_smallILi21E19rocblas_complex_numIdEPS3_EEv13rocblas_fill_17rocblas_diagonal_T1_iil ; -- Begin function _ZN9rocsolver6v33100L18trti2_kernel_smallILi21E19rocblas_complex_numIdEPS3_EEv13rocblas_fill_17rocblas_diagonal_T1_iil
	.p2align	8
	.type	_ZN9rocsolver6v33100L18trti2_kernel_smallILi21E19rocblas_complex_numIdEPS3_EEv13rocblas_fill_17rocblas_diagonal_T1_iil,@function
_ZN9rocsolver6v33100L18trti2_kernel_smallILi21E19rocblas_complex_numIdEPS3_EEv13rocblas_fill_17rocblas_diagonal_T1_iil: ; @_ZN9rocsolver6v33100L18trti2_kernel_smallILi21E19rocblas_complex_numIdEPS3_EEv13rocblas_fill_17rocblas_diagonal_T1_iil
; %bb.0:
	v_cmp_gt_u32_e32 vcc, 21, v0
	s_and_saveexec_b64 s[4:5], vcc
	s_cbranch_execz .LBB20_323
; %bb.1:
	s_load_dwordx8 s[4:11], s[0:1], 0x0
	s_ashr_i32 s3, s2, 31
	v_lshlrev_b32_e32 v54, 4, v0
	v_mov_b32_e32 v55, 0
	s_waitcnt lgkmcnt(0)
	s_ashr_i32 s1, s8, 31
	s_mov_b32 s0, s8
	s_mul_i32 s8, s2, s11
	s_mul_hi_u32 s11, s2, s10
	s_add_i32 s8, s11, s8
	s_mul_i32 s3, s3, s10
	s_add_i32 s3, s8, s3
	s_mul_i32 s2, s2, s10
	s_lshl_b64 s[2:3], s[2:3], 4
	s_add_u32 s2, s6, s2
	s_addc_u32 s3, s7, s3
	s_lshl_b64 s[0:1], s[0:1], 4
	s_add_u32 s0, s2, s0
	s_addc_u32 s1, s3, s1
	v_lshl_add_u64 v[16:17], s[0:1], 0, v[54:55]
	s_ashr_i32 s3, s9, 31
	s_mov_b32 s2, s9
	v_lshl_add_u64 v[14:15], s[2:3], 4, v[16:17]
	s_add_i32 s2, s9, s9
	v_add_u32_e32 v20, s2, v0
	v_add_u32_e32 v22, s9, v20
	;; [unrolled: 1-line block ×3, first 2 shown]
	v_ashrrev_i32_e32 v21, 31, v20
	v_ashrrev_i32_e32 v23, 31, v22
	v_add_u32_e32 v26, s9, v24
	global_load_dwordx4 v[2:5], v54, s[0:1]
	v_lshl_add_u64 v[18:19], v[20:21], 4, s[0:1]
	v_lshl_add_u64 v[20:21], v[22:23], 4, s[0:1]
	v_ashrrev_i32_e32 v25, 31, v24
	v_add_u32_e32 v28, s9, v26
	global_load_dwordx4 v[6:9], v[14:15], off
	global_load_dwordx4 v[10:13], v[18:19], off
	v_lshl_add_u64 v[22:23], v[24:25], 4, s[0:1]
	global_load_dwordx4 v[48:51], v[20:21], off
	global_load_dwordx4 v[56:59], v[22:23], off
	v_add_u32_e32 v30, s9, v28
	v_ashrrev_i32_e32 v27, 31, v26
	v_ashrrev_i32_e32 v29, 31, v28
	;; [unrolled: 1-line block ×3, first 2 shown]
	v_lshl_add_u64 v[24:25], v[26:27], 4, s[0:1]
	v_lshl_add_u64 v[26:27], v[28:29], 4, s[0:1]
	v_lshl_add_u64 v[28:29], v[30:31], 4, s[0:1]
	v_add_u32_e32 v30, s9, v30
	global_load_dwordx4 v[60:63], v[24:25], off
	global_load_dwordx4 v[64:67], v[26:27], off
	v_ashrrev_i32_e32 v31, 31, v30
	v_add_u32_e32 v34, s9, v30
	v_lshl_add_u64 v[30:31], v[30:31], 4, s[0:1]
	v_ashrrev_i32_e32 v35, 31, v34
	global_load_dwordx4 v[68:71], v[28:29], off
	global_load_dwordx4 v[72:75], v[30:31], off
	v_lshl_add_u64 v[32:33], v[34:35], 4, s[0:1]
	global_load_dwordx4 v[76:79], v[32:33], off
	v_add_u32_e32 v34, s9, v34
	v_add_u32_e32 v36, s9, v34
	;; [unrolled: 1-line block ×6, first 2 shown]
	v_ashrrev_i32_e32 v35, 31, v34
	v_ashrrev_i32_e32 v37, 31, v36
	v_add_u32_e32 v46, s9, v44
	v_lshl_add_u64 v[34:35], v[34:35], 4, s[0:1]
	global_load_dwordx4 v[80:83], v[34:35], off
	v_lshl_add_u64 v[36:37], v[36:37], 4, s[0:1]
	v_ashrrev_i32_e32 v39, 31, v38
	v_ashrrev_i32_e32 v41, 31, v40
	v_add_u32_e32 v52, s9, v46
	v_lshl_add_u64 v[38:39], v[38:39], 4, s[0:1]
	global_load_dwordx4 v[84:87], v[36:37], off
	global_load_dwordx4 v[88:91], v[38:39], off
	v_lshl_add_u64 v[40:41], v[40:41], 4, s[0:1]
	v_ashrrev_i32_e32 v43, 31, v42
	v_add_u32_e32 v96, s9, v52
	v_lshl_add_u64 v[42:43], v[42:43], 4, s[0:1]
	v_ashrrev_i32_e32 v45, 31, v44
	v_ashrrev_i32_e32 v53, 31, v52
	v_lshl_add_u64 v[44:45], v[44:45], 4, s[0:1]
	v_ashrrev_i32_e32 v47, 31, v46
	v_lshl_add_u64 v[46:47], v[46:47], 4, s[0:1]
	v_ashrrev_i32_e32 v97, 31, v96
	s_cmpk_lg_i32 s5, 0x84
	s_cselect_b64 s[6:7], -1, 0
	s_cmpk_eq_i32 s5, 0x84
	s_waitcnt vmcnt(12)
	scratch_store_dwordx4 off, v[2:5], off
	s_waitcnt vmcnt(12)
	scratch_store_dwordx4 off, v[6:9], off offset:16
	global_load_dwordx4 v[2:5], v[40:41], off
	s_nop 0
	global_load_dwordx4 v[6:9], v[42:43], off
	s_waitcnt vmcnt(14)
	scratch_store_dwordx4 off, v[10:13], off offset:32
	s_waitcnt vmcnt(14)
	scratch_store_dwordx4 off, v[48:51], off offset:48
	;; [unrolled: 2-line block ×3, first 2 shown]
	global_load_dwordx4 v[10:13], v[44:45], off
	global_load_dwordx4 v[92:95], v[46:47], off
	v_add_u32_e32 v56, s9, v96
	v_ashrrev_i32_e32 v57, 31, v56
	v_lshl_add_u64 v[48:49], v[52:53], 4, s[0:1]
	v_lshl_add_u64 v[52:53], v[56:57], 4, s[0:1]
	v_add_u32_e32 v56, s9, v56
	s_waitcnt vmcnt(16)
	scratch_store_dwordx4 off, v[60:63], off offset:80
	s_waitcnt vmcnt(16)
	scratch_store_dwordx4 off, v[64:67], off offset:96
	v_ashrrev_i32_e32 v57, 31, v56
	v_lshl_add_u64 v[50:51], v[96:97], 4, s[0:1]
	global_load_dwordx4 v[58:61], v[48:49], off
	global_load_dwordx4 v[62:65], v[50:51], off
	s_waitcnt vmcnt(18)
	scratch_store_dwordx4 off, v[68:71], off offset:112
	s_waitcnt vmcnt(18)
	scratch_store_dwordx4 off, v[72:75], off offset:128
	;; [unrolled: 2-line block ×3, first 2 shown]
	v_lshl_add_u64 v[56:57], v[56:57], 4, s[0:1]
	global_load_dwordx4 v[66:69], v[52:53], off
	global_load_dwordx4 v[70:73], v[56:57], off
	s_waitcnt vmcnt(20)
	scratch_store_dwordx4 off, v[80:83], off offset:160
	s_waitcnt vmcnt(20)
	scratch_store_dwordx4 off, v[84:87], off offset:176
	;; [unrolled: 2-line block ×8, first 2 shown]
	v_mov_b32_e32 v12, 0
	s_waitcnt vmcnt(13)
	scratch_store_dwordx4 off, v[62:65], off offset:288
	s_waitcnt vmcnt(10)
	scratch_store_dwordx4 off, v[66:69], off offset:304
	;; [unrolled: 2-line block ×3, first 2 shown]
	s_cbranch_scc1 .LBB20_7
; %bb.2:
	scratch_load_dwordx4 v[2:5], v54, off
                                        ; implicit-def: $vgpr10_vgpr11
	s_waitcnt vmcnt(0)
	v_xor_b32_e32 v1, 0x80000000, v3
	v_cmp_gt_f64_e32 vcc, 0, v[2:3]
	v_xor_b32_e32 v8, 0x80000000, v5
	v_mov_b32_e32 v6, v2
	v_cndmask_b32_e32 v7, v3, v1, vcc
	v_cmp_gt_f64_e32 vcc, 0, v[4:5]
	s_nop 1
	v_cndmask_b32_e32 v9, v5, v8, vcc
	v_mov_b32_e32 v8, v4
	v_cmp_ngt_f64_e32 vcc, v[6:7], v[8:9]
                                        ; implicit-def: $vgpr6_vgpr7
	s_and_saveexec_b64 s[0:1], vcc
	s_xor_b64 s[0:1], exec, s[0:1]
	s_cbranch_execz .LBB20_4
; %bb.3:
	v_div_scale_f64 v[6:7], s[2:3], v[4:5], v[4:5], v[2:3]
	v_rcp_f64_e32 v[8:9], v[6:7]
	v_div_scale_f64 v[10:11], vcc, v[2:3], v[4:5], v[2:3]
	v_fma_f64 v[58:59], -v[6:7], v[8:9], 1.0
	v_fmac_f64_e32 v[8:9], v[8:9], v[58:59]
	v_fma_f64 v[58:59], -v[6:7], v[8:9], 1.0
	v_fmac_f64_e32 v[8:9], v[8:9], v[58:59]
	v_mul_f64 v[58:59], v[10:11], v[8:9]
	v_fma_f64 v[6:7], -v[6:7], v[58:59], v[10:11]
	v_div_fmas_f64 v[6:7], v[6:7], v[8:9], v[58:59]
	v_div_fixup_f64 v[6:7], v[6:7], v[4:5], v[2:3]
	v_fmac_f64_e32 v[4:5], v[2:3], v[6:7]
	v_div_scale_f64 v[2:3], s[2:3], v[4:5], v[4:5], 1.0
	v_rcp_f64_e32 v[8:9], v[2:3]
	s_nop 0
	v_fma_f64 v[10:11], -v[2:3], v[8:9], 1.0
	v_fmac_f64_e32 v[8:9], v[8:9], v[10:11]
	v_fma_f64 v[10:11], -v[2:3], v[8:9], 1.0
	v_fmac_f64_e32 v[8:9], v[8:9], v[10:11]
	v_div_scale_f64 v[10:11], vcc, 1.0, v[4:5], 1.0
	v_mul_f64 v[58:59], v[10:11], v[8:9]
	v_fma_f64 v[2:3], -v[2:3], v[58:59], v[10:11]
	s_nop 1
	v_div_fmas_f64 v[2:3], v[2:3], v[8:9], v[58:59]
	v_div_fixup_f64 v[8:9], v[2:3], v[4:5], 1.0
	v_mul_f64 v[6:7], v[6:7], v[8:9]
	v_xor_b32_e32 v9, 0x80000000, v9
	v_xor_b32_e32 v11, 0x80000000, v7
	v_mov_b32_e32 v10, v6
                                        ; implicit-def: $vgpr2_vgpr3
.LBB20_4:
	s_or_saveexec_b64 s[0:1], s[0:1]
	v_add_u32_e32 v1, 0, v54
	s_xor_b64 exec, exec, s[0:1]
	s_cbranch_execz .LBB20_6
; %bb.5:
	v_div_scale_f64 v[6:7], s[2:3], v[2:3], v[2:3], v[4:5]
	v_rcp_f64_e32 v[8:9], v[6:7]
	v_div_scale_f64 v[10:11], vcc, v[4:5], v[2:3], v[4:5]
	v_fma_f64 v[58:59], -v[6:7], v[8:9], 1.0
	v_fmac_f64_e32 v[8:9], v[8:9], v[58:59]
	v_fma_f64 v[58:59], -v[6:7], v[8:9], 1.0
	v_fmac_f64_e32 v[8:9], v[8:9], v[58:59]
	v_mul_f64 v[58:59], v[10:11], v[8:9]
	v_fma_f64 v[6:7], -v[6:7], v[58:59], v[10:11]
	v_div_fmas_f64 v[6:7], v[6:7], v[8:9], v[58:59]
	v_div_fixup_f64 v[8:9], v[6:7], v[2:3], v[4:5]
	v_fmac_f64_e32 v[2:3], v[4:5], v[8:9]
	v_div_scale_f64 v[4:5], s[2:3], v[2:3], v[2:3], 1.0
	v_rcp_f64_e32 v[6:7], v[4:5]
	s_nop 0
	v_fma_f64 v[10:11], -v[4:5], v[6:7], 1.0
	v_fmac_f64_e32 v[6:7], v[6:7], v[10:11]
	v_fma_f64 v[10:11], -v[4:5], v[6:7], 1.0
	v_fmac_f64_e32 v[6:7], v[6:7], v[10:11]
	v_div_scale_f64 v[10:11], vcc, 1.0, v[2:3], 1.0
	v_mul_f64 v[58:59], v[10:11], v[6:7]
	v_fma_f64 v[4:5], -v[4:5], v[58:59], v[10:11]
	s_nop 1
	v_div_fmas_f64 v[4:5], v[4:5], v[6:7], v[58:59]
	v_div_fixup_f64 v[6:7], v[4:5], v[2:3], 1.0
	v_xor_b32_e32 v11, 0x80000000, v7
	v_mov_b32_e32 v10, v6
	v_mul_f64 v[8:9], v[8:9], -v[6:7]
.LBB20_6:
	s_or_b64 exec, exec, s[0:1]
	scratch_store_dwordx4 v1, v[6:9], off
	s_nop 1
	v_xor_b32_e32 v9, 0x80000000, v9
	s_branch .LBB20_8
.LBB20_7:
	v_mov_b64_e32 v[8:9], 0
	v_mov_b64_e32 v[10:11], -1.0
.LBB20_8:
	v_add_u32_e32 v71, 16, v12
	v_add_u32_e32 v68, 32, v12
	;; [unrolled: 1-line block ×20, first 2 shown]
	v_mov_b32_e32 v12, v8
	v_mov_b32_e32 v13, v9
	s_cmpk_eq_i32 s4, 0x79
	v_add_u32_e32 v9, 0x150, v54
	v_add_u32_e32 v8, 0, v54
	ds_write_b128 v54, v[10:13]
	s_cbranch_scc1 .LBB20_164
; %bb.9:
	scratch_load_dwordx4 v[2:5], v1, off
	v_cmp_eq_u32_e64 s[0:1], 20, v0
	s_waitcnt vmcnt(0)
	ds_write_b128 v9, v[2:5]
	s_waitcnt lgkmcnt(0)
	; wave barrier
	s_waitcnt lgkmcnt(0)
	s_and_saveexec_b64 s[2:3], s[0:1]
	s_cbranch_execz .LBB20_13
; %bb.10:
	ds_read_b128 v[2:5], v9
	s_andn2_b64 vcc, exec, s[6:7]
	s_cbranch_vccnz .LBB20_12
; %bb.11:
	scratch_load_dwordx4 v[10:13], v8, off
	s_waitcnt vmcnt(0) lgkmcnt(0)
	v_mul_f64 v[6:7], v[4:5], v[12:13]
	v_mul_f64 v[12:13], v[2:3], v[12:13]
	v_fmac_f64_e32 v[12:13], v[4:5], v[10:11]
	v_fma_f64 v[2:3], v[2:3], v[10:11], -v[6:7]
	v_mov_b64_e32 v[4:5], v[12:13]
.LBB20_12:
	v_mov_b32_e32 v6, 0
	ds_read_b128 v[10:13], v6 offset:304
	s_waitcnt lgkmcnt(0)
	v_mul_f64 v[6:7], v[4:5], v[12:13]
	v_mul_f64 v[78:79], v[2:3], v[12:13]
	v_fma_f64 v[76:77], v[2:3], v[10:11], -v[6:7]
	v_fmac_f64_e32 v[78:79], v[4:5], v[10:11]
	scratch_store_dwordx4 off, v[76:79], off offset:304
.LBB20_13:
	s_or_b64 exec, exec, s[2:3]
	scratch_load_dwordx4 v[2:5], v59, off
	v_cmp_lt_u32_e64 s[2:3], 18, v0
	s_waitcnt vmcnt(0)
	ds_write_b128 v9, v[2:5]
	s_waitcnt lgkmcnt(0)
	; wave barrier
	s_waitcnt lgkmcnt(0)
	s_and_saveexec_b64 s[4:5], s[2:3]
	s_cbranch_execz .LBB20_19
; %bb.14:
	ds_read_b128 v[2:5], v9
	s_andn2_b64 vcc, exec, s[6:7]
	s_cbranch_vccnz .LBB20_16
; %bb.15:
	scratch_load_dwordx4 v[10:13], v8, off
	s_waitcnt vmcnt(0) lgkmcnt(0)
	v_mul_f64 v[6:7], v[4:5], v[12:13]
	v_mul_f64 v[12:13], v[2:3], v[12:13]
	v_fmac_f64_e32 v[12:13], v[4:5], v[10:11]
	v_fma_f64 v[2:3], v[2:3], v[10:11], -v[6:7]
	v_mov_b64_e32 v[4:5], v[12:13]
.LBB20_16:
	s_and_saveexec_b64 s[8:9], s[0:1]
	s_cbranch_execz .LBB20_18
; %bb.17:
	scratch_load_dwordx4 v[10:13], off, off offset:304
	v_mov_b32_e32 v6, 0
	ds_read_b128 v[76:79], v6 offset:640
	s_waitcnt vmcnt(0) lgkmcnt(0)
	v_mul_f64 v[6:7], v[76:77], v[12:13]
	v_mul_f64 v[12:13], v[78:79], v[12:13]
	v_fmac_f64_e32 v[6:7], v[78:79], v[10:11]
	v_fma_f64 v[10:11], v[76:77], v[10:11], -v[12:13]
	v_add_f64 v[4:5], v[4:5], v[6:7]
	v_add_f64 v[2:3], v[2:3], v[10:11]
.LBB20_18:
	s_or_b64 exec, exec, s[8:9]
	v_mov_b32_e32 v6, 0
	ds_read_b128 v[10:13], v6 offset:288
	s_waitcnt lgkmcnt(0)
	v_mul_f64 v[6:7], v[4:5], v[12:13]
	v_mul_f64 v[78:79], v[2:3], v[12:13]
	v_fma_f64 v[76:77], v[2:3], v[10:11], -v[6:7]
	v_fmac_f64_e32 v[78:79], v[4:5], v[10:11]
	scratch_store_dwordx4 off, v[76:79], off offset:288
.LBB20_19:
	s_or_b64 exec, exec, s[4:5]
	scratch_load_dwordx4 v[2:5], v58, off
	v_cmp_lt_u32_e64 s[0:1], 17, v0
	s_waitcnt vmcnt(0)
	ds_write_b128 v9, v[2:5]
	s_waitcnt lgkmcnt(0)
	; wave barrier
	s_waitcnt lgkmcnt(0)
	s_and_saveexec_b64 s[4:5], s[0:1]
	s_cbranch_execz .LBB20_27
; %bb.20:
	ds_read_b128 v[2:5], v9
	s_andn2_b64 vcc, exec, s[6:7]
	s_cbranch_vccnz .LBB20_22
; %bb.21:
	scratch_load_dwordx4 v[10:13], v8, off
	s_waitcnt vmcnt(0) lgkmcnt(0)
	v_mul_f64 v[6:7], v[4:5], v[12:13]
	v_mul_f64 v[12:13], v[2:3], v[12:13]
	v_fmac_f64_e32 v[12:13], v[4:5], v[10:11]
	v_fma_f64 v[2:3], v[2:3], v[10:11], -v[6:7]
	v_mov_b64_e32 v[4:5], v[12:13]
.LBB20_22:
	s_and_saveexec_b64 s[8:9], s[2:3]
	s_cbranch_execz .LBB20_26
; %bb.23:
	v_mov_b32_e32 v7, 0
	v_subrev_u32_e32 v6, 18, v0
	v_add_u32_e32 v7, 0x128, v7
	s_movk_i32 s10, 0x270
	s_mov_b64 s[2:3], 0
.LBB20_24:                              ; =>This Inner Loop Header: Depth=1
	v_add_u32_e32 v10, -8, v7
	scratch_load_dwordx4 v[10:13], v10, off
	v_mov_b32_e32 v76, s10
	ds_read_b128 v[76:79], v76
	v_add_u32_e32 v6, -1, v6
	s_add_i32 s10, s10, 16
	v_cmp_eq_u32_e32 vcc, 0, v6
	v_add_u32_e32 v7, 16, v7
	s_or_b64 s[2:3], vcc, s[2:3]
	s_waitcnt vmcnt(0) lgkmcnt(0)
	v_mul_f64 v[80:81], v[78:79], v[12:13]
	v_mul_f64 v[12:13], v[76:77], v[12:13]
	v_fma_f64 v[76:77], v[76:77], v[10:11], -v[80:81]
	v_fmac_f64_e32 v[12:13], v[78:79], v[10:11]
	v_add_f64 v[2:3], v[2:3], v[76:77]
	v_add_f64 v[4:5], v[4:5], v[12:13]
	s_andn2_b64 exec, exec, s[2:3]
	s_cbranch_execnz .LBB20_24
; %bb.25:
	s_or_b64 exec, exec, s[2:3]
.LBB20_26:
	s_or_b64 exec, exec, s[8:9]
	v_mov_b32_e32 v6, 0
	ds_read_b128 v[10:13], v6 offset:272
	s_waitcnt lgkmcnt(0)
	v_mul_f64 v[6:7], v[4:5], v[12:13]
	v_mul_f64 v[78:79], v[2:3], v[12:13]
	v_fma_f64 v[76:77], v[2:3], v[10:11], -v[6:7]
	v_fmac_f64_e32 v[78:79], v[4:5], v[10:11]
	scratch_store_dwordx4 off, v[76:79], off offset:272
.LBB20_27:
	s_or_b64 exec, exec, s[4:5]
	scratch_load_dwordx4 v[2:5], v60, off
	v_cmp_lt_u32_e64 s[2:3], 16, v0
	s_waitcnt vmcnt(0)
	ds_write_b128 v9, v[2:5]
	s_waitcnt lgkmcnt(0)
	; wave barrier
	s_waitcnt lgkmcnt(0)
	s_and_saveexec_b64 s[4:5], s[2:3]
	s_cbranch_execz .LBB20_35
; %bb.28:
	ds_read_b128 v[2:5], v9
	s_andn2_b64 vcc, exec, s[6:7]
	s_cbranch_vccnz .LBB20_30
; %bb.29:
	scratch_load_dwordx4 v[10:13], v8, off
	s_waitcnt vmcnt(0) lgkmcnt(0)
	v_mul_f64 v[6:7], v[4:5], v[12:13]
	v_mul_f64 v[12:13], v[2:3], v[12:13]
	v_fmac_f64_e32 v[12:13], v[4:5], v[10:11]
	v_fma_f64 v[2:3], v[2:3], v[10:11], -v[6:7]
	v_mov_b64_e32 v[4:5], v[12:13]
.LBB20_30:
	s_and_saveexec_b64 s[8:9], s[0:1]
	s_cbranch_execz .LBB20_34
; %bb.31:
	v_mov_b32_e32 v7, 0
	v_subrev_u32_e32 v6, 17, v0
	v_add_u32_e32 v7, 0x118, v7
	s_movk_i32 s10, 0x260
	s_mov_b64 s[0:1], 0
.LBB20_32:                              ; =>This Inner Loop Header: Depth=1
	v_add_u32_e32 v10, -8, v7
	scratch_load_dwordx4 v[10:13], v10, off
	v_mov_b32_e32 v76, s10
	ds_read_b128 v[76:79], v76
	v_add_u32_e32 v6, -1, v6
	s_add_i32 s10, s10, 16
	v_cmp_eq_u32_e32 vcc, 0, v6
	v_add_u32_e32 v7, 16, v7
	s_or_b64 s[0:1], vcc, s[0:1]
	s_waitcnt vmcnt(0) lgkmcnt(0)
	v_mul_f64 v[80:81], v[78:79], v[12:13]
	v_mul_f64 v[12:13], v[76:77], v[12:13]
	v_fma_f64 v[76:77], v[76:77], v[10:11], -v[80:81]
	v_fmac_f64_e32 v[12:13], v[78:79], v[10:11]
	v_add_f64 v[2:3], v[2:3], v[76:77]
	v_add_f64 v[4:5], v[4:5], v[12:13]
	s_andn2_b64 exec, exec, s[0:1]
	s_cbranch_execnz .LBB20_32
; %bb.33:
	s_or_b64 exec, exec, s[0:1]
.LBB20_34:
	s_or_b64 exec, exec, s[8:9]
	v_mov_b32_e32 v6, 0
	ds_read_b128 v[10:13], v6 offset:256
	s_waitcnt lgkmcnt(0)
	v_mul_f64 v[6:7], v[4:5], v[12:13]
	v_mul_f64 v[78:79], v[2:3], v[12:13]
	v_fma_f64 v[76:77], v[2:3], v[10:11], -v[6:7]
	v_fmac_f64_e32 v[78:79], v[4:5], v[10:11]
	scratch_store_dwordx4 off, v[76:79], off offset:256
.LBB20_35:
	s_or_b64 exec, exec, s[4:5]
	scratch_load_dwordx4 v[2:5], v61, off
	v_cmp_lt_u32_e64 s[0:1], 15, v0
	s_waitcnt vmcnt(0)
	ds_write_b128 v9, v[2:5]
	s_waitcnt lgkmcnt(0)
	; wave barrier
	s_waitcnt lgkmcnt(0)
	s_and_saveexec_b64 s[4:5], s[0:1]
	s_cbranch_execz .LBB20_43
; %bb.36:
	ds_read_b128 v[2:5], v9
	s_andn2_b64 vcc, exec, s[6:7]
	s_cbranch_vccnz .LBB20_38
; %bb.37:
	scratch_load_dwordx4 v[10:13], v8, off
	s_waitcnt vmcnt(0) lgkmcnt(0)
	v_mul_f64 v[6:7], v[4:5], v[12:13]
	v_mul_f64 v[12:13], v[2:3], v[12:13]
	v_fmac_f64_e32 v[12:13], v[4:5], v[10:11]
	v_fma_f64 v[2:3], v[2:3], v[10:11], -v[6:7]
	v_mov_b64_e32 v[4:5], v[12:13]
.LBB20_38:
	s_and_saveexec_b64 s[8:9], s[2:3]
	s_cbranch_execz .LBB20_42
; %bb.39:
	v_mov_b32_e32 v7, 0
	v_add_u32_e32 v6, -16, v0
	v_add_u32_e32 v7, 0x108, v7
	s_movk_i32 s10, 0x250
	s_mov_b64 s[2:3], 0
.LBB20_40:                              ; =>This Inner Loop Header: Depth=1
	v_add_u32_e32 v10, -8, v7
	scratch_load_dwordx4 v[10:13], v10, off
	v_mov_b32_e32 v76, s10
	ds_read_b128 v[76:79], v76
	v_add_u32_e32 v6, -1, v6
	s_add_i32 s10, s10, 16
	v_cmp_eq_u32_e32 vcc, 0, v6
	v_add_u32_e32 v7, 16, v7
	s_or_b64 s[2:3], vcc, s[2:3]
	s_waitcnt vmcnt(0) lgkmcnt(0)
	v_mul_f64 v[80:81], v[78:79], v[12:13]
	v_mul_f64 v[12:13], v[76:77], v[12:13]
	v_fma_f64 v[76:77], v[76:77], v[10:11], -v[80:81]
	v_fmac_f64_e32 v[12:13], v[78:79], v[10:11]
	v_add_f64 v[2:3], v[2:3], v[76:77]
	v_add_f64 v[4:5], v[4:5], v[12:13]
	s_andn2_b64 exec, exec, s[2:3]
	s_cbranch_execnz .LBB20_40
; %bb.41:
	s_or_b64 exec, exec, s[2:3]
.LBB20_42:
	s_or_b64 exec, exec, s[8:9]
	v_mov_b32_e32 v6, 0
	ds_read_b128 v[10:13], v6 offset:240
	s_waitcnt lgkmcnt(0)
	v_mul_f64 v[6:7], v[4:5], v[12:13]
	v_mul_f64 v[78:79], v[2:3], v[12:13]
	v_fma_f64 v[76:77], v[2:3], v[10:11], -v[6:7]
	v_fmac_f64_e32 v[78:79], v[4:5], v[10:11]
	scratch_store_dwordx4 off, v[76:79], off offset:240
.LBB20_43:
	s_or_b64 exec, exec, s[4:5]
	scratch_load_dwordx4 v[2:5], v62, off
	v_cmp_lt_u32_e64 s[2:3], 14, v0
	s_waitcnt vmcnt(0)
	ds_write_b128 v9, v[2:5]
	s_waitcnt lgkmcnt(0)
	; wave barrier
	s_waitcnt lgkmcnt(0)
	s_and_saveexec_b64 s[4:5], s[2:3]
	s_cbranch_execz .LBB20_51
; %bb.44:
	ds_read_b128 v[2:5], v9
	s_andn2_b64 vcc, exec, s[6:7]
	s_cbranch_vccnz .LBB20_46
; %bb.45:
	scratch_load_dwordx4 v[10:13], v8, off
	s_waitcnt vmcnt(0) lgkmcnt(0)
	v_mul_f64 v[6:7], v[4:5], v[12:13]
	v_mul_f64 v[12:13], v[2:3], v[12:13]
	v_fmac_f64_e32 v[12:13], v[4:5], v[10:11]
	v_fma_f64 v[2:3], v[2:3], v[10:11], -v[6:7]
	v_mov_b64_e32 v[4:5], v[12:13]
.LBB20_46:
	s_and_saveexec_b64 s[8:9], s[0:1]
	s_cbranch_execz .LBB20_50
; %bb.47:
	v_mov_b32_e32 v7, 0
	v_add_u32_e32 v6, -15, v0
	v_add_u32_e32 v7, 0xf8, v7
	s_movk_i32 s10, 0x240
	s_mov_b64 s[0:1], 0
.LBB20_48:                              ; =>This Inner Loop Header: Depth=1
	v_add_u32_e32 v10, -8, v7
	scratch_load_dwordx4 v[10:13], v10, off
	v_mov_b32_e32 v76, s10
	ds_read_b128 v[76:79], v76
	v_add_u32_e32 v6, -1, v6
	s_add_i32 s10, s10, 16
	v_cmp_eq_u32_e32 vcc, 0, v6
	v_add_u32_e32 v7, 16, v7
	s_or_b64 s[0:1], vcc, s[0:1]
	s_waitcnt vmcnt(0) lgkmcnt(0)
	v_mul_f64 v[80:81], v[78:79], v[12:13]
	v_mul_f64 v[12:13], v[76:77], v[12:13]
	v_fma_f64 v[76:77], v[76:77], v[10:11], -v[80:81]
	v_fmac_f64_e32 v[12:13], v[78:79], v[10:11]
	v_add_f64 v[2:3], v[2:3], v[76:77]
	v_add_f64 v[4:5], v[4:5], v[12:13]
	s_andn2_b64 exec, exec, s[0:1]
	s_cbranch_execnz .LBB20_48
; %bb.49:
	s_or_b64 exec, exec, s[0:1]
.LBB20_50:
	s_or_b64 exec, exec, s[8:9]
	v_mov_b32_e32 v6, 0
	ds_read_b128 v[10:13], v6 offset:224
	s_waitcnt lgkmcnt(0)
	v_mul_f64 v[6:7], v[4:5], v[12:13]
	v_mul_f64 v[78:79], v[2:3], v[12:13]
	v_fma_f64 v[76:77], v[2:3], v[10:11], -v[6:7]
	v_fmac_f64_e32 v[78:79], v[4:5], v[10:11]
	scratch_store_dwordx4 off, v[76:79], off offset:224
.LBB20_51:
	;; [unrolled: 63-line block ×8, first 2 shown]
	s_or_b64 exec, exec, s[4:5]
	scratch_load_dwordx4 v[2:5], v74, off
	v_cmp_lt_u32_e64 s[0:1], 7, v0
	s_waitcnt vmcnt(0)
	ds_write_b128 v9, v[2:5]
	s_waitcnt lgkmcnt(0)
	; wave barrier
	s_waitcnt lgkmcnt(0)
	s_and_saveexec_b64 s[4:5], s[0:1]
	s_cbranch_execz .LBB20_107
; %bb.100:
	ds_read_b128 v[2:5], v9
	s_andn2_b64 vcc, exec, s[6:7]
	s_cbranch_vccnz .LBB20_102
; %bb.101:
	scratch_load_dwordx4 v[10:13], v8, off
	s_waitcnt vmcnt(0) lgkmcnt(0)
	v_mul_f64 v[6:7], v[4:5], v[12:13]
	v_mul_f64 v[12:13], v[2:3], v[12:13]
	v_fmac_f64_e32 v[12:13], v[4:5], v[10:11]
	v_fma_f64 v[2:3], v[2:3], v[10:11], -v[6:7]
	v_mov_b64_e32 v[4:5], v[12:13]
.LBB20_102:
	s_and_saveexec_b64 s[8:9], s[2:3]
	s_cbranch_execz .LBB20_106
; %bb.103:
	v_mov_b32_e32 v7, 0
	v_add_u32_e32 v6, -8, v0
	v_add_u32_e32 v7, 0x88, v7
	s_movk_i32 s10, 0x1d0
	s_mov_b64 s[2:3], 0
.LBB20_104:                             ; =>This Inner Loop Header: Depth=1
	v_add_u32_e32 v10, -8, v7
	scratch_load_dwordx4 v[10:13], v10, off
	v_mov_b32_e32 v76, s10
	ds_read_b128 v[76:79], v76
	v_add_u32_e32 v6, -1, v6
	s_add_i32 s10, s10, 16
	v_cmp_eq_u32_e32 vcc, 0, v6
	v_add_u32_e32 v7, 16, v7
	s_or_b64 s[2:3], vcc, s[2:3]
	s_waitcnt vmcnt(0) lgkmcnt(0)
	v_mul_f64 v[80:81], v[78:79], v[12:13]
	v_mul_f64 v[12:13], v[76:77], v[12:13]
	v_fma_f64 v[76:77], v[76:77], v[10:11], -v[80:81]
	v_fmac_f64_e32 v[12:13], v[78:79], v[10:11]
	v_add_f64 v[2:3], v[2:3], v[76:77]
	v_add_f64 v[4:5], v[4:5], v[12:13]
	s_andn2_b64 exec, exec, s[2:3]
	s_cbranch_execnz .LBB20_104
; %bb.105:
	s_or_b64 exec, exec, s[2:3]
.LBB20_106:
	s_or_b64 exec, exec, s[8:9]
	v_mov_b32_e32 v6, 0
	ds_read_b128 v[10:13], v6 offset:112
	s_waitcnt lgkmcnt(0)
	v_mul_f64 v[6:7], v[4:5], v[12:13]
	v_mul_f64 v[78:79], v[2:3], v[12:13]
	v_fma_f64 v[76:77], v[2:3], v[10:11], -v[6:7]
	v_fmac_f64_e32 v[78:79], v[4:5], v[10:11]
	scratch_store_dwordx4 off, v[76:79], off offset:112
.LBB20_107:
	s_or_b64 exec, exec, s[4:5]
	scratch_load_dwordx4 v[2:5], v75, off
	v_cmp_lt_u32_e64 s[2:3], 6, v0
	s_waitcnt vmcnt(0)
	ds_write_b128 v9, v[2:5]
	s_waitcnt lgkmcnt(0)
	; wave barrier
	s_waitcnt lgkmcnt(0)
	s_and_saveexec_b64 s[4:5], s[2:3]
	s_cbranch_execz .LBB20_115
; %bb.108:
	ds_read_b128 v[2:5], v9
	s_andn2_b64 vcc, exec, s[6:7]
	s_cbranch_vccnz .LBB20_110
; %bb.109:
	scratch_load_dwordx4 v[10:13], v8, off
	s_waitcnt vmcnt(0) lgkmcnt(0)
	v_mul_f64 v[6:7], v[4:5], v[12:13]
	v_mul_f64 v[12:13], v[2:3], v[12:13]
	v_fmac_f64_e32 v[12:13], v[4:5], v[10:11]
	v_fma_f64 v[2:3], v[2:3], v[10:11], -v[6:7]
	v_mov_b64_e32 v[4:5], v[12:13]
.LBB20_110:
	s_and_saveexec_b64 s[8:9], s[0:1]
	s_cbranch_execz .LBB20_114
; %bb.111:
	v_mov_b32_e32 v7, 0
	v_add_u32_e32 v6, -7, v0
	v_add_u32_e32 v7, 0x78, v7
	s_movk_i32 s10, 0x1c0
	s_mov_b64 s[0:1], 0
.LBB20_112:                             ; =>This Inner Loop Header: Depth=1
	v_add_u32_e32 v10, -8, v7
	scratch_load_dwordx4 v[10:13], v10, off
	v_mov_b32_e32 v76, s10
	ds_read_b128 v[76:79], v76
	v_add_u32_e32 v6, -1, v6
	s_add_i32 s10, s10, 16
	v_cmp_eq_u32_e32 vcc, 0, v6
	v_add_u32_e32 v7, 16, v7
	s_or_b64 s[0:1], vcc, s[0:1]
	s_waitcnt vmcnt(0) lgkmcnt(0)
	v_mul_f64 v[80:81], v[78:79], v[12:13]
	v_mul_f64 v[12:13], v[76:77], v[12:13]
	v_fma_f64 v[76:77], v[76:77], v[10:11], -v[80:81]
	v_fmac_f64_e32 v[12:13], v[78:79], v[10:11]
	v_add_f64 v[2:3], v[2:3], v[76:77]
	v_add_f64 v[4:5], v[4:5], v[12:13]
	s_andn2_b64 exec, exec, s[0:1]
	s_cbranch_execnz .LBB20_112
; %bb.113:
	s_or_b64 exec, exec, s[0:1]
.LBB20_114:
	s_or_b64 exec, exec, s[8:9]
	v_mov_b32_e32 v6, 0
	ds_read_b128 v[10:13], v6 offset:96
	s_waitcnt lgkmcnt(0)
	v_mul_f64 v[6:7], v[4:5], v[12:13]
	v_mul_f64 v[78:79], v[2:3], v[12:13]
	v_fma_f64 v[76:77], v[2:3], v[10:11], -v[6:7]
	v_fmac_f64_e32 v[78:79], v[4:5], v[10:11]
	scratch_store_dwordx4 off, v[76:79], off offset:96
.LBB20_115:
	;; [unrolled: 63-line block ×7, first 2 shown]
	s_or_b64 exec, exec, s[4:5]
	scratch_load_dwordx4 v[2:5], off, off
	v_cmp_ne_u32_e32 vcc, 0, v0
	s_mov_b64 s[2:3], 0
	s_mov_b64 s[4:5], 0
                                        ; implicit-def: $vgpr6_vgpr7
                                        ; implicit-def: $vgpr10
	s_waitcnt vmcnt(0)
	ds_write_b128 v9, v[2:5]
	s_waitcnt lgkmcnt(0)
	; wave barrier
	s_waitcnt lgkmcnt(0)
	s_and_saveexec_b64 s[8:9], vcc
	s_cbranch_execz .LBB20_163
; %bb.156:
	ds_read_b128 v[2:5], v9
	s_andn2_b64 vcc, exec, s[6:7]
	s_cbranch_vccnz .LBB20_158
; %bb.157:
	scratch_load_dwordx4 v[10:13], v8, off
	s_waitcnt vmcnt(0) lgkmcnt(0)
	v_mul_f64 v[6:7], v[4:5], v[12:13]
	v_mul_f64 v[12:13], v[2:3], v[12:13]
	v_fmac_f64_e32 v[12:13], v[4:5], v[10:11]
	v_fma_f64 v[2:3], v[2:3], v[10:11], -v[6:7]
	v_mov_b64_e32 v[4:5], v[12:13]
.LBB20_158:
	s_and_saveexec_b64 s[4:5], s[0:1]
	s_cbranch_execz .LBB20_162
; %bb.159:
	v_mov_b32_e32 v7, 0
	v_add_u32_e32 v6, -1, v0
	v_add_u32_e32 v7, 24, v7
	s_movk_i32 s10, 0x160
	s_mov_b64 s[0:1], 0
.LBB20_160:                             ; =>This Inner Loop Header: Depth=1
	v_add_u32_e32 v10, -8, v7
	scratch_load_dwordx4 v[10:13], v10, off
	v_mov_b32_e32 v76, s10
	ds_read_b128 v[76:79], v76
	v_add_u32_e32 v6, -1, v6
	s_add_i32 s10, s10, 16
	v_cmp_eq_u32_e32 vcc, 0, v6
	v_add_u32_e32 v7, 16, v7
	s_or_b64 s[0:1], vcc, s[0:1]
	s_waitcnt vmcnt(0) lgkmcnt(0)
	v_mul_f64 v[80:81], v[78:79], v[12:13]
	v_mul_f64 v[12:13], v[76:77], v[12:13]
	v_fma_f64 v[76:77], v[76:77], v[10:11], -v[80:81]
	v_fmac_f64_e32 v[12:13], v[78:79], v[10:11]
	v_add_f64 v[2:3], v[2:3], v[76:77]
	v_add_f64 v[4:5], v[4:5], v[12:13]
	s_andn2_b64 exec, exec, s[0:1]
	s_cbranch_execnz .LBB20_160
; %bb.161:
	s_or_b64 exec, exec, s[0:1]
.LBB20_162:
	s_or_b64 exec, exec, s[4:5]
	v_mov_b32_e32 v6, 0
	ds_read_b128 v[76:79], v6
	v_mov_b32_e32 v6, 0
	v_or_b32_e32 v10, 8, v6
	s_mov_b64 s[4:5], exec
	s_waitcnt lgkmcnt(0)
	v_mul_f64 v[12:13], v[4:5], v[78:79]
	v_mul_f64 v[6:7], v[2:3], v[78:79]
	v_fma_f64 v[2:3], v[2:3], v[76:77], -v[12:13]
	v_fmac_f64_e32 v[6:7], v[4:5], v[76:77]
	scratch_store_dwordx2 off, v[2:3], off
.LBB20_163:
	s_or_b64 exec, exec, s[8:9]
	s_and_b64 vcc, exec, s[2:3]
	s_cbranch_vccnz .LBB20_165
	s_branch .LBB20_320
.LBB20_164:
	s_mov_b64 s[4:5], 0
                                        ; implicit-def: $vgpr6_vgpr7
                                        ; implicit-def: $vgpr10
	s_cbranch_execz .LBB20_320
.LBB20_165:
	scratch_load_dwordx4 v[2:5], v71, off
	v_cndmask_b32_e64 v6, 0, 1, s[6:7]
	v_cmp_eq_u32_e64 s[2:3], 0, v0
	v_cmp_ne_u32_e64 s[0:1], 1, v6
	s_waitcnt vmcnt(0)
	ds_write_b128 v9, v[2:5]
	s_waitcnt lgkmcnt(0)
	; wave barrier
	s_waitcnt lgkmcnt(0)
	s_and_saveexec_b64 s[6:7], s[2:3]
	s_cbranch_execz .LBB20_169
; %bb.166:
	ds_read_b128 v[2:5], v9
	s_and_b64 vcc, exec, s[0:1]
	s_cbranch_vccnz .LBB20_168
; %bb.167:
	scratch_load_dwordx4 v[10:13], v8, off
	s_waitcnt vmcnt(0) lgkmcnt(0)
	v_mul_f64 v[6:7], v[4:5], v[12:13]
	v_mul_f64 v[12:13], v[2:3], v[12:13]
	v_fmac_f64_e32 v[12:13], v[4:5], v[10:11]
	v_fma_f64 v[2:3], v[2:3], v[10:11], -v[6:7]
	v_mov_b64_e32 v[4:5], v[12:13]
.LBB20_168:
	v_mov_b32_e32 v6, 0
	ds_read_b128 v[10:13], v6 offset:16
	s_waitcnt lgkmcnt(0)
	v_mul_f64 v[6:7], v[4:5], v[12:13]
	v_mul_f64 v[78:79], v[2:3], v[12:13]
	v_fma_f64 v[76:77], v[2:3], v[10:11], -v[6:7]
	v_fmac_f64_e32 v[78:79], v[4:5], v[10:11]
	scratch_store_dwordx4 off, v[76:79], off offset:16
.LBB20_169:
	s_or_b64 exec, exec, s[6:7]
	scratch_load_dwordx4 v[2:5], v68, off
	v_cmp_gt_u32_e32 vcc, 2, v0
	s_waitcnt vmcnt(0)
	ds_write_b128 v9, v[2:5]
	s_waitcnt lgkmcnt(0)
	; wave barrier
	s_waitcnt lgkmcnt(0)
	s_and_saveexec_b64 s[6:7], vcc
	s_cbranch_execz .LBB20_175
; %bb.170:
	ds_read_b128 v[2:5], v9
	s_and_b64 vcc, exec, s[0:1]
	s_cbranch_vccnz .LBB20_172
; %bb.171:
	scratch_load_dwordx4 v[10:13], v8, off
	s_waitcnt vmcnt(0) lgkmcnt(0)
	v_mul_f64 v[6:7], v[4:5], v[12:13]
	v_mul_f64 v[12:13], v[2:3], v[12:13]
	v_fmac_f64_e32 v[12:13], v[4:5], v[10:11]
	v_fma_f64 v[2:3], v[2:3], v[10:11], -v[6:7]
	v_mov_b64_e32 v[4:5], v[12:13]
.LBB20_172:
	s_and_saveexec_b64 s[8:9], s[2:3]
	s_cbranch_execz .LBB20_174
; %bb.173:
	scratch_load_dwordx4 v[10:13], v8, off offset:16
	ds_read_b128 v[76:79], v9 offset:16
	s_waitcnt vmcnt(0) lgkmcnt(0)
	v_mul_f64 v[6:7], v[78:79], v[12:13]
	v_mul_f64 v[12:13], v[76:77], v[12:13]
	v_fma_f64 v[6:7], v[76:77], v[10:11], -v[6:7]
	v_fmac_f64_e32 v[12:13], v[78:79], v[10:11]
	v_add_f64 v[2:3], v[2:3], v[6:7]
	v_add_f64 v[4:5], v[4:5], v[12:13]
.LBB20_174:
	s_or_b64 exec, exec, s[8:9]
	v_mov_b32_e32 v6, 0
	ds_read_b128 v[10:13], v6 offset:32
	s_waitcnt lgkmcnt(0)
	v_mul_f64 v[6:7], v[4:5], v[12:13]
	v_mul_f64 v[78:79], v[2:3], v[12:13]
	v_fma_f64 v[76:77], v[2:3], v[10:11], -v[6:7]
	v_fmac_f64_e32 v[78:79], v[4:5], v[10:11]
	scratch_store_dwordx4 off, v[76:79], off offset:32
.LBB20_175:
	s_or_b64 exec, exec, s[6:7]
	scratch_load_dwordx4 v[2:5], v72, off
	v_cmp_gt_u32_e32 vcc, 3, v0
	s_waitcnt vmcnt(0)
	ds_write_b128 v9, v[2:5]
	s_waitcnt lgkmcnt(0)
	; wave barrier
	s_waitcnt lgkmcnt(0)
	s_and_saveexec_b64 s[6:7], vcc
	s_cbranch_execz .LBB20_183
; %bb.176:
	ds_read_b128 v[2:5], v9
	s_and_b64 vcc, exec, s[0:1]
	s_cbranch_vccnz .LBB20_178
; %bb.177:
	scratch_load_dwordx4 v[10:13], v8, off
	s_waitcnt vmcnt(0) lgkmcnt(0)
	v_mul_f64 v[6:7], v[4:5], v[12:13]
	v_mul_f64 v[12:13], v[2:3], v[12:13]
	v_fmac_f64_e32 v[12:13], v[4:5], v[10:11]
	v_fma_f64 v[2:3], v[2:3], v[10:11], -v[6:7]
	v_mov_b64_e32 v[4:5], v[12:13]
.LBB20_178:
	v_cmp_ne_u32_e32 vcc, 2, v0
	s_and_saveexec_b64 s[8:9], vcc
	s_cbranch_execz .LBB20_182
; %bb.179:
	scratch_load_dwordx4 v[10:13], v8, off offset:16
	ds_read_b128 v[76:79], v9 offset:16
	s_waitcnt vmcnt(0) lgkmcnt(0)
	v_mul_f64 v[6:7], v[78:79], v[12:13]
	v_mul_f64 v[12:13], v[76:77], v[12:13]
	v_fma_f64 v[6:7], v[76:77], v[10:11], -v[6:7]
	v_fmac_f64_e32 v[12:13], v[78:79], v[10:11]
	v_add_f64 v[2:3], v[2:3], v[6:7]
	v_add_f64 v[4:5], v[4:5], v[12:13]
	s_and_saveexec_b64 s[10:11], s[2:3]
	s_cbranch_execz .LBB20_181
; %bb.180:
	scratch_load_dwordx4 v[10:13], off, off offset:32
	v_mov_b32_e32 v6, 0
	ds_read_b128 v[76:79], v6 offset:368
	s_waitcnt vmcnt(0) lgkmcnt(0)
	v_mul_f64 v[6:7], v[76:77], v[12:13]
	v_mul_f64 v[12:13], v[78:79], v[12:13]
	v_fmac_f64_e32 v[6:7], v[78:79], v[10:11]
	v_fma_f64 v[10:11], v[76:77], v[10:11], -v[12:13]
	v_add_f64 v[4:5], v[4:5], v[6:7]
	v_add_f64 v[2:3], v[2:3], v[10:11]
.LBB20_181:
	s_or_b64 exec, exec, s[10:11]
.LBB20_182:
	s_or_b64 exec, exec, s[8:9]
	v_mov_b32_e32 v6, 0
	ds_read_b128 v[10:13], v6 offset:48
	s_waitcnt lgkmcnt(0)
	v_mul_f64 v[6:7], v[4:5], v[12:13]
	v_mul_f64 v[78:79], v[2:3], v[12:13]
	v_fma_f64 v[76:77], v[2:3], v[10:11], -v[6:7]
	v_fmac_f64_e32 v[78:79], v[4:5], v[10:11]
	scratch_store_dwordx4 off, v[76:79], off offset:48
.LBB20_183:
	s_or_b64 exec, exec, s[6:7]
	scratch_load_dwordx4 v[2:5], v69, off
	v_cmp_gt_u32_e32 vcc, 4, v0
	s_waitcnt vmcnt(0)
	ds_write_b128 v9, v[2:5]
	s_waitcnt lgkmcnt(0)
	; wave barrier
	s_waitcnt lgkmcnt(0)
	s_and_saveexec_b64 s[2:3], vcc
	s_cbranch_execz .LBB20_191
; %bb.184:
	ds_read_b128 v[2:5], v9
	s_and_b64 vcc, exec, s[0:1]
	s_cbranch_vccnz .LBB20_186
; %bb.185:
	scratch_load_dwordx4 v[10:13], v8, off
	s_waitcnt vmcnt(0) lgkmcnt(0)
	v_mul_f64 v[6:7], v[4:5], v[12:13]
	v_mul_f64 v[12:13], v[2:3], v[12:13]
	v_fmac_f64_e32 v[12:13], v[4:5], v[10:11]
	v_fma_f64 v[2:3], v[2:3], v[10:11], -v[6:7]
	v_mov_b64_e32 v[4:5], v[12:13]
.LBB20_186:
	v_cmp_ne_u32_e32 vcc, 3, v0
	s_and_saveexec_b64 s[6:7], vcc
	s_cbranch_execz .LBB20_190
; %bb.187:
	v_mov_b32_e32 v7, 0
	v_add_u32_e32 v6, 0x160, v54
	v_add3_u32 v7, v54, v7, 24
	s_mov_b64 s[8:9], 0
	v_mov_b32_e32 v10, v0
.LBB20_188:                             ; =>This Inner Loop Header: Depth=1
	v_add_u32_e32 v11, -8, v7
	scratch_load_dwordx4 v[76:79], v11, off
	ds_read_b128 v[80:83], v6
	v_add_u32_e32 v10, 1, v10
	v_cmp_lt_u32_e32 vcc, 2, v10
	v_add_u32_e32 v6, 16, v6
	v_add_u32_e32 v7, 16, v7
	s_or_b64 s[8:9], vcc, s[8:9]
	s_waitcnt vmcnt(0) lgkmcnt(0)
	v_mul_f64 v[12:13], v[82:83], v[78:79]
	v_mul_f64 v[78:79], v[80:81], v[78:79]
	v_fma_f64 v[12:13], v[80:81], v[76:77], -v[12:13]
	v_fmac_f64_e32 v[78:79], v[82:83], v[76:77]
	v_add_f64 v[2:3], v[2:3], v[12:13]
	v_add_f64 v[4:5], v[4:5], v[78:79]
	s_andn2_b64 exec, exec, s[8:9]
	s_cbranch_execnz .LBB20_188
; %bb.189:
	s_or_b64 exec, exec, s[8:9]
.LBB20_190:
	s_or_b64 exec, exec, s[6:7]
	v_mov_b32_e32 v6, 0
	ds_read_b128 v[10:13], v6 offset:64
	s_waitcnt lgkmcnt(0)
	v_mul_f64 v[6:7], v[4:5], v[12:13]
	v_mul_f64 v[78:79], v[2:3], v[12:13]
	v_fma_f64 v[76:77], v[2:3], v[10:11], -v[6:7]
	v_fmac_f64_e32 v[78:79], v[4:5], v[10:11]
	scratch_store_dwordx4 off, v[76:79], off offset:64
.LBB20_191:
	s_or_b64 exec, exec, s[2:3]
	scratch_load_dwordx4 v[2:5], v73, off
	v_cmp_gt_u32_e32 vcc, 5, v0
	s_waitcnt vmcnt(0)
	ds_write_b128 v9, v[2:5]
	s_waitcnt lgkmcnt(0)
	; wave barrier
	s_waitcnt lgkmcnt(0)
	s_and_saveexec_b64 s[2:3], vcc
	s_cbranch_execz .LBB20_199
; %bb.192:
	ds_read_b128 v[2:5], v9
	s_and_b64 vcc, exec, s[0:1]
	s_cbranch_vccnz .LBB20_194
; %bb.193:
	scratch_load_dwordx4 v[10:13], v8, off
	s_waitcnt vmcnt(0) lgkmcnt(0)
	v_mul_f64 v[6:7], v[4:5], v[12:13]
	v_mul_f64 v[12:13], v[2:3], v[12:13]
	v_fmac_f64_e32 v[12:13], v[4:5], v[10:11]
	v_fma_f64 v[2:3], v[2:3], v[10:11], -v[6:7]
	v_mov_b64_e32 v[4:5], v[12:13]
.LBB20_194:
	v_cmp_ne_u32_e32 vcc, 4, v0
	s_and_saveexec_b64 s[6:7], vcc
	s_cbranch_execz .LBB20_198
; %bb.195:
	v_mov_b32_e32 v7, 0
	v_add_u32_e32 v6, 0x160, v54
	v_add3_u32 v7, v54, v7, 24
	s_mov_b64 s[8:9], 0
	v_mov_b32_e32 v10, v0
.LBB20_196:                             ; =>This Inner Loop Header: Depth=1
	v_add_u32_e32 v11, -8, v7
	scratch_load_dwordx4 v[76:79], v11, off
	ds_read_b128 v[80:83], v6
	v_add_u32_e32 v10, 1, v10
	v_cmp_lt_u32_e32 vcc, 3, v10
	v_add_u32_e32 v6, 16, v6
	v_add_u32_e32 v7, 16, v7
	s_or_b64 s[8:9], vcc, s[8:9]
	s_waitcnt vmcnt(0) lgkmcnt(0)
	v_mul_f64 v[12:13], v[82:83], v[78:79]
	v_mul_f64 v[78:79], v[80:81], v[78:79]
	v_fma_f64 v[12:13], v[80:81], v[76:77], -v[12:13]
	v_fmac_f64_e32 v[78:79], v[82:83], v[76:77]
	v_add_f64 v[2:3], v[2:3], v[12:13]
	v_add_f64 v[4:5], v[4:5], v[78:79]
	s_andn2_b64 exec, exec, s[8:9]
	s_cbranch_execnz .LBB20_196
; %bb.197:
	s_or_b64 exec, exec, s[8:9]
.LBB20_198:
	s_or_b64 exec, exec, s[6:7]
	v_mov_b32_e32 v6, 0
	ds_read_b128 v[10:13], v6 offset:80
	s_waitcnt lgkmcnt(0)
	v_mul_f64 v[6:7], v[4:5], v[12:13]
	v_mul_f64 v[78:79], v[2:3], v[12:13]
	v_fma_f64 v[76:77], v[2:3], v[10:11], -v[6:7]
	v_fmac_f64_e32 v[78:79], v[4:5], v[10:11]
	scratch_store_dwordx4 off, v[76:79], off offset:80
.LBB20_199:
	s_or_b64 exec, exec, s[2:3]
	scratch_load_dwordx4 v[2:5], v75, off
	v_cmp_gt_u32_e32 vcc, 6, v0
	s_waitcnt vmcnt(0)
	ds_write_b128 v9, v[2:5]
	s_waitcnt lgkmcnt(0)
	; wave barrier
	s_waitcnt lgkmcnt(0)
	s_and_saveexec_b64 s[2:3], vcc
	s_cbranch_execz .LBB20_207
; %bb.200:
	ds_read_b128 v[2:5], v9
	s_and_b64 vcc, exec, s[0:1]
	s_cbranch_vccnz .LBB20_202
; %bb.201:
	scratch_load_dwordx4 v[10:13], v8, off
	s_waitcnt vmcnt(0) lgkmcnt(0)
	v_mul_f64 v[6:7], v[4:5], v[12:13]
	v_mul_f64 v[12:13], v[2:3], v[12:13]
	v_fmac_f64_e32 v[12:13], v[4:5], v[10:11]
	v_fma_f64 v[2:3], v[2:3], v[10:11], -v[6:7]
	v_mov_b64_e32 v[4:5], v[12:13]
.LBB20_202:
	v_cmp_ne_u32_e32 vcc, 5, v0
	s_and_saveexec_b64 s[6:7], vcc
	s_cbranch_execz .LBB20_206
; %bb.203:
	v_mov_b32_e32 v7, 0
	v_add_u32_e32 v6, 0x160, v54
	v_add3_u32 v7, v54, v7, 24
	s_mov_b64 s[8:9], 0
	v_mov_b32_e32 v10, v0
.LBB20_204:                             ; =>This Inner Loop Header: Depth=1
	v_add_u32_e32 v11, -8, v7
	scratch_load_dwordx4 v[76:79], v11, off
	ds_read_b128 v[80:83], v6
	v_add_u32_e32 v10, 1, v10
	v_cmp_lt_u32_e32 vcc, 4, v10
	v_add_u32_e32 v6, 16, v6
	v_add_u32_e32 v7, 16, v7
	s_or_b64 s[8:9], vcc, s[8:9]
	s_waitcnt vmcnt(0) lgkmcnt(0)
	v_mul_f64 v[12:13], v[82:83], v[78:79]
	v_mul_f64 v[78:79], v[80:81], v[78:79]
	v_fma_f64 v[12:13], v[80:81], v[76:77], -v[12:13]
	v_fmac_f64_e32 v[78:79], v[82:83], v[76:77]
	v_add_f64 v[2:3], v[2:3], v[12:13]
	v_add_f64 v[4:5], v[4:5], v[78:79]
	s_andn2_b64 exec, exec, s[8:9]
	s_cbranch_execnz .LBB20_204
; %bb.205:
	s_or_b64 exec, exec, s[8:9]
.LBB20_206:
	s_or_b64 exec, exec, s[6:7]
	v_mov_b32_e32 v6, 0
	ds_read_b128 v[10:13], v6 offset:96
	s_waitcnt lgkmcnt(0)
	v_mul_f64 v[6:7], v[4:5], v[12:13]
	v_mul_f64 v[78:79], v[2:3], v[12:13]
	v_fma_f64 v[76:77], v[2:3], v[10:11], -v[6:7]
	v_fmac_f64_e32 v[78:79], v[4:5], v[10:11]
	scratch_store_dwordx4 off, v[76:79], off offset:96
.LBB20_207:
	s_or_b64 exec, exec, s[2:3]
	scratch_load_dwordx4 v[2:5], v74, off
	v_cmp_gt_u32_e32 vcc, 7, v0
	s_waitcnt vmcnt(0)
	ds_write_b128 v9, v[2:5]
	s_waitcnt lgkmcnt(0)
	; wave barrier
	s_waitcnt lgkmcnt(0)
	s_and_saveexec_b64 s[2:3], vcc
	s_cbranch_execz .LBB20_215
; %bb.208:
	ds_read_b128 v[2:5], v9
	s_and_b64 vcc, exec, s[0:1]
	s_cbranch_vccnz .LBB20_210
; %bb.209:
	scratch_load_dwordx4 v[10:13], v8, off
	s_waitcnt vmcnt(0) lgkmcnt(0)
	v_mul_f64 v[6:7], v[4:5], v[12:13]
	v_mul_f64 v[12:13], v[2:3], v[12:13]
	v_fmac_f64_e32 v[12:13], v[4:5], v[10:11]
	v_fma_f64 v[2:3], v[2:3], v[10:11], -v[6:7]
	v_mov_b64_e32 v[4:5], v[12:13]
.LBB20_210:
	v_cmp_ne_u32_e32 vcc, 6, v0
	s_and_saveexec_b64 s[6:7], vcc
	s_cbranch_execz .LBB20_214
; %bb.211:
	v_mov_b32_e32 v7, 0
	v_add_u32_e32 v6, 0x160, v54
	v_add3_u32 v7, v54, v7, 24
	s_mov_b64 s[8:9], 0
	v_mov_b32_e32 v10, v0
.LBB20_212:                             ; =>This Inner Loop Header: Depth=1
	v_add_u32_e32 v11, -8, v7
	scratch_load_dwordx4 v[76:79], v11, off
	ds_read_b128 v[80:83], v6
	v_add_u32_e32 v10, 1, v10
	v_cmp_lt_u32_e32 vcc, 5, v10
	v_add_u32_e32 v6, 16, v6
	v_add_u32_e32 v7, 16, v7
	s_or_b64 s[8:9], vcc, s[8:9]
	s_waitcnt vmcnt(0) lgkmcnt(0)
	v_mul_f64 v[12:13], v[82:83], v[78:79]
	v_mul_f64 v[78:79], v[80:81], v[78:79]
	v_fma_f64 v[12:13], v[80:81], v[76:77], -v[12:13]
	v_fmac_f64_e32 v[78:79], v[82:83], v[76:77]
	v_add_f64 v[2:3], v[2:3], v[12:13]
	v_add_f64 v[4:5], v[4:5], v[78:79]
	s_andn2_b64 exec, exec, s[8:9]
	s_cbranch_execnz .LBB20_212
; %bb.213:
	s_or_b64 exec, exec, s[8:9]
.LBB20_214:
	s_or_b64 exec, exec, s[6:7]
	v_mov_b32_e32 v6, 0
	ds_read_b128 v[10:13], v6 offset:112
	s_waitcnt lgkmcnt(0)
	v_mul_f64 v[6:7], v[4:5], v[12:13]
	v_mul_f64 v[78:79], v[2:3], v[12:13]
	v_fma_f64 v[76:77], v[2:3], v[10:11], -v[6:7]
	v_fmac_f64_e32 v[78:79], v[4:5], v[10:11]
	scratch_store_dwordx4 off, v[76:79], off offset:112
.LBB20_215:
	s_or_b64 exec, exec, s[2:3]
	scratch_load_dwordx4 v[2:5], v70, off
	v_cmp_gt_u32_e32 vcc, 8, v0
	s_waitcnt vmcnt(0)
	ds_write_b128 v9, v[2:5]
	s_waitcnt lgkmcnt(0)
	; wave barrier
	s_waitcnt lgkmcnt(0)
	s_and_saveexec_b64 s[2:3], vcc
	s_cbranch_execz .LBB20_223
; %bb.216:
	ds_read_b128 v[2:5], v9
	s_and_b64 vcc, exec, s[0:1]
	s_cbranch_vccnz .LBB20_218
; %bb.217:
	scratch_load_dwordx4 v[10:13], v8, off
	s_waitcnt vmcnt(0) lgkmcnt(0)
	v_mul_f64 v[6:7], v[4:5], v[12:13]
	v_mul_f64 v[12:13], v[2:3], v[12:13]
	v_fmac_f64_e32 v[12:13], v[4:5], v[10:11]
	v_fma_f64 v[2:3], v[2:3], v[10:11], -v[6:7]
	v_mov_b64_e32 v[4:5], v[12:13]
.LBB20_218:
	v_cmp_ne_u32_e32 vcc, 7, v0
	s_and_saveexec_b64 s[6:7], vcc
	s_cbranch_execz .LBB20_222
; %bb.219:
	v_mov_b32_e32 v7, 0
	v_add_u32_e32 v6, 0x160, v54
	v_add3_u32 v7, v54, v7, 24
	s_mov_b64 s[8:9], 0
	v_mov_b32_e32 v10, v0
.LBB20_220:                             ; =>This Inner Loop Header: Depth=1
	v_add_u32_e32 v11, -8, v7
	scratch_load_dwordx4 v[76:79], v11, off
	ds_read_b128 v[80:83], v6
	v_add_u32_e32 v10, 1, v10
	v_cmp_lt_u32_e32 vcc, 6, v10
	v_add_u32_e32 v6, 16, v6
	v_add_u32_e32 v7, 16, v7
	s_or_b64 s[8:9], vcc, s[8:9]
	s_waitcnt vmcnt(0) lgkmcnt(0)
	v_mul_f64 v[12:13], v[82:83], v[78:79]
	v_mul_f64 v[78:79], v[80:81], v[78:79]
	v_fma_f64 v[12:13], v[80:81], v[76:77], -v[12:13]
	v_fmac_f64_e32 v[78:79], v[82:83], v[76:77]
	v_add_f64 v[2:3], v[2:3], v[12:13]
	v_add_f64 v[4:5], v[4:5], v[78:79]
	s_andn2_b64 exec, exec, s[8:9]
	s_cbranch_execnz .LBB20_220
; %bb.221:
	s_or_b64 exec, exec, s[8:9]
.LBB20_222:
	s_or_b64 exec, exec, s[6:7]
	v_mov_b32_e32 v6, 0
	ds_read_b128 v[10:13], v6 offset:128
	s_waitcnt lgkmcnt(0)
	v_mul_f64 v[6:7], v[4:5], v[12:13]
	v_mul_f64 v[78:79], v[2:3], v[12:13]
	v_fma_f64 v[76:77], v[2:3], v[10:11], -v[6:7]
	v_fmac_f64_e32 v[78:79], v[4:5], v[10:11]
	scratch_store_dwordx4 off, v[76:79], off offset:128
.LBB20_223:
	s_or_b64 exec, exec, s[2:3]
	scratch_load_dwordx4 v[2:5], v66, off
	v_cmp_gt_u32_e32 vcc, 9, v0
	s_waitcnt vmcnt(0)
	ds_write_b128 v9, v[2:5]
	s_waitcnt lgkmcnt(0)
	; wave barrier
	s_waitcnt lgkmcnt(0)
	s_and_saveexec_b64 s[2:3], vcc
	s_cbranch_execz .LBB20_231
; %bb.224:
	ds_read_b128 v[2:5], v9
	s_and_b64 vcc, exec, s[0:1]
	s_cbranch_vccnz .LBB20_226
; %bb.225:
	scratch_load_dwordx4 v[10:13], v8, off
	s_waitcnt vmcnt(0) lgkmcnt(0)
	v_mul_f64 v[6:7], v[4:5], v[12:13]
	v_mul_f64 v[12:13], v[2:3], v[12:13]
	v_fmac_f64_e32 v[12:13], v[4:5], v[10:11]
	v_fma_f64 v[2:3], v[2:3], v[10:11], -v[6:7]
	v_mov_b64_e32 v[4:5], v[12:13]
.LBB20_226:
	v_cmp_ne_u32_e32 vcc, 8, v0
	s_and_saveexec_b64 s[6:7], vcc
	s_cbranch_execz .LBB20_230
; %bb.227:
	v_mov_b32_e32 v7, 0
	v_add_u32_e32 v6, 0x160, v54
	v_add3_u32 v7, v54, v7, 24
	s_mov_b64 s[8:9], 0
	v_mov_b32_e32 v10, v0
.LBB20_228:                             ; =>This Inner Loop Header: Depth=1
	v_add_u32_e32 v11, -8, v7
	scratch_load_dwordx4 v[76:79], v11, off
	ds_read_b128 v[80:83], v6
	v_add_u32_e32 v10, 1, v10
	v_cmp_lt_u32_e32 vcc, 7, v10
	v_add_u32_e32 v6, 16, v6
	v_add_u32_e32 v7, 16, v7
	s_or_b64 s[8:9], vcc, s[8:9]
	s_waitcnt vmcnt(0) lgkmcnt(0)
	v_mul_f64 v[12:13], v[82:83], v[78:79]
	v_mul_f64 v[78:79], v[80:81], v[78:79]
	v_fma_f64 v[12:13], v[80:81], v[76:77], -v[12:13]
	v_fmac_f64_e32 v[78:79], v[82:83], v[76:77]
	v_add_f64 v[2:3], v[2:3], v[12:13]
	v_add_f64 v[4:5], v[4:5], v[78:79]
	s_andn2_b64 exec, exec, s[8:9]
	s_cbranch_execnz .LBB20_228
; %bb.229:
	s_or_b64 exec, exec, s[8:9]
.LBB20_230:
	s_or_b64 exec, exec, s[6:7]
	v_mov_b32_e32 v6, 0
	ds_read_b128 v[10:13], v6 offset:144
	s_waitcnt lgkmcnt(0)
	v_mul_f64 v[6:7], v[4:5], v[12:13]
	v_mul_f64 v[78:79], v[2:3], v[12:13]
	v_fma_f64 v[76:77], v[2:3], v[10:11], -v[6:7]
	v_fmac_f64_e32 v[78:79], v[4:5], v[10:11]
	scratch_store_dwordx4 off, v[76:79], off offset:144
.LBB20_231:
	s_or_b64 exec, exec, s[2:3]
	scratch_load_dwordx4 v[2:5], v67, off
	v_cmp_gt_u32_e32 vcc, 10, v0
	s_waitcnt vmcnt(0)
	ds_write_b128 v9, v[2:5]
	s_waitcnt lgkmcnt(0)
	; wave barrier
	s_waitcnt lgkmcnt(0)
	s_and_saveexec_b64 s[2:3], vcc
	s_cbranch_execz .LBB20_239
; %bb.232:
	ds_read_b128 v[2:5], v9
	s_and_b64 vcc, exec, s[0:1]
	s_cbranch_vccnz .LBB20_234
; %bb.233:
	scratch_load_dwordx4 v[10:13], v8, off
	s_waitcnt vmcnt(0) lgkmcnt(0)
	v_mul_f64 v[6:7], v[4:5], v[12:13]
	v_mul_f64 v[12:13], v[2:3], v[12:13]
	v_fmac_f64_e32 v[12:13], v[4:5], v[10:11]
	v_fma_f64 v[2:3], v[2:3], v[10:11], -v[6:7]
	v_mov_b64_e32 v[4:5], v[12:13]
.LBB20_234:
	v_cmp_ne_u32_e32 vcc, 9, v0
	s_and_saveexec_b64 s[6:7], vcc
	s_cbranch_execz .LBB20_238
; %bb.235:
	v_mov_b32_e32 v7, 0
	v_add_u32_e32 v6, 0x160, v54
	v_add3_u32 v7, v54, v7, 24
	s_mov_b64 s[8:9], 0
	v_mov_b32_e32 v10, v0
.LBB20_236:                             ; =>This Inner Loop Header: Depth=1
	v_add_u32_e32 v11, -8, v7
	scratch_load_dwordx4 v[76:79], v11, off
	ds_read_b128 v[80:83], v6
	v_add_u32_e32 v10, 1, v10
	v_cmp_lt_u32_e32 vcc, 8, v10
	v_add_u32_e32 v6, 16, v6
	v_add_u32_e32 v7, 16, v7
	s_or_b64 s[8:9], vcc, s[8:9]
	s_waitcnt vmcnt(0) lgkmcnt(0)
	v_mul_f64 v[12:13], v[82:83], v[78:79]
	v_mul_f64 v[78:79], v[80:81], v[78:79]
	v_fma_f64 v[12:13], v[80:81], v[76:77], -v[12:13]
	v_fmac_f64_e32 v[78:79], v[82:83], v[76:77]
	v_add_f64 v[2:3], v[2:3], v[12:13]
	v_add_f64 v[4:5], v[4:5], v[78:79]
	s_andn2_b64 exec, exec, s[8:9]
	s_cbranch_execnz .LBB20_236
; %bb.237:
	s_or_b64 exec, exec, s[8:9]
.LBB20_238:
	s_or_b64 exec, exec, s[6:7]
	v_mov_b32_e32 v6, 0
	ds_read_b128 v[10:13], v6 offset:160
	s_waitcnt lgkmcnt(0)
	v_mul_f64 v[6:7], v[4:5], v[12:13]
	v_mul_f64 v[78:79], v[2:3], v[12:13]
	v_fma_f64 v[76:77], v[2:3], v[10:11], -v[6:7]
	v_fmac_f64_e32 v[78:79], v[4:5], v[10:11]
	scratch_store_dwordx4 off, v[76:79], off offset:160
.LBB20_239:
	s_or_b64 exec, exec, s[2:3]
	scratch_load_dwordx4 v[2:5], v64, off
	v_cmp_gt_u32_e32 vcc, 11, v0
	s_waitcnt vmcnt(0)
	ds_write_b128 v9, v[2:5]
	s_waitcnt lgkmcnt(0)
	; wave barrier
	s_waitcnt lgkmcnt(0)
	s_and_saveexec_b64 s[2:3], vcc
	s_cbranch_execz .LBB20_247
; %bb.240:
	ds_read_b128 v[2:5], v9
	s_and_b64 vcc, exec, s[0:1]
	s_cbranch_vccnz .LBB20_242
; %bb.241:
	scratch_load_dwordx4 v[10:13], v8, off
	s_waitcnt vmcnt(0) lgkmcnt(0)
	v_mul_f64 v[6:7], v[4:5], v[12:13]
	v_mul_f64 v[12:13], v[2:3], v[12:13]
	v_fmac_f64_e32 v[12:13], v[4:5], v[10:11]
	v_fma_f64 v[2:3], v[2:3], v[10:11], -v[6:7]
	v_mov_b64_e32 v[4:5], v[12:13]
.LBB20_242:
	v_cmp_ne_u32_e32 vcc, 10, v0
	s_and_saveexec_b64 s[6:7], vcc
	s_cbranch_execz .LBB20_246
; %bb.243:
	v_mov_b32_e32 v7, 0
	v_add_u32_e32 v6, 0x160, v54
	v_add3_u32 v7, v54, v7, 24
	s_mov_b64 s[8:9], 0
	v_mov_b32_e32 v10, v0
.LBB20_244:                             ; =>This Inner Loop Header: Depth=1
	v_add_u32_e32 v11, -8, v7
	scratch_load_dwordx4 v[76:79], v11, off
	ds_read_b128 v[80:83], v6
	v_add_u32_e32 v10, 1, v10
	v_cmp_lt_u32_e32 vcc, 9, v10
	v_add_u32_e32 v6, 16, v6
	v_add_u32_e32 v7, 16, v7
	s_or_b64 s[8:9], vcc, s[8:9]
	s_waitcnt vmcnt(0) lgkmcnt(0)
	v_mul_f64 v[12:13], v[82:83], v[78:79]
	v_mul_f64 v[78:79], v[80:81], v[78:79]
	v_fma_f64 v[12:13], v[80:81], v[76:77], -v[12:13]
	v_fmac_f64_e32 v[78:79], v[82:83], v[76:77]
	v_add_f64 v[2:3], v[2:3], v[12:13]
	v_add_f64 v[4:5], v[4:5], v[78:79]
	s_andn2_b64 exec, exec, s[8:9]
	s_cbranch_execnz .LBB20_244
; %bb.245:
	s_or_b64 exec, exec, s[8:9]
.LBB20_246:
	s_or_b64 exec, exec, s[6:7]
	v_mov_b32_e32 v6, 0
	ds_read_b128 v[10:13], v6 offset:176
	s_waitcnt lgkmcnt(0)
	v_mul_f64 v[6:7], v[4:5], v[12:13]
	v_mul_f64 v[78:79], v[2:3], v[12:13]
	v_fma_f64 v[76:77], v[2:3], v[10:11], -v[6:7]
	v_fmac_f64_e32 v[78:79], v[4:5], v[10:11]
	scratch_store_dwordx4 off, v[76:79], off offset:176
.LBB20_247:
	s_or_b64 exec, exec, s[2:3]
	scratch_load_dwordx4 v[2:5], v65, off
	v_cmp_gt_u32_e32 vcc, 12, v0
	s_waitcnt vmcnt(0)
	ds_write_b128 v9, v[2:5]
	s_waitcnt lgkmcnt(0)
	; wave barrier
	s_waitcnt lgkmcnt(0)
	s_and_saveexec_b64 s[2:3], vcc
	s_cbranch_execz .LBB20_255
; %bb.248:
	ds_read_b128 v[2:5], v9
	s_and_b64 vcc, exec, s[0:1]
	s_cbranch_vccnz .LBB20_250
; %bb.249:
	scratch_load_dwordx4 v[10:13], v8, off
	s_waitcnt vmcnt(0) lgkmcnt(0)
	v_mul_f64 v[6:7], v[4:5], v[12:13]
	v_mul_f64 v[12:13], v[2:3], v[12:13]
	v_fmac_f64_e32 v[12:13], v[4:5], v[10:11]
	v_fma_f64 v[2:3], v[2:3], v[10:11], -v[6:7]
	v_mov_b64_e32 v[4:5], v[12:13]
.LBB20_250:
	v_cmp_ne_u32_e32 vcc, 11, v0
	s_and_saveexec_b64 s[6:7], vcc
	s_cbranch_execz .LBB20_254
; %bb.251:
	v_mov_b32_e32 v7, 0
	v_add_u32_e32 v6, 0x160, v54
	v_add3_u32 v7, v54, v7, 24
	s_mov_b64 s[8:9], 0
	v_mov_b32_e32 v10, v0
.LBB20_252:                             ; =>This Inner Loop Header: Depth=1
	v_add_u32_e32 v11, -8, v7
	scratch_load_dwordx4 v[76:79], v11, off
	ds_read_b128 v[80:83], v6
	v_add_u32_e32 v10, 1, v10
	v_cmp_lt_u32_e32 vcc, 10, v10
	v_add_u32_e32 v6, 16, v6
	v_add_u32_e32 v7, 16, v7
	s_or_b64 s[8:9], vcc, s[8:9]
	s_waitcnt vmcnt(0) lgkmcnt(0)
	v_mul_f64 v[12:13], v[82:83], v[78:79]
	v_mul_f64 v[78:79], v[80:81], v[78:79]
	v_fma_f64 v[12:13], v[80:81], v[76:77], -v[12:13]
	v_fmac_f64_e32 v[78:79], v[82:83], v[76:77]
	v_add_f64 v[2:3], v[2:3], v[12:13]
	v_add_f64 v[4:5], v[4:5], v[78:79]
	s_andn2_b64 exec, exec, s[8:9]
	s_cbranch_execnz .LBB20_252
; %bb.253:
	s_or_b64 exec, exec, s[8:9]
.LBB20_254:
	s_or_b64 exec, exec, s[6:7]
	v_mov_b32_e32 v6, 0
	ds_read_b128 v[10:13], v6 offset:192
	s_waitcnt lgkmcnt(0)
	v_mul_f64 v[6:7], v[4:5], v[12:13]
	v_mul_f64 v[78:79], v[2:3], v[12:13]
	v_fma_f64 v[76:77], v[2:3], v[10:11], -v[6:7]
	v_fmac_f64_e32 v[78:79], v[4:5], v[10:11]
	scratch_store_dwordx4 off, v[76:79], off offset:192
.LBB20_255:
	s_or_b64 exec, exec, s[2:3]
	scratch_load_dwordx4 v[2:5], v63, off
	v_cmp_gt_u32_e32 vcc, 13, v0
	s_waitcnt vmcnt(0)
	ds_write_b128 v9, v[2:5]
	s_waitcnt lgkmcnt(0)
	; wave barrier
	s_waitcnt lgkmcnt(0)
	s_and_saveexec_b64 s[2:3], vcc
	s_cbranch_execz .LBB20_263
; %bb.256:
	ds_read_b128 v[2:5], v9
	s_and_b64 vcc, exec, s[0:1]
	s_cbranch_vccnz .LBB20_258
; %bb.257:
	scratch_load_dwordx4 v[10:13], v8, off
	s_waitcnt vmcnt(0) lgkmcnt(0)
	v_mul_f64 v[6:7], v[4:5], v[12:13]
	v_mul_f64 v[12:13], v[2:3], v[12:13]
	v_fmac_f64_e32 v[12:13], v[4:5], v[10:11]
	v_fma_f64 v[2:3], v[2:3], v[10:11], -v[6:7]
	v_mov_b64_e32 v[4:5], v[12:13]
.LBB20_258:
	v_cmp_ne_u32_e32 vcc, 12, v0
	s_and_saveexec_b64 s[6:7], vcc
	s_cbranch_execz .LBB20_262
; %bb.259:
	v_mov_b32_e32 v7, 0
	v_add_u32_e32 v6, 0x160, v54
	v_add3_u32 v7, v54, v7, 24
	s_mov_b64 s[8:9], 0
	v_mov_b32_e32 v10, v0
.LBB20_260:                             ; =>This Inner Loop Header: Depth=1
	v_add_u32_e32 v11, -8, v7
	scratch_load_dwordx4 v[76:79], v11, off
	ds_read_b128 v[80:83], v6
	v_add_u32_e32 v10, 1, v10
	v_cmp_lt_u32_e32 vcc, 11, v10
	v_add_u32_e32 v6, 16, v6
	v_add_u32_e32 v7, 16, v7
	s_or_b64 s[8:9], vcc, s[8:9]
	s_waitcnt vmcnt(0) lgkmcnt(0)
	v_mul_f64 v[12:13], v[82:83], v[78:79]
	v_mul_f64 v[78:79], v[80:81], v[78:79]
	v_fma_f64 v[12:13], v[80:81], v[76:77], -v[12:13]
	v_fmac_f64_e32 v[78:79], v[82:83], v[76:77]
	v_add_f64 v[2:3], v[2:3], v[12:13]
	v_add_f64 v[4:5], v[4:5], v[78:79]
	s_andn2_b64 exec, exec, s[8:9]
	s_cbranch_execnz .LBB20_260
; %bb.261:
	s_or_b64 exec, exec, s[8:9]
.LBB20_262:
	s_or_b64 exec, exec, s[6:7]
	v_mov_b32_e32 v6, 0
	ds_read_b128 v[10:13], v6 offset:208
	s_waitcnt lgkmcnt(0)
	v_mul_f64 v[6:7], v[4:5], v[12:13]
	v_mul_f64 v[78:79], v[2:3], v[12:13]
	v_fma_f64 v[76:77], v[2:3], v[10:11], -v[6:7]
	v_fmac_f64_e32 v[78:79], v[4:5], v[10:11]
	scratch_store_dwordx4 off, v[76:79], off offset:208
.LBB20_263:
	s_or_b64 exec, exec, s[2:3]
	scratch_load_dwordx4 v[2:5], v62, off
	v_cmp_gt_u32_e32 vcc, 14, v0
	s_waitcnt vmcnt(0)
	ds_write_b128 v9, v[2:5]
	s_waitcnt lgkmcnt(0)
	; wave barrier
	s_waitcnt lgkmcnt(0)
	s_and_saveexec_b64 s[2:3], vcc
	s_cbranch_execz .LBB20_271
; %bb.264:
	ds_read_b128 v[2:5], v9
	s_and_b64 vcc, exec, s[0:1]
	s_cbranch_vccnz .LBB20_266
; %bb.265:
	scratch_load_dwordx4 v[10:13], v8, off
	s_waitcnt vmcnt(0) lgkmcnt(0)
	v_mul_f64 v[6:7], v[4:5], v[12:13]
	v_mul_f64 v[12:13], v[2:3], v[12:13]
	v_fmac_f64_e32 v[12:13], v[4:5], v[10:11]
	v_fma_f64 v[2:3], v[2:3], v[10:11], -v[6:7]
	v_mov_b64_e32 v[4:5], v[12:13]
.LBB20_266:
	v_cmp_ne_u32_e32 vcc, 13, v0
	s_and_saveexec_b64 s[6:7], vcc
	s_cbranch_execz .LBB20_270
; %bb.267:
	v_mov_b32_e32 v7, 0
	v_add_u32_e32 v6, 0x160, v54
	v_add3_u32 v7, v54, v7, 24
	s_mov_b64 s[8:9], 0
	v_mov_b32_e32 v10, v0
.LBB20_268:                             ; =>This Inner Loop Header: Depth=1
	v_add_u32_e32 v11, -8, v7
	scratch_load_dwordx4 v[76:79], v11, off
	ds_read_b128 v[80:83], v6
	v_add_u32_e32 v10, 1, v10
	v_cmp_lt_u32_e32 vcc, 12, v10
	v_add_u32_e32 v6, 16, v6
	v_add_u32_e32 v7, 16, v7
	s_or_b64 s[8:9], vcc, s[8:9]
	s_waitcnt vmcnt(0) lgkmcnt(0)
	v_mul_f64 v[12:13], v[82:83], v[78:79]
	v_mul_f64 v[78:79], v[80:81], v[78:79]
	v_fma_f64 v[12:13], v[80:81], v[76:77], -v[12:13]
	v_fmac_f64_e32 v[78:79], v[82:83], v[76:77]
	v_add_f64 v[2:3], v[2:3], v[12:13]
	v_add_f64 v[4:5], v[4:5], v[78:79]
	s_andn2_b64 exec, exec, s[8:9]
	s_cbranch_execnz .LBB20_268
; %bb.269:
	s_or_b64 exec, exec, s[8:9]
.LBB20_270:
	s_or_b64 exec, exec, s[6:7]
	v_mov_b32_e32 v6, 0
	ds_read_b128 v[10:13], v6 offset:224
	s_waitcnt lgkmcnt(0)
	v_mul_f64 v[6:7], v[4:5], v[12:13]
	v_mul_f64 v[78:79], v[2:3], v[12:13]
	v_fma_f64 v[76:77], v[2:3], v[10:11], -v[6:7]
	v_fmac_f64_e32 v[78:79], v[4:5], v[10:11]
	scratch_store_dwordx4 off, v[76:79], off offset:224
.LBB20_271:
	s_or_b64 exec, exec, s[2:3]
	scratch_load_dwordx4 v[2:5], v61, off
	v_cmp_gt_u32_e32 vcc, 15, v0
	s_waitcnt vmcnt(0)
	ds_write_b128 v9, v[2:5]
	s_waitcnt lgkmcnt(0)
	; wave barrier
	s_waitcnt lgkmcnt(0)
	s_and_saveexec_b64 s[2:3], vcc
	s_cbranch_execz .LBB20_279
; %bb.272:
	ds_read_b128 v[2:5], v9
	s_and_b64 vcc, exec, s[0:1]
	s_cbranch_vccnz .LBB20_274
; %bb.273:
	scratch_load_dwordx4 v[10:13], v8, off
	s_waitcnt vmcnt(0) lgkmcnt(0)
	v_mul_f64 v[6:7], v[4:5], v[12:13]
	v_mul_f64 v[12:13], v[2:3], v[12:13]
	v_fmac_f64_e32 v[12:13], v[4:5], v[10:11]
	v_fma_f64 v[2:3], v[2:3], v[10:11], -v[6:7]
	v_mov_b64_e32 v[4:5], v[12:13]
.LBB20_274:
	v_cmp_ne_u32_e32 vcc, 14, v0
	s_and_saveexec_b64 s[6:7], vcc
	s_cbranch_execz .LBB20_278
; %bb.275:
	v_mov_b32_e32 v7, 0
	v_add_u32_e32 v6, 0x160, v54
	v_add3_u32 v7, v54, v7, 24
	s_mov_b64 s[8:9], 0
	v_mov_b32_e32 v10, v0
.LBB20_276:                             ; =>This Inner Loop Header: Depth=1
	v_add_u32_e32 v11, -8, v7
	scratch_load_dwordx4 v[76:79], v11, off
	ds_read_b128 v[80:83], v6
	v_add_u32_e32 v10, 1, v10
	v_cmp_lt_u32_e32 vcc, 13, v10
	v_add_u32_e32 v6, 16, v6
	v_add_u32_e32 v7, 16, v7
	s_or_b64 s[8:9], vcc, s[8:9]
	s_waitcnt vmcnt(0) lgkmcnt(0)
	v_mul_f64 v[12:13], v[82:83], v[78:79]
	v_mul_f64 v[78:79], v[80:81], v[78:79]
	v_fma_f64 v[12:13], v[80:81], v[76:77], -v[12:13]
	v_fmac_f64_e32 v[78:79], v[82:83], v[76:77]
	v_add_f64 v[2:3], v[2:3], v[12:13]
	v_add_f64 v[4:5], v[4:5], v[78:79]
	s_andn2_b64 exec, exec, s[8:9]
	s_cbranch_execnz .LBB20_276
; %bb.277:
	s_or_b64 exec, exec, s[8:9]
.LBB20_278:
	s_or_b64 exec, exec, s[6:7]
	v_mov_b32_e32 v6, 0
	ds_read_b128 v[10:13], v6 offset:240
	s_waitcnt lgkmcnt(0)
	v_mul_f64 v[6:7], v[4:5], v[12:13]
	v_mul_f64 v[78:79], v[2:3], v[12:13]
	v_fma_f64 v[76:77], v[2:3], v[10:11], -v[6:7]
	v_fmac_f64_e32 v[78:79], v[4:5], v[10:11]
	scratch_store_dwordx4 off, v[76:79], off offset:240
.LBB20_279:
	s_or_b64 exec, exec, s[2:3]
	scratch_load_dwordx4 v[2:5], v60, off
	v_cmp_gt_u32_e32 vcc, 16, v0
	s_waitcnt vmcnt(0)
	ds_write_b128 v9, v[2:5]
	s_waitcnt lgkmcnt(0)
	; wave barrier
	s_waitcnt lgkmcnt(0)
	s_and_saveexec_b64 s[2:3], vcc
	s_cbranch_execz .LBB20_287
; %bb.280:
	ds_read_b128 v[2:5], v9
	s_and_b64 vcc, exec, s[0:1]
	s_cbranch_vccnz .LBB20_282
; %bb.281:
	scratch_load_dwordx4 v[10:13], v8, off
	s_waitcnt vmcnt(0) lgkmcnt(0)
	v_mul_f64 v[6:7], v[4:5], v[12:13]
	v_mul_f64 v[12:13], v[2:3], v[12:13]
	v_fmac_f64_e32 v[12:13], v[4:5], v[10:11]
	v_fma_f64 v[2:3], v[2:3], v[10:11], -v[6:7]
	v_mov_b64_e32 v[4:5], v[12:13]
.LBB20_282:
	v_cmp_ne_u32_e32 vcc, 15, v0
	s_and_saveexec_b64 s[6:7], vcc
	s_cbranch_execz .LBB20_286
; %bb.283:
	v_mov_b32_e32 v7, 0
	v_add_u32_e32 v6, 0x160, v54
	v_add3_u32 v7, v54, v7, 24
	s_mov_b64 s[8:9], 0
	v_mov_b32_e32 v10, v0
.LBB20_284:                             ; =>This Inner Loop Header: Depth=1
	v_add_u32_e32 v11, -8, v7
	scratch_load_dwordx4 v[76:79], v11, off
	ds_read_b128 v[80:83], v6
	v_add_u32_e32 v10, 1, v10
	v_cmp_lt_u32_e32 vcc, 14, v10
	v_add_u32_e32 v6, 16, v6
	v_add_u32_e32 v7, 16, v7
	s_or_b64 s[8:9], vcc, s[8:9]
	s_waitcnt vmcnt(0) lgkmcnt(0)
	v_mul_f64 v[12:13], v[82:83], v[78:79]
	v_mul_f64 v[78:79], v[80:81], v[78:79]
	v_fma_f64 v[12:13], v[80:81], v[76:77], -v[12:13]
	v_fmac_f64_e32 v[78:79], v[82:83], v[76:77]
	v_add_f64 v[2:3], v[2:3], v[12:13]
	v_add_f64 v[4:5], v[4:5], v[78:79]
	s_andn2_b64 exec, exec, s[8:9]
	s_cbranch_execnz .LBB20_284
; %bb.285:
	s_or_b64 exec, exec, s[8:9]
.LBB20_286:
	s_or_b64 exec, exec, s[6:7]
	v_mov_b32_e32 v6, 0
	ds_read_b128 v[10:13], v6 offset:256
	s_waitcnt lgkmcnt(0)
	v_mul_f64 v[6:7], v[4:5], v[12:13]
	v_mul_f64 v[78:79], v[2:3], v[12:13]
	v_fma_f64 v[76:77], v[2:3], v[10:11], -v[6:7]
	v_fmac_f64_e32 v[78:79], v[4:5], v[10:11]
	scratch_store_dwordx4 off, v[76:79], off offset:256
.LBB20_287:
	s_or_b64 exec, exec, s[2:3]
	scratch_load_dwordx4 v[2:5], v58, off
	v_cmp_gt_u32_e32 vcc, 17, v0
	s_waitcnt vmcnt(0)
	ds_write_b128 v9, v[2:5]
	s_waitcnt lgkmcnt(0)
	; wave barrier
	s_waitcnt lgkmcnt(0)
	s_and_saveexec_b64 s[2:3], vcc
	s_cbranch_execz .LBB20_295
; %bb.288:
	ds_read_b128 v[2:5], v9
	s_and_b64 vcc, exec, s[0:1]
	s_cbranch_vccnz .LBB20_290
; %bb.289:
	scratch_load_dwordx4 v[10:13], v8, off
	s_waitcnt vmcnt(0) lgkmcnt(0)
	v_mul_f64 v[6:7], v[4:5], v[12:13]
	v_mul_f64 v[12:13], v[2:3], v[12:13]
	v_fmac_f64_e32 v[12:13], v[4:5], v[10:11]
	v_fma_f64 v[2:3], v[2:3], v[10:11], -v[6:7]
	v_mov_b64_e32 v[4:5], v[12:13]
.LBB20_290:
	v_cmp_ne_u32_e32 vcc, 16, v0
	s_and_saveexec_b64 s[6:7], vcc
	s_cbranch_execz .LBB20_294
; %bb.291:
	v_mov_b32_e32 v7, 0
	v_add_u32_e32 v6, 0x160, v54
	v_add3_u32 v7, v54, v7, 24
	s_mov_b64 s[8:9], 0
	v_mov_b32_e32 v10, v0
.LBB20_292:                             ; =>This Inner Loop Header: Depth=1
	v_add_u32_e32 v11, -8, v7
	scratch_load_dwordx4 v[76:79], v11, off
	ds_read_b128 v[80:83], v6
	v_add_u32_e32 v10, 1, v10
	v_cmp_lt_u32_e32 vcc, 15, v10
	v_add_u32_e32 v6, 16, v6
	v_add_u32_e32 v7, 16, v7
	s_or_b64 s[8:9], vcc, s[8:9]
	s_waitcnt vmcnt(0) lgkmcnt(0)
	v_mul_f64 v[12:13], v[82:83], v[78:79]
	v_mul_f64 v[78:79], v[80:81], v[78:79]
	v_fma_f64 v[12:13], v[80:81], v[76:77], -v[12:13]
	v_fmac_f64_e32 v[78:79], v[82:83], v[76:77]
	v_add_f64 v[2:3], v[2:3], v[12:13]
	v_add_f64 v[4:5], v[4:5], v[78:79]
	s_andn2_b64 exec, exec, s[8:9]
	s_cbranch_execnz .LBB20_292
; %bb.293:
	s_or_b64 exec, exec, s[8:9]
.LBB20_294:
	s_or_b64 exec, exec, s[6:7]
	v_mov_b32_e32 v6, 0
	ds_read_b128 v[10:13], v6 offset:272
	s_waitcnt lgkmcnt(0)
	v_mul_f64 v[6:7], v[4:5], v[12:13]
	v_mul_f64 v[78:79], v[2:3], v[12:13]
	v_fma_f64 v[76:77], v[2:3], v[10:11], -v[6:7]
	v_fmac_f64_e32 v[78:79], v[4:5], v[10:11]
	scratch_store_dwordx4 off, v[76:79], off offset:272
.LBB20_295:
	s_or_b64 exec, exec, s[2:3]
	scratch_load_dwordx4 v[2:5], v59, off
	v_cmp_gt_u32_e32 vcc, 18, v0
	s_waitcnt vmcnt(0)
	ds_write_b128 v9, v[2:5]
	s_waitcnt lgkmcnt(0)
	; wave barrier
	s_waitcnt lgkmcnt(0)
	s_and_saveexec_b64 s[2:3], vcc
	s_cbranch_execz .LBB20_303
; %bb.296:
	ds_read_b128 v[2:5], v9
	s_and_b64 vcc, exec, s[0:1]
	s_cbranch_vccnz .LBB20_298
; %bb.297:
	scratch_load_dwordx4 v[10:13], v8, off
	s_waitcnt vmcnt(0) lgkmcnt(0)
	v_mul_f64 v[6:7], v[4:5], v[12:13]
	v_mul_f64 v[12:13], v[2:3], v[12:13]
	v_fmac_f64_e32 v[12:13], v[4:5], v[10:11]
	v_fma_f64 v[2:3], v[2:3], v[10:11], -v[6:7]
	v_mov_b64_e32 v[4:5], v[12:13]
.LBB20_298:
	v_cmp_ne_u32_e32 vcc, 17, v0
	s_and_saveexec_b64 s[6:7], vcc
	s_cbranch_execz .LBB20_302
; %bb.299:
	v_mov_b32_e32 v7, 0
	v_add_u32_e32 v6, 0x160, v54
	v_add3_u32 v7, v54, v7, 24
	s_mov_b64 s[8:9], 0
	v_mov_b32_e32 v10, v0
.LBB20_300:                             ; =>This Inner Loop Header: Depth=1
	v_add_u32_e32 v11, -8, v7
	scratch_load_dwordx4 v[76:79], v11, off
	ds_read_b128 v[80:83], v6
	v_add_u32_e32 v10, 1, v10
	v_cmp_lt_u32_e32 vcc, 16, v10
	v_add_u32_e32 v6, 16, v6
	v_add_u32_e32 v7, 16, v7
	s_or_b64 s[8:9], vcc, s[8:9]
	s_waitcnt vmcnt(0) lgkmcnt(0)
	v_mul_f64 v[12:13], v[82:83], v[78:79]
	v_mul_f64 v[78:79], v[80:81], v[78:79]
	v_fma_f64 v[12:13], v[80:81], v[76:77], -v[12:13]
	v_fmac_f64_e32 v[78:79], v[82:83], v[76:77]
	v_add_f64 v[2:3], v[2:3], v[12:13]
	v_add_f64 v[4:5], v[4:5], v[78:79]
	s_andn2_b64 exec, exec, s[8:9]
	s_cbranch_execnz .LBB20_300
; %bb.301:
	s_or_b64 exec, exec, s[8:9]
.LBB20_302:
	s_or_b64 exec, exec, s[6:7]
	v_mov_b32_e32 v6, 0
	ds_read_b128 v[10:13], v6 offset:288
	s_waitcnt lgkmcnt(0)
	v_mul_f64 v[6:7], v[4:5], v[12:13]
	v_mul_f64 v[78:79], v[2:3], v[12:13]
	v_fma_f64 v[76:77], v[2:3], v[10:11], -v[6:7]
	v_fmac_f64_e32 v[78:79], v[4:5], v[10:11]
	scratch_store_dwordx4 off, v[76:79], off offset:288
.LBB20_303:
	s_or_b64 exec, exec, s[2:3]
	scratch_load_dwordx4 v[2:5], v1, off
	v_cmp_gt_u32_e64 s[2:3], 19, v0
	s_waitcnt vmcnt(0)
	ds_write_b128 v9, v[2:5]
	s_waitcnt lgkmcnt(0)
	; wave barrier
	s_waitcnt lgkmcnt(0)
	s_and_saveexec_b64 s[6:7], s[2:3]
	s_cbranch_execz .LBB20_311
; %bb.304:
	ds_read_b128 v[2:5], v9
	s_and_b64 vcc, exec, s[0:1]
	s_cbranch_vccnz .LBB20_306
; %bb.305:
	scratch_load_dwordx4 v[10:13], v8, off
	s_waitcnt vmcnt(0) lgkmcnt(0)
	v_mul_f64 v[6:7], v[4:5], v[12:13]
	v_mul_f64 v[12:13], v[2:3], v[12:13]
	v_fmac_f64_e32 v[12:13], v[4:5], v[10:11]
	v_fma_f64 v[2:3], v[2:3], v[10:11], -v[6:7]
	v_mov_b64_e32 v[4:5], v[12:13]
.LBB20_306:
	v_cmp_ne_u32_e32 vcc, 18, v0
	s_and_saveexec_b64 s[8:9], vcc
	s_cbranch_execz .LBB20_310
; %bb.307:
	v_mov_b32_e32 v7, 0
	v_add_u32_e32 v6, 0x160, v54
	v_add3_u32 v7, v54, v7, 24
	s_mov_b64 s[10:11], 0
	v_mov_b32_e32 v10, v0
.LBB20_308:                             ; =>This Inner Loop Header: Depth=1
	v_add_u32_e32 v11, -8, v7
	scratch_load_dwordx4 v[76:79], v11, off
	ds_read_b128 v[80:83], v6
	v_add_u32_e32 v10, 1, v10
	v_cmp_lt_u32_e32 vcc, 17, v10
	v_add_u32_e32 v6, 16, v6
	v_add_u32_e32 v7, 16, v7
	s_or_b64 s[10:11], vcc, s[10:11]
	s_waitcnt vmcnt(0) lgkmcnt(0)
	v_mul_f64 v[12:13], v[82:83], v[78:79]
	v_mul_f64 v[78:79], v[80:81], v[78:79]
	v_fma_f64 v[12:13], v[80:81], v[76:77], -v[12:13]
	v_fmac_f64_e32 v[78:79], v[82:83], v[76:77]
	v_add_f64 v[2:3], v[2:3], v[12:13]
	v_add_f64 v[4:5], v[4:5], v[78:79]
	s_andn2_b64 exec, exec, s[10:11]
	s_cbranch_execnz .LBB20_308
; %bb.309:
	s_or_b64 exec, exec, s[10:11]
.LBB20_310:
	s_or_b64 exec, exec, s[8:9]
	v_mov_b32_e32 v6, 0
	ds_read_b128 v[10:13], v6 offset:304
	s_waitcnt lgkmcnt(0)
	v_mul_f64 v[6:7], v[4:5], v[12:13]
	v_mul_f64 v[78:79], v[2:3], v[12:13]
	v_fma_f64 v[76:77], v[2:3], v[10:11], -v[6:7]
	v_fmac_f64_e32 v[78:79], v[4:5], v[10:11]
	scratch_store_dwordx4 off, v[76:79], off offset:304
.LBB20_311:
	s_or_b64 exec, exec, s[6:7]
	scratch_load_dwordx4 v[2:5], v55, off
	v_cmp_ne_u32_e32 vcc, 20, v0
                                        ; implicit-def: $vgpr6_vgpr7
                                        ; implicit-def: $vgpr10
	s_waitcnt vmcnt(0)
	ds_write_b128 v9, v[2:5]
	s_waitcnt lgkmcnt(0)
	; wave barrier
	s_waitcnt lgkmcnt(0)
	s_and_saveexec_b64 s[6:7], vcc
	s_cbranch_execz .LBB20_319
; %bb.312:
	ds_read_b128 v[2:5], v9
	s_and_b64 vcc, exec, s[0:1]
	s_cbranch_vccnz .LBB20_314
; %bb.313:
	scratch_load_dwordx4 v[6:9], v8, off
	s_waitcnt vmcnt(0) lgkmcnt(0)
	v_mul_f64 v[10:11], v[4:5], v[8:9]
	v_mul_f64 v[8:9], v[2:3], v[8:9]
	v_fmac_f64_e32 v[8:9], v[4:5], v[6:7]
	v_fma_f64 v[2:3], v[2:3], v[6:7], -v[10:11]
	v_mov_b64_e32 v[4:5], v[8:9]
.LBB20_314:
	s_and_saveexec_b64 s[0:1], s[2:3]
	s_cbranch_execz .LBB20_318
; %bb.315:
	v_mov_b32_e32 v7, 0
	v_add_u32_e32 v6, 0x160, v54
	v_add3_u32 v7, v54, v7, 24
	s_mov_b64 s[2:3], 0
.LBB20_316:                             ; =>This Inner Loop Header: Depth=1
	v_add_u32_e32 v8, -8, v7
	scratch_load_dwordx4 v[8:11], v8, off
	ds_read_b128 v[76:79], v6
	v_add_u32_e32 v0, 1, v0
	v_cmp_lt_u32_e32 vcc, 18, v0
	v_add_u32_e32 v6, 16, v6
	v_add_u32_e32 v7, 16, v7
	s_or_b64 s[2:3], vcc, s[2:3]
	s_waitcnt vmcnt(0) lgkmcnt(0)
	v_mul_f64 v[12:13], v[78:79], v[10:11]
	v_mul_f64 v[10:11], v[76:77], v[10:11]
	v_fma_f64 v[12:13], v[76:77], v[8:9], -v[12:13]
	v_fmac_f64_e32 v[10:11], v[78:79], v[8:9]
	v_add_f64 v[2:3], v[2:3], v[12:13]
	v_add_f64 v[4:5], v[4:5], v[10:11]
	s_andn2_b64 exec, exec, s[2:3]
	s_cbranch_execnz .LBB20_316
; %bb.317:
	s_or_b64 exec, exec, s[2:3]
.LBB20_318:
	s_or_b64 exec, exec, s[0:1]
	v_mov_b32_e32 v0, 0
	ds_read_b128 v[76:79], v0 offset:320
	v_mov_b32_e32 v0, 0
	v_add_u32_e32 v10, 0x148, v0
	s_or_b64 s[4:5], s[4:5], exec
	s_waitcnt lgkmcnt(0)
	v_mul_f64 v[8:9], v[4:5], v[78:79]
	v_mul_f64 v[6:7], v[2:3], v[78:79]
	v_fma_f64 v[2:3], v[2:3], v[76:77], -v[8:9]
	v_fmac_f64_e32 v[6:7], v[4:5], v[76:77]
	scratch_store_dwordx2 off, v[2:3], off offset:320
.LBB20_319:
	s_or_b64 exec, exec, s[6:7]
.LBB20_320:
	s_and_saveexec_b64 s[0:1], s[4:5]
	s_cbranch_execz .LBB20_322
; %bb.321:
	scratch_store_dwordx2 v10, v[6:7], off
.LBB20_322:
	s_or_b64 exec, exec, s[0:1]
	scratch_load_dwordx4 v[2:5], off, off
	scratch_load_dwordx4 v[6:9], v71, off
	scratch_load_dwordx4 v[10:13], v68, off
	;; [unrolled: 1-line block ×7, first 2 shown]
                                        ; kill: killed $vgpr75
                                        ; kill: killed $vgpr71
                                        ; kill: killed $vgpr72
                                        ; kill: killed $vgpr73
                                        ; kill: killed $vgpr74
                                        ; kill: killed $vgpr68
                                        ; kill: killed $vgpr69
	s_nop 0
	scratch_load_dwordx4 v[68:71], v70, off
	s_waitcnt vmcnt(8)
	global_store_dwordx4 v[16:17], v[2:5], off
	scratch_load_dwordx4 v[2:5], v66, off
	s_nop 0
	scratch_load_dwordx4 v[72:75], v67, off
	s_waitcnt vmcnt(10)
	global_store_dwordx4 v[14:15], v[6:9], off
	scratch_load_dwordx4 v[6:9], v64, off
	s_nop 0
	scratch_load_dwordx4 v[14:17], v65, off
	s_waitcnt vmcnt(12)
	global_store_dwordx4 v[18:19], v[10:13], off
	scratch_load_dwordx4 v[10:13], v63, off
	s_nop 0
	scratch_load_dwordx4 v[64:67], v62, off
	s_waitcnt vmcnt(14)
	global_store_dwordx4 v[20:21], v[76:79], off
	scratch_load_dwordx4 v[18:21], v61, off
	s_nop 0
	scratch_load_dwordx4 v[76:79], v60, off
	s_waitcnt vmcnt(16)
	global_store_dwordx4 v[22:23], v[80:83], off
	scratch_load_dwordx4 v[60:63], v58, off
	s_nop 0
	scratch_load_dwordx4 v[80:83], v59, off
	s_waitcnt vmcnt(18)
	global_store_dwordx4 v[24:25], v[84:87], off
	scratch_load_dwordx4 v[22:25], v1, off
	s_nop 0
	scratch_load_dwordx4 v[84:87], v55, off
	s_waitcnt vmcnt(20)
	global_store_dwordx4 v[26:27], v[88:91], off
	s_waitcnt vmcnt(20)
	global_store_dwordx4 v[28:29], v[92:95], off
	;; [unrolled: 2-line block ×15, first 2 shown]
.LBB20_323:
	s_endpgm
	.section	.rodata,"a",@progbits
	.p2align	6, 0x0
	.amdhsa_kernel _ZN9rocsolver6v33100L18trti2_kernel_smallILi21E19rocblas_complex_numIdEPS3_EEv13rocblas_fill_17rocblas_diagonal_T1_iil
		.amdhsa_group_segment_fixed_size 672
		.amdhsa_private_segment_fixed_size 352
		.amdhsa_kernarg_size 32
		.amdhsa_user_sgpr_count 2
		.amdhsa_user_sgpr_dispatch_ptr 0
		.amdhsa_user_sgpr_queue_ptr 0
		.amdhsa_user_sgpr_kernarg_segment_ptr 1
		.amdhsa_user_sgpr_dispatch_id 0
		.amdhsa_user_sgpr_kernarg_preload_length 0
		.amdhsa_user_sgpr_kernarg_preload_offset 0
		.amdhsa_user_sgpr_private_segment_size 0
		.amdhsa_uses_dynamic_stack 0
		.amdhsa_enable_private_segment 1
		.amdhsa_system_sgpr_workgroup_id_x 1
		.amdhsa_system_sgpr_workgroup_id_y 0
		.amdhsa_system_sgpr_workgroup_id_z 0
		.amdhsa_system_sgpr_workgroup_info 0
		.amdhsa_system_vgpr_workitem_id 0
		.amdhsa_next_free_vgpr 98
		.amdhsa_next_free_sgpr 12
		.amdhsa_accum_offset 100
		.amdhsa_reserve_vcc 1
		.amdhsa_float_round_mode_32 0
		.amdhsa_float_round_mode_16_64 0
		.amdhsa_float_denorm_mode_32 3
		.amdhsa_float_denorm_mode_16_64 3
		.amdhsa_dx10_clamp 1
		.amdhsa_ieee_mode 1
		.amdhsa_fp16_overflow 0
		.amdhsa_tg_split 0
		.amdhsa_exception_fp_ieee_invalid_op 0
		.amdhsa_exception_fp_denorm_src 0
		.amdhsa_exception_fp_ieee_div_zero 0
		.amdhsa_exception_fp_ieee_overflow 0
		.amdhsa_exception_fp_ieee_underflow 0
		.amdhsa_exception_fp_ieee_inexact 0
		.amdhsa_exception_int_div_zero 0
	.end_amdhsa_kernel
	.section	.text._ZN9rocsolver6v33100L18trti2_kernel_smallILi21E19rocblas_complex_numIdEPS3_EEv13rocblas_fill_17rocblas_diagonal_T1_iil,"axG",@progbits,_ZN9rocsolver6v33100L18trti2_kernel_smallILi21E19rocblas_complex_numIdEPS3_EEv13rocblas_fill_17rocblas_diagonal_T1_iil,comdat
.Lfunc_end20:
	.size	_ZN9rocsolver6v33100L18trti2_kernel_smallILi21E19rocblas_complex_numIdEPS3_EEv13rocblas_fill_17rocblas_diagonal_T1_iil, .Lfunc_end20-_ZN9rocsolver6v33100L18trti2_kernel_smallILi21E19rocblas_complex_numIdEPS3_EEv13rocblas_fill_17rocblas_diagonal_T1_iil
                                        ; -- End function
	.section	.AMDGPU.csdata,"",@progbits
; Kernel info:
; codeLenInByte = 13680
; NumSgprs: 18
; NumVgprs: 98
; NumAgprs: 0
; TotalNumVgprs: 98
; ScratchSize: 352
; MemoryBound: 0
; FloatMode: 240
; IeeeMode: 1
; LDSByteSize: 672 bytes/workgroup (compile time only)
; SGPRBlocks: 2
; VGPRBlocks: 12
; NumSGPRsForWavesPerEU: 18
; NumVGPRsForWavesPerEU: 98
; AccumOffset: 100
; Occupancy: 4
; WaveLimiterHint : 0
; COMPUTE_PGM_RSRC2:SCRATCH_EN: 1
; COMPUTE_PGM_RSRC2:USER_SGPR: 2
; COMPUTE_PGM_RSRC2:TRAP_HANDLER: 0
; COMPUTE_PGM_RSRC2:TGID_X_EN: 1
; COMPUTE_PGM_RSRC2:TGID_Y_EN: 0
; COMPUTE_PGM_RSRC2:TGID_Z_EN: 0
; COMPUTE_PGM_RSRC2:TIDIG_COMP_CNT: 0
; COMPUTE_PGM_RSRC3_GFX90A:ACCUM_OFFSET: 24
; COMPUTE_PGM_RSRC3_GFX90A:TG_SPLIT: 0
	.section	.text._ZN9rocsolver6v33100L18trti2_kernel_smallILi22E19rocblas_complex_numIdEPS3_EEv13rocblas_fill_17rocblas_diagonal_T1_iil,"axG",@progbits,_ZN9rocsolver6v33100L18trti2_kernel_smallILi22E19rocblas_complex_numIdEPS3_EEv13rocblas_fill_17rocblas_diagonal_T1_iil,comdat
	.globl	_ZN9rocsolver6v33100L18trti2_kernel_smallILi22E19rocblas_complex_numIdEPS3_EEv13rocblas_fill_17rocblas_diagonal_T1_iil ; -- Begin function _ZN9rocsolver6v33100L18trti2_kernel_smallILi22E19rocblas_complex_numIdEPS3_EEv13rocblas_fill_17rocblas_diagonal_T1_iil
	.p2align	8
	.type	_ZN9rocsolver6v33100L18trti2_kernel_smallILi22E19rocblas_complex_numIdEPS3_EEv13rocblas_fill_17rocblas_diagonal_T1_iil,@function
_ZN9rocsolver6v33100L18trti2_kernel_smallILi22E19rocblas_complex_numIdEPS3_EEv13rocblas_fill_17rocblas_diagonal_T1_iil: ; @_ZN9rocsolver6v33100L18trti2_kernel_smallILi22E19rocblas_complex_numIdEPS3_EEv13rocblas_fill_17rocblas_diagonal_T1_iil
; %bb.0:
	v_cmp_gt_u32_e32 vcc, 22, v0
	s_and_saveexec_b64 s[4:5], vcc
	s_cbranch_execz .LBB21_339
; %bb.1:
	s_load_dwordx8 s[4:11], s[0:1], 0x0
	s_ashr_i32 s3, s2, 31
	v_lshlrev_b32_e32 v32, 4, v0
	v_mov_b32_e32 v33, 0
	s_waitcnt lgkmcnt(0)
	s_ashr_i32 s1, s8, 31
	s_mov_b32 s0, s8
	s_mul_i32 s8, s2, s11
	s_mul_hi_u32 s11, s2, s10
	s_add_i32 s8, s11, s8
	s_mul_i32 s3, s3, s10
	s_add_i32 s3, s8, s3
	s_mul_i32 s2, s2, s10
	s_lshl_b64 s[2:3], s[2:3], 4
	s_add_u32 s2, s6, s2
	s_addc_u32 s3, s7, s3
	s_lshl_b64 s[0:1], s[0:1], 4
	s_add_u32 s0, s2, s0
	s_addc_u32 s1, s3, s1
	global_load_dwordx4 v[2:5], v32, s[0:1]
	s_add_i32 s6, s9, s9
	v_add_u32_e32 v6, s6, v0
	v_add_u32_e32 v20, s9, v6
	;; [unrolled: 1-line block ×3, first 2 shown]
	v_ashrrev_i32_e32 v21, 31, v20
	v_add_u32_e32 v24, s9, v22
	v_lshl_add_u64 v[30:31], v[20:21], 4, s[0:1]
	v_add_u32_e32 v20, s9, v24
	v_add_u32_e32 v28, s9, v20
	;; [unrolled: 1-line block ×13, first 2 shown]
	s_mov_b32 s2, s9
	s_ashr_i32 s3, s9, 31
	v_lshl_add_u64 v[18:19], s[0:1], 0, v[32:33]
	v_add_u32_e32 v96, s9, v94
	v_lshl_add_u64 v[14:15], s[2:3], 4, v[18:19]
	v_ashrrev_i32_e32 v7, 31, v6
	v_ashrrev_i32_e32 v25, 31, v24
	;; [unrolled: 1-line block ×6, first 2 shown]
	v_add_u32_e32 v98, s9, v96
	v_lshl_add_u64 v[16:17], v[6:7], 4, s[0:1]
	global_load_dwordx4 v[6:9], v[14:15], off
	global_load_dwordx4 v[10:13], v[16:17], off
	v_ashrrev_i32_e32 v23, 31, v22
	v_lshl_add_u64 v[26:27], v[24:25], 4, s[0:1]
	v_lshl_add_u64 v[24:25], v[28:29], 4, s[0:1]
	;; [unrolled: 1-line block ×5, first 2 shown]
	v_add_u32_e32 v38, s9, v98
	v_lshl_add_u64 v[22:23], v[22:23], 4, s[0:1]
	global_load_dwordx4 v[48:51], v[30:31], off
	global_load_dwordx4 v[52:55], v[22:23], off
	v_ashrrev_i32_e32 v21, 31, v20
	v_ashrrev_i32_e32 v39, 31, v38
	v_lshl_add_u64 v[20:21], v[20:21], 4, s[0:1]
	global_load_dwordx4 v[56:59], v[26:27], off
	global_load_dwordx4 v[60:63], v[20:21], off
	;; [unrolled: 1-line block ×4, first 2 shown]
	v_lshl_add_u64 v[38:39], v[38:39], 4, s[0:1]
	global_load_dwordx4 v[72:75], v[38:39], off
	v_ashrrev_i32_e32 v41, 31, v40
	v_lshl_add_u64 v[40:41], v[40:41], 4, s[0:1]
	v_ashrrev_i32_e32 v43, 31, v42
	v_ashrrev_i32_e32 v45, 31, v44
	v_lshl_add_u64 v[42:43], v[42:43], 4, s[0:1]
	v_lshl_add_u64 v[44:45], v[44:45], 4, s[0:1]
	v_ashrrev_i32_e32 v47, 31, v46
	v_ashrrev_i32_e32 v89, 31, v88
	v_lshl_add_u64 v[46:47], v[46:47], 4, s[0:1]
	v_ashrrev_i32_e32 v91, 31, v90
	v_ashrrev_i32_e32 v93, 31, v92
	;; [unrolled: 1-line block ×5, first 2 shown]
	s_cmpk_lg_i32 s5, 0x84
	s_cselect_b64 s[6:7], -1, 0
	s_cmpk_eq_i32 s5, 0x84
	s_waitcnt vmcnt(9)
	scratch_store_dwordx4 off, v[2:5], off
	global_load_dwordx4 v[2:5], v[34:35], off
	s_nop 0
	global_load_dwordx4 v[76:79], v[36:37], off
	s_waitcnt vmcnt(11)
	scratch_store_dwordx4 off, v[6:9], off offset:16
	s_waitcnt vmcnt(11)
	scratch_store_dwordx4 off, v[10:13], off offset:32
	global_load_dwordx4 v[6:9], v[40:41], off
	s_nop 0
	global_load_dwordx4 v[10:13], v[42:43], off
	s_waitcnt vmcnt(13)
	scratch_store_dwordx4 off, v[48:51], off offset:48
	s_waitcnt vmcnt(13)
	scratch_store_dwordx4 off, v[52:55], off offset:64
	global_load_dwordx4 v[80:83], v[44:45], off
	global_load_dwordx4 v[84:87], v[46:47], off
	v_lshl_add_u64 v[48:49], v[88:89], 4, s[0:1]
	s_waitcnt vmcnt(15)
	scratch_store_dwordx4 off, v[56:59], off offset:80
	s_waitcnt vmcnt(15)
	scratch_store_dwordx4 off, v[60:63], off offset:96
	v_lshl_add_u64 v[50:51], v[90:91], 4, s[0:1]
	global_load_dwordx4 v[60:63], v[48:49], off
	global_load_dwordx4 v[88:91], v[50:51], off
	v_lshl_add_u64 v[52:53], v[92:93], 4, s[0:1]
	v_lshl_add_u64 v[54:55], v[94:95], 4, s[0:1]
	;; [unrolled: 1-line block ×4, first 2 shown]
	s_waitcnt vmcnt(17)
	scratch_store_dwordx4 off, v[64:67], off offset:112
	s_waitcnt vmcnt(17)
	scratch_store_dwordx4 off, v[68:71], off offset:128
	;; [unrolled: 2-line block ×4, first 2 shown]
	global_load_dwordx4 v[2:5], v[52:53], off
	global_load_dwordx4 v[64:67], v[54:55], off
	;; [unrolled: 1-line block ×3, first 2 shown]
	s_nop 0
	global_load_dwordx4 v[76:79], v[58:59], off
	s_waitcnt vmcnt(17)
	scratch_store_dwordx4 off, v[6:9], off offset:176
	s_waitcnt vmcnt(17)
	scratch_store_dwordx4 off, v[10:13], off offset:192
	;; [unrolled: 2-line block ×8, first 2 shown]
	v_mov_b32_e32 v12, 0
	s_waitcnt vmcnt(9)
	scratch_store_dwordx4 off, v[68:71], off offset:304
	s_waitcnt vmcnt(9)
	scratch_store_dwordx4 off, v[76:79], off offset:320
	scratch_store_dwordx4 off, v[72:75], off offset:336
	s_cbranch_scc1 .LBB21_7
; %bb.2:
	scratch_load_dwordx4 v[2:5], v32, off
                                        ; implicit-def: $vgpr10_vgpr11
	s_waitcnt vmcnt(0)
	v_xor_b32_e32 v1, 0x80000000, v3
	v_cmp_gt_f64_e32 vcc, 0, v[2:3]
	v_xor_b32_e32 v8, 0x80000000, v5
	v_mov_b32_e32 v6, v2
	v_cndmask_b32_e32 v7, v3, v1, vcc
	v_cmp_gt_f64_e32 vcc, 0, v[4:5]
	s_nop 1
	v_cndmask_b32_e32 v9, v5, v8, vcc
	v_mov_b32_e32 v8, v4
	v_cmp_ngt_f64_e32 vcc, v[6:7], v[8:9]
                                        ; implicit-def: $vgpr6_vgpr7
	s_and_saveexec_b64 s[0:1], vcc
	s_xor_b64 s[0:1], exec, s[0:1]
	s_cbranch_execz .LBB21_4
; %bb.3:
	v_div_scale_f64 v[6:7], s[2:3], v[4:5], v[4:5], v[2:3]
	v_rcp_f64_e32 v[8:9], v[6:7]
	v_div_scale_f64 v[10:11], vcc, v[2:3], v[4:5], v[2:3]
	v_fma_f64 v[60:61], -v[6:7], v[8:9], 1.0
	v_fmac_f64_e32 v[8:9], v[8:9], v[60:61]
	v_fma_f64 v[60:61], -v[6:7], v[8:9], 1.0
	v_fmac_f64_e32 v[8:9], v[8:9], v[60:61]
	v_mul_f64 v[60:61], v[10:11], v[8:9]
	v_fma_f64 v[6:7], -v[6:7], v[60:61], v[10:11]
	v_div_fmas_f64 v[6:7], v[6:7], v[8:9], v[60:61]
	v_div_fixup_f64 v[6:7], v[6:7], v[4:5], v[2:3]
	v_fmac_f64_e32 v[4:5], v[2:3], v[6:7]
	v_div_scale_f64 v[2:3], s[2:3], v[4:5], v[4:5], 1.0
	v_rcp_f64_e32 v[8:9], v[2:3]
	s_nop 0
	v_fma_f64 v[10:11], -v[2:3], v[8:9], 1.0
	v_fmac_f64_e32 v[8:9], v[8:9], v[10:11]
	v_fma_f64 v[10:11], -v[2:3], v[8:9], 1.0
	v_fmac_f64_e32 v[8:9], v[8:9], v[10:11]
	v_div_scale_f64 v[10:11], vcc, 1.0, v[4:5], 1.0
	v_mul_f64 v[60:61], v[10:11], v[8:9]
	v_fma_f64 v[2:3], -v[2:3], v[60:61], v[10:11]
	s_nop 1
	v_div_fmas_f64 v[2:3], v[2:3], v[8:9], v[60:61]
	v_div_fixup_f64 v[8:9], v[2:3], v[4:5], 1.0
	v_mul_f64 v[6:7], v[6:7], v[8:9]
	v_xor_b32_e32 v9, 0x80000000, v9
	v_xor_b32_e32 v11, 0x80000000, v7
	v_mov_b32_e32 v10, v6
                                        ; implicit-def: $vgpr2_vgpr3
.LBB21_4:
	s_or_saveexec_b64 s[0:1], s[0:1]
	v_add_u32_e32 v1, 0, v32
	s_xor_b64 exec, exec, s[0:1]
	s_cbranch_execz .LBB21_6
; %bb.5:
	v_div_scale_f64 v[6:7], s[2:3], v[2:3], v[2:3], v[4:5]
	v_rcp_f64_e32 v[8:9], v[6:7]
	v_div_scale_f64 v[10:11], vcc, v[4:5], v[2:3], v[4:5]
	v_fma_f64 v[60:61], -v[6:7], v[8:9], 1.0
	v_fmac_f64_e32 v[8:9], v[8:9], v[60:61]
	v_fma_f64 v[60:61], -v[6:7], v[8:9], 1.0
	v_fmac_f64_e32 v[8:9], v[8:9], v[60:61]
	v_mul_f64 v[60:61], v[10:11], v[8:9]
	v_fma_f64 v[6:7], -v[6:7], v[60:61], v[10:11]
	v_div_fmas_f64 v[6:7], v[6:7], v[8:9], v[60:61]
	v_div_fixup_f64 v[8:9], v[6:7], v[2:3], v[4:5]
	v_fmac_f64_e32 v[2:3], v[4:5], v[8:9]
	v_div_scale_f64 v[4:5], s[2:3], v[2:3], v[2:3], 1.0
	v_rcp_f64_e32 v[6:7], v[4:5]
	s_nop 0
	v_fma_f64 v[10:11], -v[4:5], v[6:7], 1.0
	v_fmac_f64_e32 v[6:7], v[6:7], v[10:11]
	v_fma_f64 v[10:11], -v[4:5], v[6:7], 1.0
	v_fmac_f64_e32 v[6:7], v[6:7], v[10:11]
	v_div_scale_f64 v[10:11], vcc, 1.0, v[2:3], 1.0
	v_mul_f64 v[60:61], v[10:11], v[6:7]
	v_fma_f64 v[4:5], -v[4:5], v[60:61], v[10:11]
	s_nop 1
	v_div_fmas_f64 v[4:5], v[4:5], v[6:7], v[60:61]
	v_div_fixup_f64 v[6:7], v[4:5], v[2:3], 1.0
	v_xor_b32_e32 v11, 0x80000000, v7
	v_mov_b32_e32 v10, v6
	v_mul_f64 v[8:9], v[8:9], -v[6:7]
.LBB21_6:
	s_or_b64 exec, exec, s[0:1]
	scratch_store_dwordx4 v1, v[6:9], off
	s_nop 1
	v_xor_b32_e32 v9, 0x80000000, v9
	s_branch .LBB21_8
.LBB21_7:
	v_mov_b64_e32 v[8:9], 0
	v_mov_b64_e32 v[10:11], -1.0
.LBB21_8:
	v_add_u32_e32 v72, 16, v12
	v_add_u32_e32 v76, 32, v12
	;; [unrolled: 1-line block ×21, first 2 shown]
	v_mov_b32_e32 v12, v8
	v_mov_b32_e32 v13, v9
	s_cmpk_eq_i32 s4, 0x79
	v_add_u32_e32 v9, 0x160, v32
	v_add_u32_e32 v8, 0, v32
	ds_write_b128 v32, v[10:13]
	s_cbranch_scc1 .LBB21_172
; %bb.9:
	scratch_load_dwordx4 v[2:5], v1, off
	v_cmp_eq_u32_e64 s[0:1], 21, v0
	s_waitcnt vmcnt(0)
	ds_write_b128 v9, v[2:5]
	s_waitcnt lgkmcnt(0)
	; wave barrier
	s_waitcnt lgkmcnt(0)
	s_and_saveexec_b64 s[2:3], s[0:1]
	s_cbranch_execz .LBB21_13
; %bb.10:
	ds_read_b128 v[2:5], v9
	s_andn2_b64 vcc, exec, s[6:7]
	s_cbranch_vccnz .LBB21_12
; %bb.11:
	scratch_load_dwordx4 v[10:13], v8, off
	s_waitcnt vmcnt(0) lgkmcnt(0)
	v_mul_f64 v[6:7], v[4:5], v[12:13]
	v_mul_f64 v[12:13], v[2:3], v[12:13]
	v_fmac_f64_e32 v[12:13], v[4:5], v[10:11]
	v_fma_f64 v[2:3], v[2:3], v[10:11], -v[6:7]
	v_mov_b64_e32 v[4:5], v[12:13]
.LBB21_12:
	v_mov_b32_e32 v6, 0
	ds_read_b128 v[10:13], v6 offset:320
	s_waitcnt lgkmcnt(0)
	v_mul_f64 v[6:7], v[4:5], v[12:13]
	v_mul_f64 v[82:83], v[2:3], v[12:13]
	v_fma_f64 v[80:81], v[2:3], v[10:11], -v[6:7]
	v_fmac_f64_e32 v[82:83], v[4:5], v[10:11]
	scratch_store_dwordx4 off, v[80:83], off offset:320
.LBB21_13:
	s_or_b64 exec, exec, s[2:3]
	scratch_load_dwordx4 v[2:5], v60, off
	v_cmp_lt_u32_e64 s[2:3], 19, v0
	s_waitcnt vmcnt(0)
	ds_write_b128 v9, v[2:5]
	s_waitcnt lgkmcnt(0)
	; wave barrier
	s_waitcnt lgkmcnt(0)
	s_and_saveexec_b64 s[4:5], s[2:3]
	s_cbranch_execz .LBB21_19
; %bb.14:
	ds_read_b128 v[2:5], v9
	s_andn2_b64 vcc, exec, s[6:7]
	s_cbranch_vccnz .LBB21_16
; %bb.15:
	scratch_load_dwordx4 v[10:13], v8, off
	s_waitcnt vmcnt(0) lgkmcnt(0)
	v_mul_f64 v[6:7], v[4:5], v[12:13]
	v_mul_f64 v[12:13], v[2:3], v[12:13]
	v_fmac_f64_e32 v[12:13], v[4:5], v[10:11]
	v_fma_f64 v[2:3], v[2:3], v[10:11], -v[6:7]
	v_mov_b64_e32 v[4:5], v[12:13]
.LBB21_16:
	s_and_saveexec_b64 s[8:9], s[0:1]
	s_cbranch_execz .LBB21_18
; %bb.17:
	scratch_load_dwordx4 v[10:13], off, off offset:320
	v_mov_b32_e32 v6, 0
	ds_read_b128 v[80:83], v6 offset:672
	s_waitcnt vmcnt(0) lgkmcnt(0)
	v_mul_f64 v[6:7], v[80:81], v[12:13]
	v_mul_f64 v[12:13], v[82:83], v[12:13]
	v_fmac_f64_e32 v[6:7], v[82:83], v[10:11]
	v_fma_f64 v[10:11], v[80:81], v[10:11], -v[12:13]
	v_add_f64 v[4:5], v[4:5], v[6:7]
	v_add_f64 v[2:3], v[2:3], v[10:11]
.LBB21_18:
	s_or_b64 exec, exec, s[8:9]
	v_mov_b32_e32 v6, 0
	ds_read_b128 v[10:13], v6 offset:304
	s_waitcnt lgkmcnt(0)
	v_mul_f64 v[6:7], v[4:5], v[12:13]
	v_mul_f64 v[82:83], v[2:3], v[12:13]
	v_fma_f64 v[80:81], v[2:3], v[10:11], -v[6:7]
	v_fmac_f64_e32 v[82:83], v[4:5], v[10:11]
	scratch_store_dwordx4 off, v[80:83], off offset:304
.LBB21_19:
	s_or_b64 exec, exec, s[4:5]
	scratch_load_dwordx4 v[2:5], v61, off
	v_cmp_lt_u32_e64 s[0:1], 18, v0
	s_waitcnt vmcnt(0)
	ds_write_b128 v9, v[2:5]
	s_waitcnt lgkmcnt(0)
	; wave barrier
	s_waitcnt lgkmcnt(0)
	s_and_saveexec_b64 s[4:5], s[0:1]
	s_cbranch_execz .LBB21_27
; %bb.20:
	ds_read_b128 v[2:5], v9
	s_andn2_b64 vcc, exec, s[6:7]
	s_cbranch_vccnz .LBB21_22
; %bb.21:
	scratch_load_dwordx4 v[10:13], v8, off
	s_waitcnt vmcnt(0) lgkmcnt(0)
	v_mul_f64 v[6:7], v[4:5], v[12:13]
	v_mul_f64 v[12:13], v[2:3], v[12:13]
	v_fmac_f64_e32 v[12:13], v[4:5], v[10:11]
	v_fma_f64 v[2:3], v[2:3], v[10:11], -v[6:7]
	v_mov_b64_e32 v[4:5], v[12:13]
.LBB21_22:
	s_and_saveexec_b64 s[8:9], s[2:3]
	s_cbranch_execz .LBB21_26
; %bb.23:
	v_mov_b32_e32 v7, 0
	v_subrev_u32_e32 v6, 19, v0
	v_add_u32_e32 v7, 0x138, v7
	s_movk_i32 s10, 0x290
	s_mov_b64 s[2:3], 0
.LBB21_24:                              ; =>This Inner Loop Header: Depth=1
	v_add_u32_e32 v10, -8, v7
	scratch_load_dwordx4 v[10:13], v10, off
	v_mov_b32_e32 v79, s10
	ds_read_b128 v[80:83], v79
	v_add_u32_e32 v6, -1, v6
	s_add_i32 s10, s10, 16
	v_cmp_eq_u32_e32 vcc, 0, v6
	v_add_u32_e32 v7, 16, v7
	s_or_b64 s[2:3], vcc, s[2:3]
	s_waitcnt vmcnt(0) lgkmcnt(0)
	v_mul_f64 v[84:85], v[82:83], v[12:13]
	v_mul_f64 v[12:13], v[80:81], v[12:13]
	v_fma_f64 v[80:81], v[80:81], v[10:11], -v[84:85]
	v_fmac_f64_e32 v[12:13], v[82:83], v[10:11]
	v_add_f64 v[2:3], v[2:3], v[80:81]
	v_add_f64 v[4:5], v[4:5], v[12:13]
	s_andn2_b64 exec, exec, s[2:3]
	s_cbranch_execnz .LBB21_24
; %bb.25:
	s_or_b64 exec, exec, s[2:3]
.LBB21_26:
	s_or_b64 exec, exec, s[8:9]
	v_mov_b32_e32 v6, 0
	ds_read_b128 v[10:13], v6 offset:288
	s_waitcnt lgkmcnt(0)
	v_mul_f64 v[6:7], v[4:5], v[12:13]
	v_mul_f64 v[82:83], v[2:3], v[12:13]
	v_fma_f64 v[80:81], v[2:3], v[10:11], -v[6:7]
	v_fmac_f64_e32 v[82:83], v[4:5], v[10:11]
	scratch_store_dwordx4 off, v[80:83], off offset:288
.LBB21_27:
	s_or_b64 exec, exec, s[4:5]
	scratch_load_dwordx4 v[2:5], v62, off
	v_cmp_lt_u32_e64 s[2:3], 17, v0
	s_waitcnt vmcnt(0)
	ds_write_b128 v9, v[2:5]
	s_waitcnt lgkmcnt(0)
	; wave barrier
	s_waitcnt lgkmcnt(0)
	s_and_saveexec_b64 s[4:5], s[2:3]
	s_cbranch_execz .LBB21_35
; %bb.28:
	ds_read_b128 v[2:5], v9
	s_andn2_b64 vcc, exec, s[6:7]
	s_cbranch_vccnz .LBB21_30
; %bb.29:
	scratch_load_dwordx4 v[10:13], v8, off
	s_waitcnt vmcnt(0) lgkmcnt(0)
	v_mul_f64 v[6:7], v[4:5], v[12:13]
	v_mul_f64 v[12:13], v[2:3], v[12:13]
	v_fmac_f64_e32 v[12:13], v[4:5], v[10:11]
	v_fma_f64 v[2:3], v[2:3], v[10:11], -v[6:7]
	v_mov_b64_e32 v[4:5], v[12:13]
.LBB21_30:
	s_and_saveexec_b64 s[8:9], s[0:1]
	s_cbranch_execz .LBB21_34
; %bb.31:
	v_mov_b32_e32 v7, 0
	v_subrev_u32_e32 v6, 18, v0
	v_add_u32_e32 v7, 0x128, v7
	s_movk_i32 s10, 0x280
	s_mov_b64 s[0:1], 0
.LBB21_32:                              ; =>This Inner Loop Header: Depth=1
	v_add_u32_e32 v10, -8, v7
	scratch_load_dwordx4 v[10:13], v10, off
	v_mov_b32_e32 v79, s10
	ds_read_b128 v[80:83], v79
	v_add_u32_e32 v6, -1, v6
	s_add_i32 s10, s10, 16
	v_cmp_eq_u32_e32 vcc, 0, v6
	v_add_u32_e32 v7, 16, v7
	s_or_b64 s[0:1], vcc, s[0:1]
	s_waitcnt vmcnt(0) lgkmcnt(0)
	v_mul_f64 v[84:85], v[82:83], v[12:13]
	v_mul_f64 v[12:13], v[80:81], v[12:13]
	v_fma_f64 v[80:81], v[80:81], v[10:11], -v[84:85]
	v_fmac_f64_e32 v[12:13], v[82:83], v[10:11]
	v_add_f64 v[2:3], v[2:3], v[80:81]
	v_add_f64 v[4:5], v[4:5], v[12:13]
	s_andn2_b64 exec, exec, s[0:1]
	s_cbranch_execnz .LBB21_32
; %bb.33:
	s_or_b64 exec, exec, s[0:1]
.LBB21_34:
	s_or_b64 exec, exec, s[8:9]
	v_mov_b32_e32 v6, 0
	ds_read_b128 v[10:13], v6 offset:272
	s_waitcnt lgkmcnt(0)
	v_mul_f64 v[6:7], v[4:5], v[12:13]
	v_mul_f64 v[82:83], v[2:3], v[12:13]
	v_fma_f64 v[80:81], v[2:3], v[10:11], -v[6:7]
	v_fmac_f64_e32 v[82:83], v[4:5], v[10:11]
	scratch_store_dwordx4 off, v[80:83], off offset:272
.LBB21_35:
	;; [unrolled: 63-line block ×3, first 2 shown]
	s_or_b64 exec, exec, s[4:5]
	scratch_load_dwordx4 v[2:5], v64, off
	v_cmp_lt_u32_e64 s[2:3], 15, v0
	s_waitcnt vmcnt(0)
	ds_write_b128 v9, v[2:5]
	s_waitcnt lgkmcnt(0)
	; wave barrier
	s_waitcnt lgkmcnt(0)
	s_and_saveexec_b64 s[4:5], s[2:3]
	s_cbranch_execz .LBB21_51
; %bb.44:
	ds_read_b128 v[2:5], v9
	s_andn2_b64 vcc, exec, s[6:7]
	s_cbranch_vccnz .LBB21_46
; %bb.45:
	scratch_load_dwordx4 v[10:13], v8, off
	s_waitcnt vmcnt(0) lgkmcnt(0)
	v_mul_f64 v[6:7], v[4:5], v[12:13]
	v_mul_f64 v[12:13], v[2:3], v[12:13]
	v_fmac_f64_e32 v[12:13], v[4:5], v[10:11]
	v_fma_f64 v[2:3], v[2:3], v[10:11], -v[6:7]
	v_mov_b64_e32 v[4:5], v[12:13]
.LBB21_46:
	s_and_saveexec_b64 s[8:9], s[0:1]
	s_cbranch_execz .LBB21_50
; %bb.47:
	v_mov_b32_e32 v7, 0
	v_add_u32_e32 v6, -16, v0
	v_add_u32_e32 v7, 0x108, v7
	s_movk_i32 s10, 0x260
	s_mov_b64 s[0:1], 0
.LBB21_48:                              ; =>This Inner Loop Header: Depth=1
	v_add_u32_e32 v10, -8, v7
	scratch_load_dwordx4 v[10:13], v10, off
	v_mov_b32_e32 v79, s10
	ds_read_b128 v[80:83], v79
	v_add_u32_e32 v6, -1, v6
	s_add_i32 s10, s10, 16
	v_cmp_eq_u32_e32 vcc, 0, v6
	v_add_u32_e32 v7, 16, v7
	s_or_b64 s[0:1], vcc, s[0:1]
	s_waitcnt vmcnt(0) lgkmcnt(0)
	v_mul_f64 v[84:85], v[82:83], v[12:13]
	v_mul_f64 v[12:13], v[80:81], v[12:13]
	v_fma_f64 v[80:81], v[80:81], v[10:11], -v[84:85]
	v_fmac_f64_e32 v[12:13], v[82:83], v[10:11]
	v_add_f64 v[2:3], v[2:3], v[80:81]
	v_add_f64 v[4:5], v[4:5], v[12:13]
	s_andn2_b64 exec, exec, s[0:1]
	s_cbranch_execnz .LBB21_48
; %bb.49:
	s_or_b64 exec, exec, s[0:1]
.LBB21_50:
	s_or_b64 exec, exec, s[8:9]
	v_mov_b32_e32 v6, 0
	ds_read_b128 v[10:13], v6 offset:240
	s_waitcnt lgkmcnt(0)
	v_mul_f64 v[6:7], v[4:5], v[12:13]
	v_mul_f64 v[82:83], v[2:3], v[12:13]
	v_fma_f64 v[80:81], v[2:3], v[10:11], -v[6:7]
	v_fmac_f64_e32 v[82:83], v[4:5], v[10:11]
	scratch_store_dwordx4 off, v[80:83], off offset:240
.LBB21_51:
	s_or_b64 exec, exec, s[4:5]
	scratch_load_dwordx4 v[2:5], v65, off
	v_cmp_lt_u32_e64 s[0:1], 14, v0
	s_waitcnt vmcnt(0)
	ds_write_b128 v9, v[2:5]
	s_waitcnt lgkmcnt(0)
	; wave barrier
	s_waitcnt lgkmcnt(0)
	s_and_saveexec_b64 s[4:5], s[0:1]
	s_cbranch_execz .LBB21_59
; %bb.52:
	ds_read_b128 v[2:5], v9
	s_andn2_b64 vcc, exec, s[6:7]
	s_cbranch_vccnz .LBB21_54
; %bb.53:
	scratch_load_dwordx4 v[10:13], v8, off
	s_waitcnt vmcnt(0) lgkmcnt(0)
	v_mul_f64 v[6:7], v[4:5], v[12:13]
	v_mul_f64 v[12:13], v[2:3], v[12:13]
	v_fmac_f64_e32 v[12:13], v[4:5], v[10:11]
	v_fma_f64 v[2:3], v[2:3], v[10:11], -v[6:7]
	v_mov_b64_e32 v[4:5], v[12:13]
.LBB21_54:
	s_and_saveexec_b64 s[8:9], s[2:3]
	s_cbranch_execz .LBB21_58
; %bb.55:
	v_mov_b32_e32 v7, 0
	v_add_u32_e32 v6, -15, v0
	v_add_u32_e32 v7, 0xf8, v7
	s_movk_i32 s10, 0x250
	s_mov_b64 s[2:3], 0
.LBB21_56:                              ; =>This Inner Loop Header: Depth=1
	v_add_u32_e32 v10, -8, v7
	scratch_load_dwordx4 v[10:13], v10, off
	v_mov_b32_e32 v79, s10
	ds_read_b128 v[80:83], v79
	v_add_u32_e32 v6, -1, v6
	s_add_i32 s10, s10, 16
	v_cmp_eq_u32_e32 vcc, 0, v6
	v_add_u32_e32 v7, 16, v7
	s_or_b64 s[2:3], vcc, s[2:3]
	s_waitcnt vmcnt(0) lgkmcnt(0)
	v_mul_f64 v[84:85], v[82:83], v[12:13]
	v_mul_f64 v[12:13], v[80:81], v[12:13]
	v_fma_f64 v[80:81], v[80:81], v[10:11], -v[84:85]
	v_fmac_f64_e32 v[12:13], v[82:83], v[10:11]
	v_add_f64 v[2:3], v[2:3], v[80:81]
	v_add_f64 v[4:5], v[4:5], v[12:13]
	s_andn2_b64 exec, exec, s[2:3]
	s_cbranch_execnz .LBB21_56
; %bb.57:
	s_or_b64 exec, exec, s[2:3]
.LBB21_58:
	s_or_b64 exec, exec, s[8:9]
	v_mov_b32_e32 v6, 0
	ds_read_b128 v[10:13], v6 offset:224
	s_waitcnt lgkmcnt(0)
	v_mul_f64 v[6:7], v[4:5], v[12:13]
	v_mul_f64 v[82:83], v[2:3], v[12:13]
	v_fma_f64 v[80:81], v[2:3], v[10:11], -v[6:7]
	v_fmac_f64_e32 v[82:83], v[4:5], v[10:11]
	scratch_store_dwordx4 off, v[80:83], off offset:224
.LBB21_59:
	;; [unrolled: 63-line block ×7, first 2 shown]
	s_or_b64 exec, exec, s[4:5]
	scratch_load_dwordx4 v[2:5], v70, off
	v_cmp_lt_u32_e64 s[0:1], 8, v0
	s_waitcnt vmcnt(0)
	ds_write_b128 v9, v[2:5]
	s_waitcnt lgkmcnt(0)
	; wave barrier
	s_waitcnt lgkmcnt(0)
	s_and_saveexec_b64 s[4:5], s[0:1]
	s_cbranch_execz .LBB21_107
; %bb.100:
	ds_read_b128 v[2:5], v9
	s_andn2_b64 vcc, exec, s[6:7]
	s_cbranch_vccnz .LBB21_102
; %bb.101:
	scratch_load_dwordx4 v[10:13], v8, off
	s_waitcnt vmcnt(0) lgkmcnt(0)
	v_mul_f64 v[6:7], v[4:5], v[12:13]
	v_mul_f64 v[12:13], v[2:3], v[12:13]
	v_fmac_f64_e32 v[12:13], v[4:5], v[10:11]
	v_fma_f64 v[2:3], v[2:3], v[10:11], -v[6:7]
	v_mov_b64_e32 v[4:5], v[12:13]
.LBB21_102:
	s_and_saveexec_b64 s[8:9], s[2:3]
	s_cbranch_execz .LBB21_106
; %bb.103:
	v_mov_b32_e32 v7, 0
	v_add_u32_e32 v6, -9, v0
	v_add_u32_e32 v7, 0x98, v7
	s_movk_i32 s10, 0x1f0
	s_mov_b64 s[2:3], 0
.LBB21_104:                             ; =>This Inner Loop Header: Depth=1
	v_add_u32_e32 v10, -8, v7
	scratch_load_dwordx4 v[10:13], v10, off
	v_mov_b32_e32 v79, s10
	ds_read_b128 v[80:83], v79
	v_add_u32_e32 v6, -1, v6
	s_add_i32 s10, s10, 16
	v_cmp_eq_u32_e32 vcc, 0, v6
	v_add_u32_e32 v7, 16, v7
	s_or_b64 s[2:3], vcc, s[2:3]
	s_waitcnt vmcnt(0) lgkmcnt(0)
	v_mul_f64 v[84:85], v[82:83], v[12:13]
	v_mul_f64 v[12:13], v[80:81], v[12:13]
	v_fma_f64 v[80:81], v[80:81], v[10:11], -v[84:85]
	v_fmac_f64_e32 v[12:13], v[82:83], v[10:11]
	v_add_f64 v[2:3], v[2:3], v[80:81]
	v_add_f64 v[4:5], v[4:5], v[12:13]
	s_andn2_b64 exec, exec, s[2:3]
	s_cbranch_execnz .LBB21_104
; %bb.105:
	s_or_b64 exec, exec, s[2:3]
.LBB21_106:
	s_or_b64 exec, exec, s[8:9]
	v_mov_b32_e32 v6, 0
	ds_read_b128 v[10:13], v6 offset:128
	s_waitcnt lgkmcnt(0)
	v_mul_f64 v[6:7], v[4:5], v[12:13]
	v_mul_f64 v[82:83], v[2:3], v[12:13]
	v_fma_f64 v[80:81], v[2:3], v[10:11], -v[6:7]
	v_fmac_f64_e32 v[82:83], v[4:5], v[10:11]
	scratch_store_dwordx4 off, v[80:83], off offset:128
.LBB21_107:
	s_or_b64 exec, exec, s[4:5]
	scratch_load_dwordx4 v[2:5], v74, off
	v_cmp_lt_u32_e64 s[2:3], 7, v0
	s_waitcnt vmcnt(0)
	ds_write_b128 v9, v[2:5]
	s_waitcnt lgkmcnt(0)
	; wave barrier
	s_waitcnt lgkmcnt(0)
	s_and_saveexec_b64 s[4:5], s[2:3]
	s_cbranch_execz .LBB21_115
; %bb.108:
	ds_read_b128 v[2:5], v9
	s_andn2_b64 vcc, exec, s[6:7]
	s_cbranch_vccnz .LBB21_110
; %bb.109:
	scratch_load_dwordx4 v[10:13], v8, off
	s_waitcnt vmcnt(0) lgkmcnt(0)
	v_mul_f64 v[6:7], v[4:5], v[12:13]
	v_mul_f64 v[12:13], v[2:3], v[12:13]
	v_fmac_f64_e32 v[12:13], v[4:5], v[10:11]
	v_fma_f64 v[2:3], v[2:3], v[10:11], -v[6:7]
	v_mov_b64_e32 v[4:5], v[12:13]
.LBB21_110:
	s_and_saveexec_b64 s[8:9], s[0:1]
	s_cbranch_execz .LBB21_114
; %bb.111:
	v_mov_b32_e32 v7, 0
	v_add_u32_e32 v6, -8, v0
	v_add_u32_e32 v7, 0x88, v7
	s_movk_i32 s10, 0x1e0
	s_mov_b64 s[0:1], 0
.LBB21_112:                             ; =>This Inner Loop Header: Depth=1
	v_add_u32_e32 v10, -8, v7
	scratch_load_dwordx4 v[10:13], v10, off
	v_mov_b32_e32 v79, s10
	ds_read_b128 v[80:83], v79
	v_add_u32_e32 v6, -1, v6
	s_add_i32 s10, s10, 16
	v_cmp_eq_u32_e32 vcc, 0, v6
	v_add_u32_e32 v7, 16, v7
	s_or_b64 s[0:1], vcc, s[0:1]
	s_waitcnt vmcnt(0) lgkmcnt(0)
	v_mul_f64 v[84:85], v[82:83], v[12:13]
	v_mul_f64 v[12:13], v[80:81], v[12:13]
	v_fma_f64 v[80:81], v[80:81], v[10:11], -v[84:85]
	v_fmac_f64_e32 v[12:13], v[82:83], v[10:11]
	v_add_f64 v[2:3], v[2:3], v[80:81]
	v_add_f64 v[4:5], v[4:5], v[12:13]
	s_andn2_b64 exec, exec, s[0:1]
	s_cbranch_execnz .LBB21_112
; %bb.113:
	s_or_b64 exec, exec, s[0:1]
.LBB21_114:
	s_or_b64 exec, exec, s[8:9]
	v_mov_b32_e32 v6, 0
	ds_read_b128 v[10:13], v6 offset:112
	s_waitcnt lgkmcnt(0)
	v_mul_f64 v[6:7], v[4:5], v[12:13]
	v_mul_f64 v[82:83], v[2:3], v[12:13]
	v_fma_f64 v[80:81], v[2:3], v[10:11], -v[6:7]
	v_fmac_f64_e32 v[82:83], v[4:5], v[10:11]
	scratch_store_dwordx4 off, v[80:83], off offset:112
.LBB21_115:
	;; [unrolled: 63-line block ×8, first 2 shown]
	s_or_b64 exec, exec, s[2:3]
	scratch_load_dwordx4 v[2:5], off, off
	v_cmp_ne_u32_e32 vcc, 0, v0
	s_mov_b64 s[2:3], 0
	s_mov_b64 s[4:5], 0
                                        ; implicit-def: $vgpr6_vgpr7
                                        ; implicit-def: $vgpr10
	s_waitcnt vmcnt(0)
	ds_write_b128 v9, v[2:5]
	s_waitcnt lgkmcnt(0)
	; wave barrier
	s_waitcnt lgkmcnt(0)
	s_and_saveexec_b64 s[8:9], vcc
	s_cbranch_execz .LBB21_171
; %bb.164:
	ds_read_b128 v[2:5], v9
	s_andn2_b64 vcc, exec, s[6:7]
	s_cbranch_vccnz .LBB21_166
; %bb.165:
	scratch_load_dwordx4 v[10:13], v8, off
	s_waitcnt vmcnt(0) lgkmcnt(0)
	v_mul_f64 v[6:7], v[4:5], v[12:13]
	v_mul_f64 v[12:13], v[2:3], v[12:13]
	v_fmac_f64_e32 v[12:13], v[4:5], v[10:11]
	v_fma_f64 v[2:3], v[2:3], v[10:11], -v[6:7]
	v_mov_b64_e32 v[4:5], v[12:13]
.LBB21_166:
	s_and_saveexec_b64 s[4:5], s[0:1]
	s_cbranch_execz .LBB21_170
; %bb.167:
	v_mov_b32_e32 v7, 0
	v_add_u32_e32 v6, -1, v0
	v_add_u32_e32 v7, 24, v7
	s_movk_i32 s10, 0x170
	s_mov_b64 s[0:1], 0
.LBB21_168:                             ; =>This Inner Loop Header: Depth=1
	v_add_u32_e32 v10, -8, v7
	scratch_load_dwordx4 v[10:13], v10, off
	v_mov_b32_e32 v79, s10
	ds_read_b128 v[80:83], v79
	v_add_u32_e32 v6, -1, v6
	s_add_i32 s10, s10, 16
	v_cmp_eq_u32_e32 vcc, 0, v6
	v_add_u32_e32 v7, 16, v7
	s_or_b64 s[0:1], vcc, s[0:1]
	s_waitcnt vmcnt(0) lgkmcnt(0)
	v_mul_f64 v[84:85], v[82:83], v[12:13]
	v_mul_f64 v[12:13], v[80:81], v[12:13]
	v_fma_f64 v[80:81], v[80:81], v[10:11], -v[84:85]
	v_fmac_f64_e32 v[12:13], v[82:83], v[10:11]
	v_add_f64 v[2:3], v[2:3], v[80:81]
	v_add_f64 v[4:5], v[4:5], v[12:13]
	s_andn2_b64 exec, exec, s[0:1]
	s_cbranch_execnz .LBB21_168
; %bb.169:
	s_or_b64 exec, exec, s[0:1]
.LBB21_170:
	s_or_b64 exec, exec, s[4:5]
	v_mov_b32_e32 v6, 0
	ds_read_b128 v[80:83], v6
	v_mov_b32_e32 v6, 0
	v_or_b32_e32 v10, 8, v6
	s_mov_b64 s[4:5], exec
	s_waitcnt lgkmcnt(0)
	v_mul_f64 v[12:13], v[4:5], v[82:83]
	v_mul_f64 v[6:7], v[2:3], v[82:83]
	v_fma_f64 v[2:3], v[2:3], v[80:81], -v[12:13]
	v_fmac_f64_e32 v[6:7], v[4:5], v[80:81]
	scratch_store_dwordx2 off, v[2:3], off
.LBB21_171:
	s_or_b64 exec, exec, s[8:9]
	s_and_b64 vcc, exec, s[2:3]
	s_cbranch_vccnz .LBB21_173
	s_branch .LBB21_336
.LBB21_172:
	s_mov_b64 s[4:5], 0
                                        ; implicit-def: $vgpr6_vgpr7
                                        ; implicit-def: $vgpr10
	s_cbranch_execz .LBB21_336
.LBB21_173:
	scratch_load_dwordx4 v[2:5], v72, off
	v_cndmask_b32_e64 v6, 0, 1, s[6:7]
	v_cmp_eq_u32_e64 s[2:3], 0, v0
	v_cmp_ne_u32_e64 s[0:1], 1, v6
	s_waitcnt vmcnt(0)
	ds_write_b128 v9, v[2:5]
	s_waitcnt lgkmcnt(0)
	; wave barrier
	s_waitcnt lgkmcnt(0)
	s_and_saveexec_b64 s[6:7], s[2:3]
	s_cbranch_execz .LBB21_177
; %bb.174:
	ds_read_b128 v[2:5], v9
	s_and_b64 vcc, exec, s[0:1]
	s_cbranch_vccnz .LBB21_176
; %bb.175:
	scratch_load_dwordx4 v[10:13], v8, off
	s_waitcnt vmcnt(0) lgkmcnt(0)
	v_mul_f64 v[6:7], v[4:5], v[12:13]
	v_mul_f64 v[12:13], v[2:3], v[12:13]
	v_fmac_f64_e32 v[12:13], v[4:5], v[10:11]
	v_fma_f64 v[2:3], v[2:3], v[10:11], -v[6:7]
	v_mov_b64_e32 v[4:5], v[12:13]
.LBB21_176:
	v_mov_b32_e32 v6, 0
	ds_read_b128 v[10:13], v6 offset:16
	s_waitcnt lgkmcnt(0)
	v_mul_f64 v[6:7], v[4:5], v[12:13]
	v_mul_f64 v[82:83], v[2:3], v[12:13]
	v_fma_f64 v[80:81], v[2:3], v[10:11], -v[6:7]
	v_fmac_f64_e32 v[82:83], v[4:5], v[10:11]
	scratch_store_dwordx4 off, v[80:83], off offset:16
.LBB21_177:
	s_or_b64 exec, exec, s[6:7]
	scratch_load_dwordx4 v[2:5], v76, off
	v_cmp_gt_u32_e32 vcc, 2, v0
	s_waitcnt vmcnt(0)
	ds_write_b128 v9, v[2:5]
	s_waitcnt lgkmcnt(0)
	; wave barrier
	s_waitcnt lgkmcnt(0)
	s_and_saveexec_b64 s[6:7], vcc
	s_cbranch_execz .LBB21_183
; %bb.178:
	ds_read_b128 v[2:5], v9
	s_and_b64 vcc, exec, s[0:1]
	s_cbranch_vccnz .LBB21_180
; %bb.179:
	scratch_load_dwordx4 v[10:13], v8, off
	s_waitcnt vmcnt(0) lgkmcnt(0)
	v_mul_f64 v[6:7], v[4:5], v[12:13]
	v_mul_f64 v[12:13], v[2:3], v[12:13]
	v_fmac_f64_e32 v[12:13], v[4:5], v[10:11]
	v_fma_f64 v[2:3], v[2:3], v[10:11], -v[6:7]
	v_mov_b64_e32 v[4:5], v[12:13]
.LBB21_180:
	s_and_saveexec_b64 s[8:9], s[2:3]
	s_cbranch_execz .LBB21_182
; %bb.181:
	scratch_load_dwordx4 v[10:13], v8, off offset:16
	ds_read_b128 v[80:83], v9 offset:16
	s_waitcnt vmcnt(0) lgkmcnt(0)
	v_mul_f64 v[6:7], v[82:83], v[12:13]
	v_mul_f64 v[12:13], v[80:81], v[12:13]
	v_fma_f64 v[6:7], v[80:81], v[10:11], -v[6:7]
	v_fmac_f64_e32 v[12:13], v[82:83], v[10:11]
	v_add_f64 v[2:3], v[2:3], v[6:7]
	v_add_f64 v[4:5], v[4:5], v[12:13]
.LBB21_182:
	s_or_b64 exec, exec, s[8:9]
	v_mov_b32_e32 v6, 0
	ds_read_b128 v[10:13], v6 offset:32
	s_waitcnt lgkmcnt(0)
	v_mul_f64 v[6:7], v[4:5], v[12:13]
	v_mul_f64 v[82:83], v[2:3], v[12:13]
	v_fma_f64 v[80:81], v[2:3], v[10:11], -v[6:7]
	v_fmac_f64_e32 v[82:83], v[4:5], v[10:11]
	scratch_store_dwordx4 off, v[80:83], off offset:32
.LBB21_183:
	s_or_b64 exec, exec, s[6:7]
	scratch_load_dwordx4 v[2:5], v73, off
	v_cmp_gt_u32_e32 vcc, 3, v0
	s_waitcnt vmcnt(0)
	ds_write_b128 v9, v[2:5]
	s_waitcnt lgkmcnt(0)
	; wave barrier
	s_waitcnt lgkmcnt(0)
	s_and_saveexec_b64 s[6:7], vcc
	s_cbranch_execz .LBB21_191
; %bb.184:
	ds_read_b128 v[2:5], v9
	s_and_b64 vcc, exec, s[0:1]
	s_cbranch_vccnz .LBB21_186
; %bb.185:
	scratch_load_dwordx4 v[10:13], v8, off
	s_waitcnt vmcnt(0) lgkmcnt(0)
	v_mul_f64 v[6:7], v[4:5], v[12:13]
	v_mul_f64 v[12:13], v[2:3], v[12:13]
	v_fmac_f64_e32 v[12:13], v[4:5], v[10:11]
	v_fma_f64 v[2:3], v[2:3], v[10:11], -v[6:7]
	v_mov_b64_e32 v[4:5], v[12:13]
.LBB21_186:
	v_cmp_ne_u32_e32 vcc, 2, v0
	s_and_saveexec_b64 s[8:9], vcc
	s_cbranch_execz .LBB21_190
; %bb.187:
	scratch_load_dwordx4 v[10:13], v8, off offset:16
	ds_read_b128 v[80:83], v9 offset:16
	s_waitcnt vmcnt(0) lgkmcnt(0)
	v_mul_f64 v[6:7], v[82:83], v[12:13]
	v_mul_f64 v[12:13], v[80:81], v[12:13]
	v_fma_f64 v[6:7], v[80:81], v[10:11], -v[6:7]
	v_fmac_f64_e32 v[12:13], v[82:83], v[10:11]
	v_add_f64 v[2:3], v[2:3], v[6:7]
	v_add_f64 v[4:5], v[4:5], v[12:13]
	s_and_saveexec_b64 s[10:11], s[2:3]
	s_cbranch_execz .LBB21_189
; %bb.188:
	scratch_load_dwordx4 v[10:13], off, off offset:32
	v_mov_b32_e32 v6, 0
	ds_read_b128 v[80:83], v6 offset:384
	s_waitcnt vmcnt(0) lgkmcnt(0)
	v_mul_f64 v[6:7], v[80:81], v[12:13]
	v_mul_f64 v[12:13], v[82:83], v[12:13]
	v_fmac_f64_e32 v[6:7], v[82:83], v[10:11]
	v_fma_f64 v[10:11], v[80:81], v[10:11], -v[12:13]
	v_add_f64 v[4:5], v[4:5], v[6:7]
	v_add_f64 v[2:3], v[2:3], v[10:11]
.LBB21_189:
	s_or_b64 exec, exec, s[10:11]
.LBB21_190:
	s_or_b64 exec, exec, s[8:9]
	v_mov_b32_e32 v6, 0
	ds_read_b128 v[10:13], v6 offset:48
	s_waitcnt lgkmcnt(0)
	v_mul_f64 v[6:7], v[4:5], v[12:13]
	v_mul_f64 v[82:83], v[2:3], v[12:13]
	v_fma_f64 v[80:81], v[2:3], v[10:11], -v[6:7]
	v_fmac_f64_e32 v[82:83], v[4:5], v[10:11]
	scratch_store_dwordx4 off, v[80:83], off offset:48
.LBB21_191:
	s_or_b64 exec, exec, s[6:7]
	scratch_load_dwordx4 v[2:5], v77, off
	v_cmp_gt_u32_e32 vcc, 4, v0
	s_waitcnt vmcnt(0)
	ds_write_b128 v9, v[2:5]
	s_waitcnt lgkmcnt(0)
	; wave barrier
	s_waitcnt lgkmcnt(0)
	s_and_saveexec_b64 s[2:3], vcc
	s_cbranch_execz .LBB21_199
; %bb.192:
	ds_read_b128 v[2:5], v9
	s_and_b64 vcc, exec, s[0:1]
	s_cbranch_vccnz .LBB21_194
; %bb.193:
	scratch_load_dwordx4 v[10:13], v8, off
	s_waitcnt vmcnt(0) lgkmcnt(0)
	v_mul_f64 v[6:7], v[4:5], v[12:13]
	v_mul_f64 v[12:13], v[2:3], v[12:13]
	v_fmac_f64_e32 v[12:13], v[4:5], v[10:11]
	v_fma_f64 v[2:3], v[2:3], v[10:11], -v[6:7]
	v_mov_b64_e32 v[4:5], v[12:13]
.LBB21_194:
	v_cmp_ne_u32_e32 vcc, 3, v0
	s_and_saveexec_b64 s[6:7], vcc
	s_cbranch_execz .LBB21_198
; %bb.195:
	v_mov_b32_e32 v7, 0
	v_add_u32_e32 v6, 0x170, v32
	v_add3_u32 v7, v32, v7, 24
	s_mov_b64 s[8:9], 0
	v_mov_b32_e32 v10, v0
.LBB21_196:                             ; =>This Inner Loop Header: Depth=1
	v_add_u32_e32 v11, -8, v7
	scratch_load_dwordx4 v[80:83], v11, off
	ds_read_b128 v[84:87], v6
	v_add_u32_e32 v10, 1, v10
	v_cmp_lt_u32_e32 vcc, 2, v10
	v_add_u32_e32 v6, 16, v6
	v_add_u32_e32 v7, 16, v7
	s_or_b64 s[8:9], vcc, s[8:9]
	s_waitcnt vmcnt(0) lgkmcnt(0)
	v_mul_f64 v[12:13], v[86:87], v[82:83]
	v_mul_f64 v[82:83], v[84:85], v[82:83]
	v_fma_f64 v[12:13], v[84:85], v[80:81], -v[12:13]
	v_fmac_f64_e32 v[82:83], v[86:87], v[80:81]
	v_add_f64 v[2:3], v[2:3], v[12:13]
	v_add_f64 v[4:5], v[4:5], v[82:83]
	s_andn2_b64 exec, exec, s[8:9]
	s_cbranch_execnz .LBB21_196
; %bb.197:
	s_or_b64 exec, exec, s[8:9]
.LBB21_198:
	s_or_b64 exec, exec, s[6:7]
	v_mov_b32_e32 v6, 0
	ds_read_b128 v[10:13], v6 offset:64
	s_waitcnt lgkmcnt(0)
	v_mul_f64 v[6:7], v[4:5], v[12:13]
	v_mul_f64 v[82:83], v[2:3], v[12:13]
	v_fma_f64 v[80:81], v[2:3], v[10:11], -v[6:7]
	v_fmac_f64_e32 v[82:83], v[4:5], v[10:11]
	scratch_store_dwordx4 off, v[80:83], off offset:64
.LBB21_199:
	s_or_b64 exec, exec, s[2:3]
	scratch_load_dwordx4 v[2:5], v75, off
	v_cmp_gt_u32_e32 vcc, 5, v0
	s_waitcnt vmcnt(0)
	ds_write_b128 v9, v[2:5]
	s_waitcnt lgkmcnt(0)
	; wave barrier
	s_waitcnt lgkmcnt(0)
	s_and_saveexec_b64 s[2:3], vcc
	s_cbranch_execz .LBB21_207
; %bb.200:
	ds_read_b128 v[2:5], v9
	s_and_b64 vcc, exec, s[0:1]
	s_cbranch_vccnz .LBB21_202
; %bb.201:
	scratch_load_dwordx4 v[10:13], v8, off
	s_waitcnt vmcnt(0) lgkmcnt(0)
	v_mul_f64 v[6:7], v[4:5], v[12:13]
	v_mul_f64 v[12:13], v[2:3], v[12:13]
	v_fmac_f64_e32 v[12:13], v[4:5], v[10:11]
	v_fma_f64 v[2:3], v[2:3], v[10:11], -v[6:7]
	v_mov_b64_e32 v[4:5], v[12:13]
.LBB21_202:
	v_cmp_ne_u32_e32 vcc, 4, v0
	s_and_saveexec_b64 s[6:7], vcc
	s_cbranch_execz .LBB21_206
; %bb.203:
	v_mov_b32_e32 v7, 0
	v_add_u32_e32 v6, 0x170, v32
	v_add3_u32 v7, v32, v7, 24
	s_mov_b64 s[8:9], 0
	v_mov_b32_e32 v10, v0
.LBB21_204:                             ; =>This Inner Loop Header: Depth=1
	v_add_u32_e32 v11, -8, v7
	scratch_load_dwordx4 v[80:83], v11, off
	ds_read_b128 v[84:87], v6
	v_add_u32_e32 v10, 1, v10
	v_cmp_lt_u32_e32 vcc, 3, v10
	v_add_u32_e32 v6, 16, v6
	v_add_u32_e32 v7, 16, v7
	s_or_b64 s[8:9], vcc, s[8:9]
	s_waitcnt vmcnt(0) lgkmcnt(0)
	v_mul_f64 v[12:13], v[86:87], v[82:83]
	v_mul_f64 v[82:83], v[84:85], v[82:83]
	v_fma_f64 v[12:13], v[84:85], v[80:81], -v[12:13]
	v_fmac_f64_e32 v[82:83], v[86:87], v[80:81]
	v_add_f64 v[2:3], v[2:3], v[12:13]
	v_add_f64 v[4:5], v[4:5], v[82:83]
	s_andn2_b64 exec, exec, s[8:9]
	s_cbranch_execnz .LBB21_204
; %bb.205:
	s_or_b64 exec, exec, s[8:9]
.LBB21_206:
	s_or_b64 exec, exec, s[6:7]
	v_mov_b32_e32 v6, 0
	ds_read_b128 v[10:13], v6 offset:80
	s_waitcnt lgkmcnt(0)
	v_mul_f64 v[6:7], v[4:5], v[12:13]
	v_mul_f64 v[82:83], v[2:3], v[12:13]
	v_fma_f64 v[80:81], v[2:3], v[10:11], -v[6:7]
	v_fmac_f64_e32 v[82:83], v[4:5], v[10:11]
	scratch_store_dwordx4 off, v[80:83], off offset:80
.LBB21_207:
	;; [unrolled: 63-line block ×16, first 2 shown]
	s_or_b64 exec, exec, s[2:3]
	scratch_load_dwordx4 v[2:5], v1, off
	v_cmp_gt_u32_e64 s[2:3], 20, v0
	s_waitcnt vmcnt(0)
	ds_write_b128 v9, v[2:5]
	s_waitcnt lgkmcnt(0)
	; wave barrier
	s_waitcnt lgkmcnt(0)
	s_and_saveexec_b64 s[6:7], s[2:3]
	s_cbranch_execz .LBB21_327
; %bb.320:
	ds_read_b128 v[2:5], v9
	s_and_b64 vcc, exec, s[0:1]
	s_cbranch_vccnz .LBB21_322
; %bb.321:
	scratch_load_dwordx4 v[10:13], v8, off
	s_waitcnt vmcnt(0) lgkmcnt(0)
	v_mul_f64 v[6:7], v[4:5], v[12:13]
	v_mul_f64 v[12:13], v[2:3], v[12:13]
	v_fmac_f64_e32 v[12:13], v[4:5], v[10:11]
	v_fma_f64 v[2:3], v[2:3], v[10:11], -v[6:7]
	v_mov_b64_e32 v[4:5], v[12:13]
.LBB21_322:
	v_cmp_ne_u32_e32 vcc, 19, v0
	s_and_saveexec_b64 s[8:9], vcc
	s_cbranch_execz .LBB21_326
; %bb.323:
	v_mov_b32_e32 v7, 0
	v_add_u32_e32 v6, 0x170, v32
	v_add3_u32 v7, v32, v7, 24
	s_mov_b64 s[10:11], 0
	v_mov_b32_e32 v10, v0
.LBB21_324:                             ; =>This Inner Loop Header: Depth=1
	v_add_u32_e32 v11, -8, v7
	scratch_load_dwordx4 v[80:83], v11, off
	ds_read_b128 v[84:87], v6
	v_add_u32_e32 v10, 1, v10
	v_cmp_lt_u32_e32 vcc, 18, v10
	v_add_u32_e32 v6, 16, v6
	v_add_u32_e32 v7, 16, v7
	s_or_b64 s[10:11], vcc, s[10:11]
	s_waitcnt vmcnt(0) lgkmcnt(0)
	v_mul_f64 v[12:13], v[86:87], v[82:83]
	v_mul_f64 v[82:83], v[84:85], v[82:83]
	v_fma_f64 v[12:13], v[84:85], v[80:81], -v[12:13]
	v_fmac_f64_e32 v[82:83], v[86:87], v[80:81]
	v_add_f64 v[2:3], v[2:3], v[12:13]
	v_add_f64 v[4:5], v[4:5], v[82:83]
	s_andn2_b64 exec, exec, s[10:11]
	s_cbranch_execnz .LBB21_324
; %bb.325:
	s_or_b64 exec, exec, s[10:11]
.LBB21_326:
	s_or_b64 exec, exec, s[8:9]
	v_mov_b32_e32 v6, 0
	ds_read_b128 v[10:13], v6 offset:320
	s_waitcnt lgkmcnt(0)
	v_mul_f64 v[6:7], v[4:5], v[12:13]
	v_mul_f64 v[82:83], v[2:3], v[12:13]
	v_fma_f64 v[80:81], v[2:3], v[10:11], -v[6:7]
	v_fmac_f64_e32 v[82:83], v[4:5], v[10:11]
	scratch_store_dwordx4 off, v[80:83], off offset:320
.LBB21_327:
	s_or_b64 exec, exec, s[6:7]
	scratch_load_dwordx4 v[2:5], v33, off
	v_cmp_ne_u32_e32 vcc, 21, v0
                                        ; implicit-def: $vgpr6_vgpr7
                                        ; implicit-def: $vgpr10
	s_waitcnt vmcnt(0)
	ds_write_b128 v9, v[2:5]
	s_waitcnt lgkmcnt(0)
	; wave barrier
	s_waitcnt lgkmcnt(0)
	s_and_saveexec_b64 s[6:7], vcc
	s_cbranch_execz .LBB21_335
; %bb.328:
	ds_read_b128 v[2:5], v9
	s_and_b64 vcc, exec, s[0:1]
	s_cbranch_vccnz .LBB21_330
; %bb.329:
	scratch_load_dwordx4 v[6:9], v8, off
	s_waitcnt vmcnt(0) lgkmcnt(0)
	v_mul_f64 v[10:11], v[4:5], v[8:9]
	v_mul_f64 v[8:9], v[2:3], v[8:9]
	v_fmac_f64_e32 v[8:9], v[4:5], v[6:7]
	v_fma_f64 v[2:3], v[2:3], v[6:7], -v[10:11]
	v_mov_b64_e32 v[4:5], v[8:9]
.LBB21_330:
	s_and_saveexec_b64 s[0:1], s[2:3]
	s_cbranch_execz .LBB21_334
; %bb.331:
	v_mov_b32_e32 v7, 0
	v_add_u32_e32 v6, 0x170, v32
	v_add3_u32 v7, v32, v7, 24
	s_mov_b64 s[2:3], 0
.LBB21_332:                             ; =>This Inner Loop Header: Depth=1
	v_add_u32_e32 v8, -8, v7
	scratch_load_dwordx4 v[8:11], v8, off
	ds_read_b128 v[80:83], v6
	v_add_u32_e32 v0, 1, v0
	v_cmp_lt_u32_e32 vcc, 19, v0
	v_add_u32_e32 v6, 16, v6
	v_add_u32_e32 v7, 16, v7
	s_or_b64 s[2:3], vcc, s[2:3]
	s_waitcnt vmcnt(0) lgkmcnt(0)
	v_mul_f64 v[12:13], v[82:83], v[10:11]
	v_mul_f64 v[10:11], v[80:81], v[10:11]
	v_fma_f64 v[12:13], v[80:81], v[8:9], -v[12:13]
	v_fmac_f64_e32 v[10:11], v[82:83], v[8:9]
	v_add_f64 v[2:3], v[2:3], v[12:13]
	v_add_f64 v[4:5], v[4:5], v[10:11]
	s_andn2_b64 exec, exec, s[2:3]
	s_cbranch_execnz .LBB21_332
; %bb.333:
	s_or_b64 exec, exec, s[2:3]
.LBB21_334:
	s_or_b64 exec, exec, s[0:1]
	v_mov_b32_e32 v0, 0
	ds_read_b128 v[80:83], v0 offset:336
	v_mov_b32_e32 v0, 0
	v_add_u32_e32 v10, 0x158, v0
	s_or_b64 s[4:5], s[4:5], exec
	s_waitcnt lgkmcnt(0)
	v_mul_f64 v[8:9], v[4:5], v[82:83]
	v_mul_f64 v[6:7], v[2:3], v[82:83]
	v_fma_f64 v[2:3], v[2:3], v[80:81], -v[8:9]
	v_fmac_f64_e32 v[6:7], v[4:5], v[80:81]
	scratch_store_dwordx2 off, v[2:3], off offset:336
.LBB21_335:
	s_or_b64 exec, exec, s[6:7]
.LBB21_336:
	s_and_saveexec_b64 s[0:1], s[4:5]
	s_cbranch_execz .LBB21_338
; %bb.337:
	scratch_store_dwordx2 v10, v[6:7], off
.LBB21_338:
	s_or_b64 exec, exec, s[0:1]
	scratch_load_dwordx4 v[2:5], off, off
	scratch_load_dwordx4 v[6:9], v72, off
	scratch_load_dwordx4 v[10:13], v76, off
	;; [unrolled: 1-line block ×6, first 2 shown]
                                        ; kill: killed $vgpr76
                                        ; kill: killed $vgpr77
                                        ; kill: killed $vgpr78
                                        ; kill: killed $vgpr72
                                        ; kill: killed $vgpr73
                                        ; kill: killed $vgpr75
	s_nop 0
	scratch_load_dwordx4 v[72:75], v74, off
	s_waitcnt vmcnt(7)
	global_store_dwordx4 v[18:19], v[2:5], off
	scratch_load_dwordx4 v[2:5], v70, off
	s_nop 0
	scratch_load_dwordx4 v[76:79], v71, off
	s_waitcnt vmcnt(9)
	global_store_dwordx4 v[14:15], v[6:9], off
	scratch_load_dwordx4 v[6:9], v68, off
	;; [unrolled: 5-line block ×7, first 2 shown]
	s_nop 0
	scratch_load_dwordx4 v[92:95], v33, off
	s_waitcnt vmcnt(21)
	global_store_dwordx4 v[24:25], v[72:75], off
	s_waitcnt vmcnt(20)
	global_store_dwordx4 v[28:29], v[2:5], off
	;; [unrolled: 2-line block ×15, first 2 shown]
.LBB21_339:
	s_endpgm
	.section	.rodata,"a",@progbits
	.p2align	6, 0x0
	.amdhsa_kernel _ZN9rocsolver6v33100L18trti2_kernel_smallILi22E19rocblas_complex_numIdEPS3_EEv13rocblas_fill_17rocblas_diagonal_T1_iil
		.amdhsa_group_segment_fixed_size 704
		.amdhsa_private_segment_fixed_size 368
		.amdhsa_kernarg_size 32
		.amdhsa_user_sgpr_count 2
		.amdhsa_user_sgpr_dispatch_ptr 0
		.amdhsa_user_sgpr_queue_ptr 0
		.amdhsa_user_sgpr_kernarg_segment_ptr 1
		.amdhsa_user_sgpr_dispatch_id 0
		.amdhsa_user_sgpr_kernarg_preload_length 0
		.amdhsa_user_sgpr_kernarg_preload_offset 0
		.amdhsa_user_sgpr_private_segment_size 0
		.amdhsa_uses_dynamic_stack 0
		.amdhsa_enable_private_segment 1
		.amdhsa_system_sgpr_workgroup_id_x 1
		.amdhsa_system_sgpr_workgroup_id_y 0
		.amdhsa_system_sgpr_workgroup_id_z 0
		.amdhsa_system_sgpr_workgroup_info 0
		.amdhsa_system_vgpr_workitem_id 0
		.amdhsa_next_free_vgpr 104
		.amdhsa_next_free_sgpr 12
		.amdhsa_accum_offset 104
		.amdhsa_reserve_vcc 1
		.amdhsa_float_round_mode_32 0
		.amdhsa_float_round_mode_16_64 0
		.amdhsa_float_denorm_mode_32 3
		.amdhsa_float_denorm_mode_16_64 3
		.amdhsa_dx10_clamp 1
		.amdhsa_ieee_mode 1
		.amdhsa_fp16_overflow 0
		.amdhsa_tg_split 0
		.amdhsa_exception_fp_ieee_invalid_op 0
		.amdhsa_exception_fp_denorm_src 0
		.amdhsa_exception_fp_ieee_div_zero 0
		.amdhsa_exception_fp_ieee_overflow 0
		.amdhsa_exception_fp_ieee_underflow 0
		.amdhsa_exception_fp_ieee_inexact 0
		.amdhsa_exception_int_div_zero 0
	.end_amdhsa_kernel
	.section	.text._ZN9rocsolver6v33100L18trti2_kernel_smallILi22E19rocblas_complex_numIdEPS3_EEv13rocblas_fill_17rocblas_diagonal_T1_iil,"axG",@progbits,_ZN9rocsolver6v33100L18trti2_kernel_smallILi22E19rocblas_complex_numIdEPS3_EEv13rocblas_fill_17rocblas_diagonal_T1_iil,comdat
.Lfunc_end21:
	.size	_ZN9rocsolver6v33100L18trti2_kernel_smallILi22E19rocblas_complex_numIdEPS3_EEv13rocblas_fill_17rocblas_diagonal_T1_iil, .Lfunc_end21-_ZN9rocsolver6v33100L18trti2_kernel_smallILi22E19rocblas_complex_numIdEPS3_EEv13rocblas_fill_17rocblas_diagonal_T1_iil
                                        ; -- End function
	.section	.AMDGPU.csdata,"",@progbits
; Kernel info:
; codeLenInByte = 14352
; NumSgprs: 18
; NumVgprs: 104
; NumAgprs: 0
; TotalNumVgprs: 104
; ScratchSize: 368
; MemoryBound: 0
; FloatMode: 240
; IeeeMode: 1
; LDSByteSize: 704 bytes/workgroup (compile time only)
; SGPRBlocks: 2
; VGPRBlocks: 12
; NumSGPRsForWavesPerEU: 18
; NumVGPRsForWavesPerEU: 104
; AccumOffset: 104
; Occupancy: 4
; WaveLimiterHint : 0
; COMPUTE_PGM_RSRC2:SCRATCH_EN: 1
; COMPUTE_PGM_RSRC2:USER_SGPR: 2
; COMPUTE_PGM_RSRC2:TRAP_HANDLER: 0
; COMPUTE_PGM_RSRC2:TGID_X_EN: 1
; COMPUTE_PGM_RSRC2:TGID_Y_EN: 0
; COMPUTE_PGM_RSRC2:TGID_Z_EN: 0
; COMPUTE_PGM_RSRC2:TIDIG_COMP_CNT: 0
; COMPUTE_PGM_RSRC3_GFX90A:ACCUM_OFFSET: 25
; COMPUTE_PGM_RSRC3_GFX90A:TG_SPLIT: 0
	.section	.text._ZN9rocsolver6v33100L18trti2_kernel_smallILi23E19rocblas_complex_numIdEPS3_EEv13rocblas_fill_17rocblas_diagonal_T1_iil,"axG",@progbits,_ZN9rocsolver6v33100L18trti2_kernel_smallILi23E19rocblas_complex_numIdEPS3_EEv13rocblas_fill_17rocblas_diagonal_T1_iil,comdat
	.globl	_ZN9rocsolver6v33100L18trti2_kernel_smallILi23E19rocblas_complex_numIdEPS3_EEv13rocblas_fill_17rocblas_diagonal_T1_iil ; -- Begin function _ZN9rocsolver6v33100L18trti2_kernel_smallILi23E19rocblas_complex_numIdEPS3_EEv13rocblas_fill_17rocblas_diagonal_T1_iil
	.p2align	8
	.type	_ZN9rocsolver6v33100L18trti2_kernel_smallILi23E19rocblas_complex_numIdEPS3_EEv13rocblas_fill_17rocblas_diagonal_T1_iil,@function
_ZN9rocsolver6v33100L18trti2_kernel_smallILi23E19rocblas_complex_numIdEPS3_EEv13rocblas_fill_17rocblas_diagonal_T1_iil: ; @_ZN9rocsolver6v33100L18trti2_kernel_smallILi23E19rocblas_complex_numIdEPS3_EEv13rocblas_fill_17rocblas_diagonal_T1_iil
; %bb.0:
	v_cmp_gt_u32_e32 vcc, 23, v0
	s_and_saveexec_b64 s[4:5], vcc
	s_cbranch_execz .LBB22_355
; %bb.1:
	s_load_dwordx8 s[4:11], s[0:1], 0x0
	s_ashr_i32 s3, s2, 31
	v_lshlrev_b32_e32 v56, 4, v0
	v_mov_b32_e32 v57, 0
	s_waitcnt lgkmcnt(0)
	s_ashr_i32 s1, s8, 31
	s_mov_b32 s0, s8
	s_mul_i32 s8, s2, s11
	s_mul_hi_u32 s11, s2, s10
	s_add_i32 s8, s11, s8
	s_mul_i32 s3, s3, s10
	s_add_i32 s3, s8, s3
	s_mul_i32 s2, s2, s10
	s_lshl_b64 s[2:3], s[2:3], 4
	s_add_u32 s2, s6, s2
	s_addc_u32 s3, s7, s3
	s_lshl_b64 s[0:1], s[0:1], 4
	s_add_u32 s0, s2, s0
	s_addc_u32 s1, s3, s1
	v_lshl_add_u64 v[16:17], s[0:1], 0, v[56:57]
	s_ashr_i32 s3, s9, 31
	s_mov_b32 s2, s9
	v_lshl_add_u64 v[14:15], s[2:3], 4, v[16:17]
	s_add_i32 s2, s9, s9
	v_add_u32_e32 v20, s2, v0
	v_add_u32_e32 v22, s9, v20
	;; [unrolled: 1-line block ×6, first 2 shown]
	v_ashrrev_i32_e32 v21, 31, v20
	v_ashrrev_i32_e32 v23, 31, v22
	v_ashrrev_i32_e32 v25, 31, v24
	v_ashrrev_i32_e32 v27, 31, v26
	v_ashrrev_i32_e32 v29, 31, v28
	v_ashrrev_i32_e32 v31, 31, v30
	global_load_dwordx4 v[2:5], v56, s[0:1]
	v_lshl_add_u64 v[18:19], v[20:21], 4, s[0:1]
	v_lshl_add_u64 v[20:21], v[22:23], 4, s[0:1]
	v_lshl_add_u64 v[22:23], v[24:25], 4, s[0:1]
	v_lshl_add_u64 v[24:25], v[26:27], 4, s[0:1]
	v_lshl_add_u64 v[26:27], v[28:29], 4, s[0:1]
	v_lshl_add_u64 v[28:29], v[30:31], 4, s[0:1]
	v_add_u32_e32 v30, s9, v30
	global_load_dwordx4 v[6:9], v[14:15], off
	global_load_dwordx4 v[10:13], v[18:19], off
	;; [unrolled: 1-line block ×4, first 2 shown]
	v_add_u32_e32 v32, s9, v30
	global_load_dwordx4 v[58:61], v[24:25], off
	global_load_dwordx4 v[62:65], v[26:27], off
	v_add_u32_e32 v34, s9, v32
	v_add_u32_e32 v36, s9, v34
	v_ashrrev_i32_e32 v33, 31, v32
	v_ashrrev_i32_e32 v37, 31, v36
	v_add_u32_e32 v40, s9, v36
	v_ashrrev_i32_e32 v31, 31, v30
	v_lshl_add_u64 v[32:33], v[32:33], 4, s[0:1]
	v_ashrrev_i32_e32 v35, 31, v34
	v_lshl_add_u64 v[36:37], v[36:37], 4, s[0:1]
	;; [unrolled: 2-line block ×3, first 2 shown]
	global_load_dwordx4 v[66:69], v[28:29], off
	global_load_dwordx4 v[70:73], v[30:31], off
	v_lshl_add_u64 v[34:35], v[34:35], 4, s[0:1]
	global_load_dwordx4 v[74:77], v[32:33], off
	global_load_dwordx4 v[78:81], v[34:35], off
	v_lshl_add_u64 v[38:39], v[40:41], 4, s[0:1]
	global_load_dwordx4 v[82:85], v[36:37], off
	global_load_dwordx4 v[86:89], v[38:39], off
	v_add_u32_e32 v40, s9, v40
	v_add_u32_e32 v42, s9, v40
	;; [unrolled: 1-line block ×4, first 2 shown]
	v_ashrrev_i32_e32 v41, 31, v40
	v_add_u32_e32 v94, s9, v46
	v_lshl_add_u64 v[40:41], v[40:41], 4, s[0:1]
	v_ashrrev_i32_e32 v43, 31, v42
	v_ashrrev_i32_e32 v45, 31, v44
	v_add_u32_e32 v96, s9, v94
	v_lshl_add_u64 v[42:43], v[42:43], 4, s[0:1]
	v_lshl_add_u64 v[44:45], v[44:45], 4, s[0:1]
	v_ashrrev_i32_e32 v47, 31, v46
	v_lshl_add_u64 v[46:47], v[46:47], 4, s[0:1]
	v_ashrrev_i32_e32 v95, 31, v94
	v_ashrrev_i32_e32 v97, 31, v96
	s_cmpk_lg_i32 s5, 0x84
	s_cselect_b64 s[6:7], -1, 0
	s_cmpk_eq_i32 s5, 0x84
	s_waitcnt vmcnt(12)
	scratch_store_dwordx4 off, v[2:5], off
	s_waitcnt vmcnt(12)
	scratch_store_dwordx4 off, v[6:9], off offset:16
	global_load_dwordx4 v[2:5], v[40:41], off
	s_nop 0
	global_load_dwordx4 v[6:9], v[42:43], off
	s_waitcnt vmcnt(14)
	scratch_store_dwordx4 off, v[10:13], off offset:32
	s_waitcnt vmcnt(14)
	scratch_store_dwordx4 off, v[48:51], off offset:48
	;; [unrolled: 2-line block ×3, first 2 shown]
	global_load_dwordx4 v[10:13], v[44:45], off
	global_load_dwordx4 v[90:93], v[46:47], off
	v_add_u32_e32 v54, s9, v96
	s_waitcnt vmcnt(16)
	scratch_store_dwordx4 off, v[58:61], off offset:80
	s_waitcnt vmcnt(16)
	scratch_store_dwordx4 off, v[62:65], off offset:96
	v_ashrrev_i32_e32 v55, 31, v54
	v_add_u32_e32 v58, s9, v54
	v_add_u32_e32 v60, s9, v58
	v_ashrrev_i32_e32 v59, 31, v58
	v_ashrrev_i32_e32 v61, 31, v60
	v_lshl_add_u64 v[48:49], v[94:95], 4, s[0:1]
	v_lshl_add_u64 v[52:53], v[54:55], 4, s[0:1]
	;; [unrolled: 1-line block ×4, first 2 shown]
	v_add_u32_e32 v60, s9, v60
	v_lshl_add_u64 v[50:51], v[96:97], 4, s[0:1]
	global_load_dwordx4 v[62:65], v[48:49], off
	global_load_dwordx4 v[94:97], v[50:51], off
	s_waitcnt vmcnt(18)
	scratch_store_dwordx4 off, v[66:69], off offset:112
	s_waitcnt vmcnt(18)
	scratch_store_dwordx4 off, v[70:73], off offset:128
	;; [unrolled: 2-line block ×6, first 2 shown]
	v_ashrrev_i32_e32 v61, 31, v60
	global_load_dwordx4 v[66:69], v[52:53], off
	global_load_dwordx4 v[70:73], v[54:55], off
	v_lshl_add_u64 v[60:61], v[60:61], 4, s[0:1]
	global_load_dwordx4 v[74:77], v[58:59], off
	global_load_dwordx4 v[78:81], v[60:61], off
	s_waitcnt vmcnt(20)
	scratch_store_dwordx4 off, v[2:5], off offset:208
	s_waitcnt vmcnt(20)
	scratch_store_dwordx4 off, v[6:9], off offset:224
	;; [unrolled: 2-line block ×8, first 2 shown]
	v_mov_b32_e32 v12, 0
	s_waitcnt vmcnt(9)
	scratch_store_dwordx4 off, v[74:77], off offset:336
	s_waitcnt vmcnt(9)
	scratch_store_dwordx4 off, v[78:81], off offset:352
	s_cbranch_scc1 .LBB22_7
; %bb.2:
	scratch_load_dwordx4 v[2:5], v56, off
                                        ; implicit-def: $vgpr10_vgpr11
	s_waitcnt vmcnt(0)
	v_xor_b32_e32 v1, 0x80000000, v3
	v_cmp_gt_f64_e32 vcc, 0, v[2:3]
	v_xor_b32_e32 v8, 0x80000000, v5
	v_mov_b32_e32 v6, v2
	v_cndmask_b32_e32 v7, v3, v1, vcc
	v_cmp_gt_f64_e32 vcc, 0, v[4:5]
	s_nop 1
	v_cndmask_b32_e32 v9, v5, v8, vcc
	v_mov_b32_e32 v8, v4
	v_cmp_ngt_f64_e32 vcc, v[6:7], v[8:9]
                                        ; implicit-def: $vgpr6_vgpr7
	s_and_saveexec_b64 s[0:1], vcc
	s_xor_b64 s[0:1], exec, s[0:1]
	s_cbranch_execz .LBB22_4
; %bb.3:
	v_div_scale_f64 v[6:7], s[2:3], v[4:5], v[4:5], v[2:3]
	v_rcp_f64_e32 v[8:9], v[6:7]
	v_div_scale_f64 v[10:11], vcc, v[2:3], v[4:5], v[2:3]
	v_fma_f64 v[62:63], -v[6:7], v[8:9], 1.0
	v_fmac_f64_e32 v[8:9], v[8:9], v[62:63]
	v_fma_f64 v[62:63], -v[6:7], v[8:9], 1.0
	v_fmac_f64_e32 v[8:9], v[8:9], v[62:63]
	v_mul_f64 v[62:63], v[10:11], v[8:9]
	v_fma_f64 v[6:7], -v[6:7], v[62:63], v[10:11]
	v_div_fmas_f64 v[6:7], v[6:7], v[8:9], v[62:63]
	v_div_fixup_f64 v[6:7], v[6:7], v[4:5], v[2:3]
	v_fmac_f64_e32 v[4:5], v[2:3], v[6:7]
	v_div_scale_f64 v[2:3], s[2:3], v[4:5], v[4:5], 1.0
	v_rcp_f64_e32 v[8:9], v[2:3]
	s_nop 0
	v_fma_f64 v[10:11], -v[2:3], v[8:9], 1.0
	v_fmac_f64_e32 v[8:9], v[8:9], v[10:11]
	v_fma_f64 v[10:11], -v[2:3], v[8:9], 1.0
	v_fmac_f64_e32 v[8:9], v[8:9], v[10:11]
	v_div_scale_f64 v[10:11], vcc, 1.0, v[4:5], 1.0
	v_mul_f64 v[62:63], v[10:11], v[8:9]
	v_fma_f64 v[2:3], -v[2:3], v[62:63], v[10:11]
	s_nop 1
	v_div_fmas_f64 v[2:3], v[2:3], v[8:9], v[62:63]
	v_div_fixup_f64 v[8:9], v[2:3], v[4:5], 1.0
	v_mul_f64 v[6:7], v[6:7], v[8:9]
	v_xor_b32_e32 v9, 0x80000000, v9
	v_xor_b32_e32 v11, 0x80000000, v7
	v_mov_b32_e32 v10, v6
                                        ; implicit-def: $vgpr2_vgpr3
.LBB22_4:
	s_or_saveexec_b64 s[0:1], s[0:1]
	v_add_u32_e32 v1, 0, v56
	s_xor_b64 exec, exec, s[0:1]
	s_cbranch_execz .LBB22_6
; %bb.5:
	v_div_scale_f64 v[6:7], s[2:3], v[2:3], v[2:3], v[4:5]
	v_rcp_f64_e32 v[8:9], v[6:7]
	v_div_scale_f64 v[10:11], vcc, v[4:5], v[2:3], v[4:5]
	v_fma_f64 v[62:63], -v[6:7], v[8:9], 1.0
	v_fmac_f64_e32 v[8:9], v[8:9], v[62:63]
	v_fma_f64 v[62:63], -v[6:7], v[8:9], 1.0
	v_fmac_f64_e32 v[8:9], v[8:9], v[62:63]
	v_mul_f64 v[62:63], v[10:11], v[8:9]
	v_fma_f64 v[6:7], -v[6:7], v[62:63], v[10:11]
	v_div_fmas_f64 v[6:7], v[6:7], v[8:9], v[62:63]
	v_div_fixup_f64 v[8:9], v[6:7], v[2:3], v[4:5]
	v_fmac_f64_e32 v[2:3], v[4:5], v[8:9]
	v_div_scale_f64 v[4:5], s[2:3], v[2:3], v[2:3], 1.0
	v_rcp_f64_e32 v[6:7], v[4:5]
	s_nop 0
	v_fma_f64 v[10:11], -v[4:5], v[6:7], 1.0
	v_fmac_f64_e32 v[6:7], v[6:7], v[10:11]
	v_fma_f64 v[10:11], -v[4:5], v[6:7], 1.0
	v_fmac_f64_e32 v[6:7], v[6:7], v[10:11]
	v_div_scale_f64 v[10:11], vcc, 1.0, v[2:3], 1.0
	v_mul_f64 v[62:63], v[10:11], v[6:7]
	v_fma_f64 v[4:5], -v[4:5], v[62:63], v[10:11]
	s_nop 1
	v_div_fmas_f64 v[4:5], v[4:5], v[6:7], v[62:63]
	v_div_fixup_f64 v[6:7], v[4:5], v[2:3], 1.0
	v_xor_b32_e32 v11, 0x80000000, v7
	v_mov_b32_e32 v10, v6
	v_mul_f64 v[8:9], v[8:9], -v[6:7]
.LBB22_6:
	s_or_b64 exec, exec, s[0:1]
	scratch_store_dwordx4 v1, v[6:9], off
	s_nop 1
	v_xor_b32_e32 v9, 0x80000000, v9
	s_branch .LBB22_8
.LBB22_7:
	v_mov_b64_e32 v[8:9], 0
	v_mov_b64_e32 v[10:11], -1.0
.LBB22_8:
	v_add_u32_e32 v76, 16, v12
	v_add_u32_e32 v77, 32, v12
	;; [unrolled: 1-line block ×22, first 2 shown]
	v_mov_b32_e32 v12, v8
	v_mov_b32_e32 v13, v9
	s_cmpk_eq_i32 s4, 0x79
	v_add_u32_e32 v9, 0x170, v56
	v_add_u32_e32 v8, 0, v56
	ds_write_b128 v56, v[10:13]
	s_cbranch_scc1 .LBB22_180
; %bb.9:
	scratch_load_dwordx4 v[2:5], v1, off
	v_cmp_eq_u32_e64 s[0:1], 22, v0
	s_waitcnt vmcnt(0)
	ds_write_b128 v9, v[2:5]
	s_waitcnt lgkmcnt(0)
	; wave barrier
	s_waitcnt lgkmcnt(0)
	s_and_saveexec_b64 s[2:3], s[0:1]
	s_cbranch_execz .LBB22_13
; %bb.10:
	ds_read_b128 v[2:5], v9
	s_andn2_b64 vcc, exec, s[6:7]
	s_cbranch_vccnz .LBB22_12
; %bb.11:
	scratch_load_dwordx4 v[10:13], v8, off
	s_waitcnt vmcnt(0) lgkmcnt(0)
	v_mul_f64 v[6:7], v[4:5], v[12:13]
	v_mul_f64 v[12:13], v[2:3], v[12:13]
	v_fmac_f64_e32 v[12:13], v[4:5], v[10:11]
	v_fma_f64 v[2:3], v[2:3], v[10:11], -v[6:7]
	v_mov_b64_e32 v[4:5], v[12:13]
.LBB22_12:
	v_mov_b32_e32 v6, 0
	ds_read_b128 v[10:13], v6 offset:336
	s_waitcnt lgkmcnt(0)
	v_mul_f64 v[6:7], v[4:5], v[12:13]
	v_mul_f64 v[84:85], v[2:3], v[12:13]
	v_fma_f64 v[82:83], v[2:3], v[10:11], -v[6:7]
	v_fmac_f64_e32 v[84:85], v[4:5], v[10:11]
	scratch_store_dwordx4 off, v[82:85], off offset:336
.LBB22_13:
	s_or_b64 exec, exec, s[2:3]
	scratch_load_dwordx4 v[2:5], v62, off
	v_cmp_lt_u32_e64 s[2:3], 20, v0
	s_waitcnt vmcnt(0)
	ds_write_b128 v9, v[2:5]
	s_waitcnt lgkmcnt(0)
	; wave barrier
	s_waitcnt lgkmcnt(0)
	s_and_saveexec_b64 s[4:5], s[2:3]
	s_cbranch_execz .LBB22_19
; %bb.14:
	ds_read_b128 v[2:5], v9
	s_andn2_b64 vcc, exec, s[6:7]
	s_cbranch_vccnz .LBB22_16
; %bb.15:
	scratch_load_dwordx4 v[10:13], v8, off
	s_waitcnt vmcnt(0) lgkmcnt(0)
	v_mul_f64 v[6:7], v[4:5], v[12:13]
	v_mul_f64 v[12:13], v[2:3], v[12:13]
	v_fmac_f64_e32 v[12:13], v[4:5], v[10:11]
	v_fma_f64 v[2:3], v[2:3], v[10:11], -v[6:7]
	v_mov_b64_e32 v[4:5], v[12:13]
.LBB22_16:
	s_and_saveexec_b64 s[8:9], s[0:1]
	s_cbranch_execz .LBB22_18
; %bb.17:
	scratch_load_dwordx4 v[10:13], off, off offset:336
	v_mov_b32_e32 v6, 0
	ds_read_b128 v[82:85], v6 offset:704
	s_waitcnt vmcnt(0) lgkmcnt(0)
	v_mul_f64 v[6:7], v[82:83], v[12:13]
	v_mul_f64 v[12:13], v[84:85], v[12:13]
	v_fmac_f64_e32 v[6:7], v[84:85], v[10:11]
	v_fma_f64 v[10:11], v[82:83], v[10:11], -v[12:13]
	v_add_f64 v[4:5], v[4:5], v[6:7]
	v_add_f64 v[2:3], v[2:3], v[10:11]
.LBB22_18:
	s_or_b64 exec, exec, s[8:9]
	v_mov_b32_e32 v6, 0
	ds_read_b128 v[10:13], v6 offset:320
	s_waitcnt lgkmcnt(0)
	v_mul_f64 v[6:7], v[4:5], v[12:13]
	v_mul_f64 v[84:85], v[2:3], v[12:13]
	v_fma_f64 v[82:83], v[2:3], v[10:11], -v[6:7]
	v_fmac_f64_e32 v[84:85], v[4:5], v[10:11]
	scratch_store_dwordx4 off, v[82:85], off offset:320
.LBB22_19:
	s_or_b64 exec, exec, s[4:5]
	scratch_load_dwordx4 v[2:5], v63, off
	v_cmp_lt_u32_e64 s[0:1], 19, v0
	s_waitcnt vmcnt(0)
	ds_write_b128 v9, v[2:5]
	s_waitcnt lgkmcnt(0)
	; wave barrier
	s_waitcnt lgkmcnt(0)
	s_and_saveexec_b64 s[4:5], s[0:1]
	s_cbranch_execz .LBB22_27
; %bb.20:
	ds_read_b128 v[2:5], v9
	s_andn2_b64 vcc, exec, s[6:7]
	s_cbranch_vccnz .LBB22_22
; %bb.21:
	scratch_load_dwordx4 v[10:13], v8, off
	s_waitcnt vmcnt(0) lgkmcnt(0)
	v_mul_f64 v[6:7], v[4:5], v[12:13]
	v_mul_f64 v[12:13], v[2:3], v[12:13]
	v_fmac_f64_e32 v[12:13], v[4:5], v[10:11]
	v_fma_f64 v[2:3], v[2:3], v[10:11], -v[6:7]
	v_mov_b64_e32 v[4:5], v[12:13]
.LBB22_22:
	s_and_saveexec_b64 s[8:9], s[2:3]
	s_cbranch_execz .LBB22_26
; %bb.23:
	v_mov_b32_e32 v7, 0
	v_subrev_u32_e32 v6, 20, v0
	v_add_u32_e32 v7, 0x148, v7
	s_movk_i32 s10, 0x2b0
	s_mov_b64 s[2:3], 0
.LBB22_24:                              ; =>This Inner Loop Header: Depth=1
	v_add_u32_e32 v10, -8, v7
	scratch_load_dwordx4 v[10:13], v10, off
	v_mov_b32_e32 v82, s10
	ds_read_b128 v[82:85], v82
	v_add_u32_e32 v6, -1, v6
	s_add_i32 s10, s10, 16
	v_cmp_eq_u32_e32 vcc, 0, v6
	v_add_u32_e32 v7, 16, v7
	s_or_b64 s[2:3], vcc, s[2:3]
	s_waitcnt vmcnt(0) lgkmcnt(0)
	v_mul_f64 v[86:87], v[84:85], v[12:13]
	v_mul_f64 v[12:13], v[82:83], v[12:13]
	v_fma_f64 v[82:83], v[82:83], v[10:11], -v[86:87]
	v_fmac_f64_e32 v[12:13], v[84:85], v[10:11]
	v_add_f64 v[2:3], v[2:3], v[82:83]
	v_add_f64 v[4:5], v[4:5], v[12:13]
	s_andn2_b64 exec, exec, s[2:3]
	s_cbranch_execnz .LBB22_24
; %bb.25:
	s_or_b64 exec, exec, s[2:3]
.LBB22_26:
	s_or_b64 exec, exec, s[8:9]
	v_mov_b32_e32 v6, 0
	ds_read_b128 v[10:13], v6 offset:304
	s_waitcnt lgkmcnt(0)
	v_mul_f64 v[6:7], v[4:5], v[12:13]
	v_mul_f64 v[84:85], v[2:3], v[12:13]
	v_fma_f64 v[82:83], v[2:3], v[10:11], -v[6:7]
	v_fmac_f64_e32 v[84:85], v[4:5], v[10:11]
	scratch_store_dwordx4 off, v[82:85], off offset:304
.LBB22_27:
	s_or_b64 exec, exec, s[4:5]
	scratch_load_dwordx4 v[2:5], v64, off
	v_cmp_lt_u32_e64 s[2:3], 18, v0
	s_waitcnt vmcnt(0)
	ds_write_b128 v9, v[2:5]
	s_waitcnt lgkmcnt(0)
	; wave barrier
	s_waitcnt lgkmcnt(0)
	s_and_saveexec_b64 s[4:5], s[2:3]
	s_cbranch_execz .LBB22_35
; %bb.28:
	ds_read_b128 v[2:5], v9
	s_andn2_b64 vcc, exec, s[6:7]
	s_cbranch_vccnz .LBB22_30
; %bb.29:
	scratch_load_dwordx4 v[10:13], v8, off
	s_waitcnt vmcnt(0) lgkmcnt(0)
	v_mul_f64 v[6:7], v[4:5], v[12:13]
	v_mul_f64 v[12:13], v[2:3], v[12:13]
	v_fmac_f64_e32 v[12:13], v[4:5], v[10:11]
	v_fma_f64 v[2:3], v[2:3], v[10:11], -v[6:7]
	v_mov_b64_e32 v[4:5], v[12:13]
.LBB22_30:
	s_and_saveexec_b64 s[8:9], s[0:1]
	s_cbranch_execz .LBB22_34
; %bb.31:
	v_mov_b32_e32 v7, 0
	v_subrev_u32_e32 v6, 19, v0
	v_add_u32_e32 v7, 0x138, v7
	s_movk_i32 s10, 0x2a0
	s_mov_b64 s[0:1], 0
.LBB22_32:                              ; =>This Inner Loop Header: Depth=1
	v_add_u32_e32 v10, -8, v7
	scratch_load_dwordx4 v[10:13], v10, off
	v_mov_b32_e32 v82, s10
	ds_read_b128 v[82:85], v82
	v_add_u32_e32 v6, -1, v6
	s_add_i32 s10, s10, 16
	v_cmp_eq_u32_e32 vcc, 0, v6
	v_add_u32_e32 v7, 16, v7
	s_or_b64 s[0:1], vcc, s[0:1]
	s_waitcnt vmcnt(0) lgkmcnt(0)
	v_mul_f64 v[86:87], v[84:85], v[12:13]
	v_mul_f64 v[12:13], v[82:83], v[12:13]
	v_fma_f64 v[82:83], v[82:83], v[10:11], -v[86:87]
	v_fmac_f64_e32 v[12:13], v[84:85], v[10:11]
	v_add_f64 v[2:3], v[2:3], v[82:83]
	v_add_f64 v[4:5], v[4:5], v[12:13]
	s_andn2_b64 exec, exec, s[0:1]
	s_cbranch_execnz .LBB22_32
; %bb.33:
	s_or_b64 exec, exec, s[0:1]
.LBB22_34:
	s_or_b64 exec, exec, s[8:9]
	v_mov_b32_e32 v6, 0
	ds_read_b128 v[10:13], v6 offset:288
	s_waitcnt lgkmcnt(0)
	v_mul_f64 v[6:7], v[4:5], v[12:13]
	v_mul_f64 v[84:85], v[2:3], v[12:13]
	v_fma_f64 v[82:83], v[2:3], v[10:11], -v[6:7]
	v_fmac_f64_e32 v[84:85], v[4:5], v[10:11]
	scratch_store_dwordx4 off, v[82:85], off offset:288
.LBB22_35:
	;; [unrolled: 63-line block ×4, first 2 shown]
	s_or_b64 exec, exec, s[4:5]
	scratch_load_dwordx4 v[2:5], v66, off
	v_cmp_lt_u32_e64 s[0:1], 15, v0
	s_waitcnt vmcnt(0)
	ds_write_b128 v9, v[2:5]
	s_waitcnt lgkmcnt(0)
	; wave barrier
	s_waitcnt lgkmcnt(0)
	s_and_saveexec_b64 s[4:5], s[0:1]
	s_cbranch_execz .LBB22_59
; %bb.52:
	ds_read_b128 v[2:5], v9
	s_andn2_b64 vcc, exec, s[6:7]
	s_cbranch_vccnz .LBB22_54
; %bb.53:
	scratch_load_dwordx4 v[10:13], v8, off
	s_waitcnt vmcnt(0) lgkmcnt(0)
	v_mul_f64 v[6:7], v[4:5], v[12:13]
	v_mul_f64 v[12:13], v[2:3], v[12:13]
	v_fmac_f64_e32 v[12:13], v[4:5], v[10:11]
	v_fma_f64 v[2:3], v[2:3], v[10:11], -v[6:7]
	v_mov_b64_e32 v[4:5], v[12:13]
.LBB22_54:
	s_and_saveexec_b64 s[8:9], s[2:3]
	s_cbranch_execz .LBB22_58
; %bb.55:
	v_mov_b32_e32 v7, 0
	v_add_u32_e32 v6, -16, v0
	v_add_u32_e32 v7, 0x108, v7
	s_movk_i32 s10, 0x270
	s_mov_b64 s[2:3], 0
.LBB22_56:                              ; =>This Inner Loop Header: Depth=1
	v_add_u32_e32 v10, -8, v7
	scratch_load_dwordx4 v[10:13], v10, off
	v_mov_b32_e32 v82, s10
	ds_read_b128 v[82:85], v82
	v_add_u32_e32 v6, -1, v6
	s_add_i32 s10, s10, 16
	v_cmp_eq_u32_e32 vcc, 0, v6
	v_add_u32_e32 v7, 16, v7
	s_or_b64 s[2:3], vcc, s[2:3]
	s_waitcnt vmcnt(0) lgkmcnt(0)
	v_mul_f64 v[86:87], v[84:85], v[12:13]
	v_mul_f64 v[12:13], v[82:83], v[12:13]
	v_fma_f64 v[82:83], v[82:83], v[10:11], -v[86:87]
	v_fmac_f64_e32 v[12:13], v[84:85], v[10:11]
	v_add_f64 v[2:3], v[2:3], v[82:83]
	v_add_f64 v[4:5], v[4:5], v[12:13]
	s_andn2_b64 exec, exec, s[2:3]
	s_cbranch_execnz .LBB22_56
; %bb.57:
	s_or_b64 exec, exec, s[2:3]
.LBB22_58:
	s_or_b64 exec, exec, s[8:9]
	v_mov_b32_e32 v6, 0
	ds_read_b128 v[10:13], v6 offset:240
	s_waitcnt lgkmcnt(0)
	v_mul_f64 v[6:7], v[4:5], v[12:13]
	v_mul_f64 v[84:85], v[2:3], v[12:13]
	v_fma_f64 v[82:83], v[2:3], v[10:11], -v[6:7]
	v_fmac_f64_e32 v[84:85], v[4:5], v[10:11]
	scratch_store_dwordx4 off, v[82:85], off offset:240
.LBB22_59:
	s_or_b64 exec, exec, s[4:5]
	scratch_load_dwordx4 v[2:5], v69, off
	v_cmp_lt_u32_e64 s[2:3], 14, v0
	s_waitcnt vmcnt(0)
	ds_write_b128 v9, v[2:5]
	s_waitcnt lgkmcnt(0)
	; wave barrier
	s_waitcnt lgkmcnt(0)
	s_and_saveexec_b64 s[4:5], s[2:3]
	s_cbranch_execz .LBB22_67
; %bb.60:
	ds_read_b128 v[2:5], v9
	s_andn2_b64 vcc, exec, s[6:7]
	s_cbranch_vccnz .LBB22_62
; %bb.61:
	scratch_load_dwordx4 v[10:13], v8, off
	s_waitcnt vmcnt(0) lgkmcnt(0)
	v_mul_f64 v[6:7], v[4:5], v[12:13]
	v_mul_f64 v[12:13], v[2:3], v[12:13]
	v_fmac_f64_e32 v[12:13], v[4:5], v[10:11]
	v_fma_f64 v[2:3], v[2:3], v[10:11], -v[6:7]
	v_mov_b64_e32 v[4:5], v[12:13]
.LBB22_62:
	s_and_saveexec_b64 s[8:9], s[0:1]
	s_cbranch_execz .LBB22_66
; %bb.63:
	v_mov_b32_e32 v7, 0
	v_add_u32_e32 v6, -15, v0
	v_add_u32_e32 v7, 0xf8, v7
	s_movk_i32 s10, 0x260
	s_mov_b64 s[0:1], 0
.LBB22_64:                              ; =>This Inner Loop Header: Depth=1
	v_add_u32_e32 v10, -8, v7
	scratch_load_dwordx4 v[10:13], v10, off
	v_mov_b32_e32 v82, s10
	ds_read_b128 v[82:85], v82
	v_add_u32_e32 v6, -1, v6
	s_add_i32 s10, s10, 16
	v_cmp_eq_u32_e32 vcc, 0, v6
	v_add_u32_e32 v7, 16, v7
	s_or_b64 s[0:1], vcc, s[0:1]
	s_waitcnt vmcnt(0) lgkmcnt(0)
	v_mul_f64 v[86:87], v[84:85], v[12:13]
	v_mul_f64 v[12:13], v[82:83], v[12:13]
	v_fma_f64 v[82:83], v[82:83], v[10:11], -v[86:87]
	v_fmac_f64_e32 v[12:13], v[84:85], v[10:11]
	v_add_f64 v[2:3], v[2:3], v[82:83]
	v_add_f64 v[4:5], v[4:5], v[12:13]
	s_andn2_b64 exec, exec, s[0:1]
	s_cbranch_execnz .LBB22_64
; %bb.65:
	s_or_b64 exec, exec, s[0:1]
.LBB22_66:
	s_or_b64 exec, exec, s[8:9]
	v_mov_b32_e32 v6, 0
	ds_read_b128 v[10:13], v6 offset:224
	s_waitcnt lgkmcnt(0)
	v_mul_f64 v[6:7], v[4:5], v[12:13]
	v_mul_f64 v[84:85], v[2:3], v[12:13]
	v_fma_f64 v[82:83], v[2:3], v[10:11], -v[6:7]
	v_fmac_f64_e32 v[84:85], v[4:5], v[10:11]
	scratch_store_dwordx4 off, v[82:85], off offset:224
.LBB22_67:
	;; [unrolled: 63-line block ×6, first 2 shown]
	s_or_b64 exec, exec, s[4:5]
	scratch_load_dwordx4 v[2:5], v72, off
	v_cmp_lt_u32_e64 s[0:1], 9, v0
	s_waitcnt vmcnt(0)
	ds_write_b128 v9, v[2:5]
	s_waitcnt lgkmcnt(0)
	; wave barrier
	s_waitcnt lgkmcnt(0)
	s_and_saveexec_b64 s[4:5], s[0:1]
	s_cbranch_execz .LBB22_107
; %bb.100:
	ds_read_b128 v[2:5], v9
	s_andn2_b64 vcc, exec, s[6:7]
	s_cbranch_vccnz .LBB22_102
; %bb.101:
	scratch_load_dwordx4 v[10:13], v8, off
	s_waitcnt vmcnt(0) lgkmcnt(0)
	v_mul_f64 v[6:7], v[4:5], v[12:13]
	v_mul_f64 v[12:13], v[2:3], v[12:13]
	v_fmac_f64_e32 v[12:13], v[4:5], v[10:11]
	v_fma_f64 v[2:3], v[2:3], v[10:11], -v[6:7]
	v_mov_b64_e32 v[4:5], v[12:13]
.LBB22_102:
	s_and_saveexec_b64 s[8:9], s[2:3]
	s_cbranch_execz .LBB22_106
; %bb.103:
	v_mov_b32_e32 v7, 0
	v_add_u32_e32 v6, -10, v0
	v_add_u32_e32 v7, 0xa8, v7
	s_movk_i32 s10, 0x210
	s_mov_b64 s[2:3], 0
.LBB22_104:                             ; =>This Inner Loop Header: Depth=1
	v_add_u32_e32 v10, -8, v7
	scratch_load_dwordx4 v[10:13], v10, off
	v_mov_b32_e32 v82, s10
	ds_read_b128 v[82:85], v82
	v_add_u32_e32 v6, -1, v6
	s_add_i32 s10, s10, 16
	v_cmp_eq_u32_e32 vcc, 0, v6
	v_add_u32_e32 v7, 16, v7
	s_or_b64 s[2:3], vcc, s[2:3]
	s_waitcnt vmcnt(0) lgkmcnt(0)
	v_mul_f64 v[86:87], v[84:85], v[12:13]
	v_mul_f64 v[12:13], v[82:83], v[12:13]
	v_fma_f64 v[82:83], v[82:83], v[10:11], -v[86:87]
	v_fmac_f64_e32 v[12:13], v[84:85], v[10:11]
	v_add_f64 v[2:3], v[2:3], v[82:83]
	v_add_f64 v[4:5], v[4:5], v[12:13]
	s_andn2_b64 exec, exec, s[2:3]
	s_cbranch_execnz .LBB22_104
; %bb.105:
	s_or_b64 exec, exec, s[2:3]
.LBB22_106:
	s_or_b64 exec, exec, s[8:9]
	v_mov_b32_e32 v6, 0
	ds_read_b128 v[10:13], v6 offset:144
	s_waitcnt lgkmcnt(0)
	v_mul_f64 v[6:7], v[4:5], v[12:13]
	v_mul_f64 v[84:85], v[2:3], v[12:13]
	v_fma_f64 v[82:83], v[2:3], v[10:11], -v[6:7]
	v_fmac_f64_e32 v[84:85], v[4:5], v[10:11]
	scratch_store_dwordx4 off, v[82:85], off offset:144
.LBB22_107:
	s_or_b64 exec, exec, s[4:5]
	scratch_load_dwordx4 v[2:5], v74, off
	v_cmp_lt_u32_e64 s[2:3], 8, v0
	s_waitcnt vmcnt(0)
	ds_write_b128 v9, v[2:5]
	s_waitcnt lgkmcnt(0)
	; wave barrier
	s_waitcnt lgkmcnt(0)
	s_and_saveexec_b64 s[4:5], s[2:3]
	s_cbranch_execz .LBB22_115
; %bb.108:
	ds_read_b128 v[2:5], v9
	s_andn2_b64 vcc, exec, s[6:7]
	s_cbranch_vccnz .LBB22_110
; %bb.109:
	scratch_load_dwordx4 v[10:13], v8, off
	s_waitcnt vmcnt(0) lgkmcnt(0)
	v_mul_f64 v[6:7], v[4:5], v[12:13]
	v_mul_f64 v[12:13], v[2:3], v[12:13]
	v_fmac_f64_e32 v[12:13], v[4:5], v[10:11]
	v_fma_f64 v[2:3], v[2:3], v[10:11], -v[6:7]
	v_mov_b64_e32 v[4:5], v[12:13]
.LBB22_110:
	s_and_saveexec_b64 s[8:9], s[0:1]
	s_cbranch_execz .LBB22_114
; %bb.111:
	v_mov_b32_e32 v7, 0
	v_add_u32_e32 v6, -9, v0
	v_add_u32_e32 v7, 0x98, v7
	s_movk_i32 s10, 0x200
	s_mov_b64 s[0:1], 0
.LBB22_112:                             ; =>This Inner Loop Header: Depth=1
	v_add_u32_e32 v10, -8, v7
	scratch_load_dwordx4 v[10:13], v10, off
	v_mov_b32_e32 v82, s10
	ds_read_b128 v[82:85], v82
	v_add_u32_e32 v6, -1, v6
	s_add_i32 s10, s10, 16
	v_cmp_eq_u32_e32 vcc, 0, v6
	v_add_u32_e32 v7, 16, v7
	s_or_b64 s[0:1], vcc, s[0:1]
	s_waitcnt vmcnt(0) lgkmcnt(0)
	v_mul_f64 v[86:87], v[84:85], v[12:13]
	v_mul_f64 v[12:13], v[82:83], v[12:13]
	v_fma_f64 v[82:83], v[82:83], v[10:11], -v[86:87]
	v_fmac_f64_e32 v[12:13], v[84:85], v[10:11]
	v_add_f64 v[2:3], v[2:3], v[82:83]
	v_add_f64 v[4:5], v[4:5], v[12:13]
	s_andn2_b64 exec, exec, s[0:1]
	s_cbranch_execnz .LBB22_112
; %bb.113:
	s_or_b64 exec, exec, s[0:1]
.LBB22_114:
	s_or_b64 exec, exec, s[8:9]
	v_mov_b32_e32 v6, 0
	ds_read_b128 v[10:13], v6 offset:128
	s_waitcnt lgkmcnt(0)
	v_mul_f64 v[6:7], v[4:5], v[12:13]
	v_mul_f64 v[84:85], v[2:3], v[12:13]
	v_fma_f64 v[82:83], v[2:3], v[10:11], -v[6:7]
	v_fmac_f64_e32 v[84:85], v[4:5], v[10:11]
	scratch_store_dwordx4 off, v[82:85], off offset:128
.LBB22_115:
	;; [unrolled: 63-line block ×9, first 2 shown]
	s_or_b64 exec, exec, s[4:5]
	scratch_load_dwordx4 v[2:5], off, off
	v_cmp_ne_u32_e32 vcc, 0, v0
	s_mov_b64 s[2:3], 0
	s_mov_b64 s[4:5], 0
                                        ; implicit-def: $vgpr6_vgpr7
                                        ; implicit-def: $vgpr10
	s_waitcnt vmcnt(0)
	ds_write_b128 v9, v[2:5]
	s_waitcnt lgkmcnt(0)
	; wave barrier
	s_waitcnt lgkmcnt(0)
	s_and_saveexec_b64 s[8:9], vcc
	s_cbranch_execz .LBB22_179
; %bb.172:
	ds_read_b128 v[2:5], v9
	s_andn2_b64 vcc, exec, s[6:7]
	s_cbranch_vccnz .LBB22_174
; %bb.173:
	scratch_load_dwordx4 v[10:13], v8, off
	s_waitcnt vmcnt(0) lgkmcnt(0)
	v_mul_f64 v[6:7], v[4:5], v[12:13]
	v_mul_f64 v[12:13], v[2:3], v[12:13]
	v_fmac_f64_e32 v[12:13], v[4:5], v[10:11]
	v_fma_f64 v[2:3], v[2:3], v[10:11], -v[6:7]
	v_mov_b64_e32 v[4:5], v[12:13]
.LBB22_174:
	s_and_saveexec_b64 s[4:5], s[0:1]
	s_cbranch_execz .LBB22_178
; %bb.175:
	v_mov_b32_e32 v7, 0
	v_add_u32_e32 v6, -1, v0
	v_add_u32_e32 v7, 24, v7
	s_movk_i32 s10, 0x180
	s_mov_b64 s[0:1], 0
.LBB22_176:                             ; =>This Inner Loop Header: Depth=1
	v_add_u32_e32 v10, -8, v7
	scratch_load_dwordx4 v[10:13], v10, off
	v_mov_b32_e32 v82, s10
	ds_read_b128 v[82:85], v82
	v_add_u32_e32 v6, -1, v6
	s_add_i32 s10, s10, 16
	v_cmp_eq_u32_e32 vcc, 0, v6
	v_add_u32_e32 v7, 16, v7
	s_or_b64 s[0:1], vcc, s[0:1]
	s_waitcnt vmcnt(0) lgkmcnt(0)
	v_mul_f64 v[86:87], v[84:85], v[12:13]
	v_mul_f64 v[12:13], v[82:83], v[12:13]
	v_fma_f64 v[82:83], v[82:83], v[10:11], -v[86:87]
	v_fmac_f64_e32 v[12:13], v[84:85], v[10:11]
	v_add_f64 v[2:3], v[2:3], v[82:83]
	v_add_f64 v[4:5], v[4:5], v[12:13]
	s_andn2_b64 exec, exec, s[0:1]
	s_cbranch_execnz .LBB22_176
; %bb.177:
	s_or_b64 exec, exec, s[0:1]
.LBB22_178:
	s_or_b64 exec, exec, s[4:5]
	v_mov_b32_e32 v6, 0
	ds_read_b128 v[82:85], v6
	v_mov_b32_e32 v6, 0
	v_or_b32_e32 v10, 8, v6
	s_mov_b64 s[4:5], exec
	s_waitcnt lgkmcnt(0)
	v_mul_f64 v[12:13], v[4:5], v[84:85]
	v_mul_f64 v[6:7], v[2:3], v[84:85]
	v_fma_f64 v[2:3], v[2:3], v[82:83], -v[12:13]
	v_fmac_f64_e32 v[6:7], v[4:5], v[82:83]
	scratch_store_dwordx2 off, v[2:3], off
.LBB22_179:
	s_or_b64 exec, exec, s[8:9]
	s_and_b64 vcc, exec, s[2:3]
	s_cbranch_vccnz .LBB22_181
	s_branch .LBB22_352
.LBB22_180:
	s_mov_b64 s[4:5], 0
                                        ; implicit-def: $vgpr6_vgpr7
                                        ; implicit-def: $vgpr10
	s_cbranch_execz .LBB22_352
.LBB22_181:
	scratch_load_dwordx4 v[2:5], v76, off
	v_cndmask_b32_e64 v6, 0, 1, s[6:7]
	v_cmp_eq_u32_e64 s[2:3], 0, v0
	v_cmp_ne_u32_e64 s[0:1], 1, v6
	s_waitcnt vmcnt(0)
	ds_write_b128 v9, v[2:5]
	s_waitcnt lgkmcnt(0)
	; wave barrier
	s_waitcnt lgkmcnt(0)
	s_and_saveexec_b64 s[6:7], s[2:3]
	s_cbranch_execz .LBB22_185
; %bb.182:
	ds_read_b128 v[2:5], v9
	s_and_b64 vcc, exec, s[0:1]
	s_cbranch_vccnz .LBB22_184
; %bb.183:
	scratch_load_dwordx4 v[10:13], v8, off
	s_waitcnt vmcnt(0) lgkmcnt(0)
	v_mul_f64 v[6:7], v[4:5], v[12:13]
	v_mul_f64 v[12:13], v[2:3], v[12:13]
	v_fmac_f64_e32 v[12:13], v[4:5], v[10:11]
	v_fma_f64 v[2:3], v[2:3], v[10:11], -v[6:7]
	v_mov_b64_e32 v[4:5], v[12:13]
.LBB22_184:
	v_mov_b32_e32 v6, 0
	ds_read_b128 v[10:13], v6 offset:16
	s_waitcnt lgkmcnt(0)
	v_mul_f64 v[6:7], v[4:5], v[12:13]
	v_mul_f64 v[84:85], v[2:3], v[12:13]
	v_fma_f64 v[82:83], v[2:3], v[10:11], -v[6:7]
	v_fmac_f64_e32 v[84:85], v[4:5], v[10:11]
	scratch_store_dwordx4 off, v[82:85], off offset:16
.LBB22_185:
	s_or_b64 exec, exec, s[6:7]
	scratch_load_dwordx4 v[2:5], v77, off
	v_cmp_gt_u32_e32 vcc, 2, v0
	s_waitcnt vmcnt(0)
	ds_write_b128 v9, v[2:5]
	s_waitcnt lgkmcnt(0)
	; wave barrier
	s_waitcnt lgkmcnt(0)
	s_and_saveexec_b64 s[6:7], vcc
	s_cbranch_execz .LBB22_191
; %bb.186:
	ds_read_b128 v[2:5], v9
	s_and_b64 vcc, exec, s[0:1]
	s_cbranch_vccnz .LBB22_188
; %bb.187:
	scratch_load_dwordx4 v[10:13], v8, off
	s_waitcnt vmcnt(0) lgkmcnt(0)
	v_mul_f64 v[6:7], v[4:5], v[12:13]
	v_mul_f64 v[12:13], v[2:3], v[12:13]
	v_fmac_f64_e32 v[12:13], v[4:5], v[10:11]
	v_fma_f64 v[2:3], v[2:3], v[10:11], -v[6:7]
	v_mov_b64_e32 v[4:5], v[12:13]
.LBB22_188:
	s_and_saveexec_b64 s[8:9], s[2:3]
	s_cbranch_execz .LBB22_190
; %bb.189:
	scratch_load_dwordx4 v[10:13], v8, off offset:16
	ds_read_b128 v[82:85], v9 offset:16
	s_waitcnt vmcnt(0) lgkmcnt(0)
	v_mul_f64 v[6:7], v[84:85], v[12:13]
	v_mul_f64 v[12:13], v[82:83], v[12:13]
	v_fma_f64 v[6:7], v[82:83], v[10:11], -v[6:7]
	v_fmac_f64_e32 v[12:13], v[84:85], v[10:11]
	v_add_f64 v[2:3], v[2:3], v[6:7]
	v_add_f64 v[4:5], v[4:5], v[12:13]
.LBB22_190:
	s_or_b64 exec, exec, s[8:9]
	v_mov_b32_e32 v6, 0
	ds_read_b128 v[10:13], v6 offset:32
	s_waitcnt lgkmcnt(0)
	v_mul_f64 v[6:7], v[4:5], v[12:13]
	v_mul_f64 v[84:85], v[2:3], v[12:13]
	v_fma_f64 v[82:83], v[2:3], v[10:11], -v[6:7]
	v_fmac_f64_e32 v[84:85], v[4:5], v[10:11]
	scratch_store_dwordx4 off, v[82:85], off offset:32
.LBB22_191:
	s_or_b64 exec, exec, s[6:7]
	scratch_load_dwordx4 v[2:5], v80, off
	v_cmp_gt_u32_e32 vcc, 3, v0
	s_waitcnt vmcnt(0)
	ds_write_b128 v9, v[2:5]
	s_waitcnt lgkmcnt(0)
	; wave barrier
	s_waitcnt lgkmcnt(0)
	s_and_saveexec_b64 s[6:7], vcc
	s_cbranch_execz .LBB22_199
; %bb.192:
	ds_read_b128 v[2:5], v9
	s_and_b64 vcc, exec, s[0:1]
	s_cbranch_vccnz .LBB22_194
; %bb.193:
	scratch_load_dwordx4 v[10:13], v8, off
	s_waitcnt vmcnt(0) lgkmcnt(0)
	v_mul_f64 v[6:7], v[4:5], v[12:13]
	v_mul_f64 v[12:13], v[2:3], v[12:13]
	v_fmac_f64_e32 v[12:13], v[4:5], v[10:11]
	v_fma_f64 v[2:3], v[2:3], v[10:11], -v[6:7]
	v_mov_b64_e32 v[4:5], v[12:13]
.LBB22_194:
	v_cmp_ne_u32_e32 vcc, 2, v0
	s_and_saveexec_b64 s[8:9], vcc
	s_cbranch_execz .LBB22_198
; %bb.195:
	scratch_load_dwordx4 v[10:13], v8, off offset:16
	ds_read_b128 v[82:85], v9 offset:16
	s_waitcnt vmcnt(0) lgkmcnt(0)
	v_mul_f64 v[6:7], v[84:85], v[12:13]
	v_mul_f64 v[12:13], v[82:83], v[12:13]
	v_fma_f64 v[6:7], v[82:83], v[10:11], -v[6:7]
	v_fmac_f64_e32 v[12:13], v[84:85], v[10:11]
	v_add_f64 v[2:3], v[2:3], v[6:7]
	v_add_f64 v[4:5], v[4:5], v[12:13]
	s_and_saveexec_b64 s[10:11], s[2:3]
	s_cbranch_execz .LBB22_197
; %bb.196:
	scratch_load_dwordx4 v[10:13], off, off offset:32
	v_mov_b32_e32 v6, 0
	ds_read_b128 v[82:85], v6 offset:400
	s_waitcnt vmcnt(0) lgkmcnt(0)
	v_mul_f64 v[6:7], v[82:83], v[12:13]
	v_mul_f64 v[12:13], v[84:85], v[12:13]
	v_fmac_f64_e32 v[6:7], v[84:85], v[10:11]
	v_fma_f64 v[10:11], v[82:83], v[10:11], -v[12:13]
	v_add_f64 v[4:5], v[4:5], v[6:7]
	v_add_f64 v[2:3], v[2:3], v[10:11]
.LBB22_197:
	s_or_b64 exec, exec, s[10:11]
.LBB22_198:
	s_or_b64 exec, exec, s[8:9]
	v_mov_b32_e32 v6, 0
	ds_read_b128 v[10:13], v6 offset:48
	s_waitcnt lgkmcnt(0)
	v_mul_f64 v[6:7], v[4:5], v[12:13]
	v_mul_f64 v[84:85], v[2:3], v[12:13]
	v_fma_f64 v[82:83], v[2:3], v[10:11], -v[6:7]
	v_fmac_f64_e32 v[84:85], v[4:5], v[10:11]
	scratch_store_dwordx4 off, v[82:85], off offset:48
.LBB22_199:
	s_or_b64 exec, exec, s[6:7]
	scratch_load_dwordx4 v[2:5], v78, off
	v_cmp_gt_u32_e32 vcc, 4, v0
	s_waitcnt vmcnt(0)
	ds_write_b128 v9, v[2:5]
	s_waitcnt lgkmcnt(0)
	; wave barrier
	s_waitcnt lgkmcnt(0)
	s_and_saveexec_b64 s[2:3], vcc
	s_cbranch_execz .LBB22_207
; %bb.200:
	ds_read_b128 v[2:5], v9
	s_and_b64 vcc, exec, s[0:1]
	s_cbranch_vccnz .LBB22_202
; %bb.201:
	scratch_load_dwordx4 v[10:13], v8, off
	s_waitcnt vmcnt(0) lgkmcnt(0)
	v_mul_f64 v[6:7], v[4:5], v[12:13]
	v_mul_f64 v[12:13], v[2:3], v[12:13]
	v_fmac_f64_e32 v[12:13], v[4:5], v[10:11]
	v_fma_f64 v[2:3], v[2:3], v[10:11], -v[6:7]
	v_mov_b64_e32 v[4:5], v[12:13]
.LBB22_202:
	v_cmp_ne_u32_e32 vcc, 3, v0
	s_and_saveexec_b64 s[6:7], vcc
	s_cbranch_execz .LBB22_206
; %bb.203:
	v_mov_b32_e32 v7, 0
	v_add_u32_e32 v6, 0x180, v56
	v_add3_u32 v7, v56, v7, 24
	s_mov_b64 s[8:9], 0
	v_mov_b32_e32 v10, v0
.LBB22_204:                             ; =>This Inner Loop Header: Depth=1
	v_add_u32_e32 v11, -8, v7
	scratch_load_dwordx4 v[82:85], v11, off
	ds_read_b128 v[86:89], v6
	v_add_u32_e32 v10, 1, v10
	v_cmp_lt_u32_e32 vcc, 2, v10
	v_add_u32_e32 v6, 16, v6
	v_add_u32_e32 v7, 16, v7
	s_or_b64 s[8:9], vcc, s[8:9]
	s_waitcnt vmcnt(0) lgkmcnt(0)
	v_mul_f64 v[12:13], v[88:89], v[84:85]
	v_mul_f64 v[84:85], v[86:87], v[84:85]
	v_fma_f64 v[12:13], v[86:87], v[82:83], -v[12:13]
	v_fmac_f64_e32 v[84:85], v[88:89], v[82:83]
	v_add_f64 v[2:3], v[2:3], v[12:13]
	v_add_f64 v[4:5], v[4:5], v[84:85]
	s_andn2_b64 exec, exec, s[8:9]
	s_cbranch_execnz .LBB22_204
; %bb.205:
	s_or_b64 exec, exec, s[8:9]
.LBB22_206:
	s_or_b64 exec, exec, s[6:7]
	v_mov_b32_e32 v6, 0
	ds_read_b128 v[10:13], v6 offset:64
	s_waitcnt lgkmcnt(0)
	v_mul_f64 v[6:7], v[4:5], v[12:13]
	v_mul_f64 v[84:85], v[2:3], v[12:13]
	v_fma_f64 v[82:83], v[2:3], v[10:11], -v[6:7]
	v_fmac_f64_e32 v[84:85], v[4:5], v[10:11]
	scratch_store_dwordx4 off, v[82:85], off offset:64
.LBB22_207:
	s_or_b64 exec, exec, s[2:3]
	scratch_load_dwordx4 v[2:5], v81, off
	v_cmp_gt_u32_e32 vcc, 5, v0
	s_waitcnt vmcnt(0)
	ds_write_b128 v9, v[2:5]
	s_waitcnt lgkmcnt(0)
	; wave barrier
	s_waitcnt lgkmcnt(0)
	s_and_saveexec_b64 s[2:3], vcc
	s_cbranch_execz .LBB22_215
; %bb.208:
	ds_read_b128 v[2:5], v9
	s_and_b64 vcc, exec, s[0:1]
	s_cbranch_vccnz .LBB22_210
; %bb.209:
	scratch_load_dwordx4 v[10:13], v8, off
	s_waitcnt vmcnt(0) lgkmcnt(0)
	v_mul_f64 v[6:7], v[4:5], v[12:13]
	v_mul_f64 v[12:13], v[2:3], v[12:13]
	v_fmac_f64_e32 v[12:13], v[4:5], v[10:11]
	v_fma_f64 v[2:3], v[2:3], v[10:11], -v[6:7]
	v_mov_b64_e32 v[4:5], v[12:13]
.LBB22_210:
	v_cmp_ne_u32_e32 vcc, 4, v0
	s_and_saveexec_b64 s[6:7], vcc
	s_cbranch_execz .LBB22_214
; %bb.211:
	v_mov_b32_e32 v7, 0
	v_add_u32_e32 v6, 0x180, v56
	v_add3_u32 v7, v56, v7, 24
	s_mov_b64 s[8:9], 0
	v_mov_b32_e32 v10, v0
.LBB22_212:                             ; =>This Inner Loop Header: Depth=1
	v_add_u32_e32 v11, -8, v7
	scratch_load_dwordx4 v[82:85], v11, off
	ds_read_b128 v[86:89], v6
	v_add_u32_e32 v10, 1, v10
	v_cmp_lt_u32_e32 vcc, 3, v10
	v_add_u32_e32 v6, 16, v6
	v_add_u32_e32 v7, 16, v7
	s_or_b64 s[8:9], vcc, s[8:9]
	s_waitcnt vmcnt(0) lgkmcnt(0)
	v_mul_f64 v[12:13], v[88:89], v[84:85]
	v_mul_f64 v[84:85], v[86:87], v[84:85]
	v_fma_f64 v[12:13], v[86:87], v[82:83], -v[12:13]
	v_fmac_f64_e32 v[84:85], v[88:89], v[82:83]
	v_add_f64 v[2:3], v[2:3], v[12:13]
	v_add_f64 v[4:5], v[4:5], v[84:85]
	s_andn2_b64 exec, exec, s[8:9]
	s_cbranch_execnz .LBB22_212
; %bb.213:
	s_or_b64 exec, exec, s[8:9]
.LBB22_214:
	s_or_b64 exec, exec, s[6:7]
	v_mov_b32_e32 v6, 0
	ds_read_b128 v[10:13], v6 offset:80
	s_waitcnt lgkmcnt(0)
	v_mul_f64 v[6:7], v[4:5], v[12:13]
	v_mul_f64 v[84:85], v[2:3], v[12:13]
	v_fma_f64 v[82:83], v[2:3], v[10:11], -v[6:7]
	v_fmac_f64_e32 v[84:85], v[4:5], v[10:11]
	scratch_store_dwordx4 off, v[82:85], off offset:80
.LBB22_215:
	;; [unrolled: 63-line block ×17, first 2 shown]
	s_or_b64 exec, exec, s[2:3]
	scratch_load_dwordx4 v[2:5], v1, off
	v_cmp_gt_u32_e64 s[2:3], 21, v0
	s_waitcnt vmcnt(0)
	ds_write_b128 v9, v[2:5]
	s_waitcnt lgkmcnt(0)
	; wave barrier
	s_waitcnt lgkmcnt(0)
	s_and_saveexec_b64 s[6:7], s[2:3]
	s_cbranch_execz .LBB22_343
; %bb.336:
	ds_read_b128 v[2:5], v9
	s_and_b64 vcc, exec, s[0:1]
	s_cbranch_vccnz .LBB22_338
; %bb.337:
	scratch_load_dwordx4 v[10:13], v8, off
	s_waitcnt vmcnt(0) lgkmcnt(0)
	v_mul_f64 v[6:7], v[4:5], v[12:13]
	v_mul_f64 v[12:13], v[2:3], v[12:13]
	v_fmac_f64_e32 v[12:13], v[4:5], v[10:11]
	v_fma_f64 v[2:3], v[2:3], v[10:11], -v[6:7]
	v_mov_b64_e32 v[4:5], v[12:13]
.LBB22_338:
	v_cmp_ne_u32_e32 vcc, 20, v0
	s_and_saveexec_b64 s[8:9], vcc
	s_cbranch_execz .LBB22_342
; %bb.339:
	v_mov_b32_e32 v7, 0
	v_add_u32_e32 v6, 0x180, v56
	v_add3_u32 v7, v56, v7, 24
	s_mov_b64 s[10:11], 0
	v_mov_b32_e32 v10, v0
.LBB22_340:                             ; =>This Inner Loop Header: Depth=1
	v_add_u32_e32 v11, -8, v7
	scratch_load_dwordx4 v[82:85], v11, off
	ds_read_b128 v[86:89], v6
	v_add_u32_e32 v10, 1, v10
	v_cmp_lt_u32_e32 vcc, 19, v10
	v_add_u32_e32 v6, 16, v6
	v_add_u32_e32 v7, 16, v7
	s_or_b64 s[10:11], vcc, s[10:11]
	s_waitcnt vmcnt(0) lgkmcnt(0)
	v_mul_f64 v[12:13], v[88:89], v[84:85]
	v_mul_f64 v[84:85], v[86:87], v[84:85]
	v_fma_f64 v[12:13], v[86:87], v[82:83], -v[12:13]
	v_fmac_f64_e32 v[84:85], v[88:89], v[82:83]
	v_add_f64 v[2:3], v[2:3], v[12:13]
	v_add_f64 v[4:5], v[4:5], v[84:85]
	s_andn2_b64 exec, exec, s[10:11]
	s_cbranch_execnz .LBB22_340
; %bb.341:
	s_or_b64 exec, exec, s[10:11]
.LBB22_342:
	s_or_b64 exec, exec, s[8:9]
	v_mov_b32_e32 v6, 0
	ds_read_b128 v[10:13], v6 offset:336
	s_waitcnt lgkmcnt(0)
	v_mul_f64 v[6:7], v[4:5], v[12:13]
	v_mul_f64 v[84:85], v[2:3], v[12:13]
	v_fma_f64 v[82:83], v[2:3], v[10:11], -v[6:7]
	v_fmac_f64_e32 v[84:85], v[4:5], v[10:11]
	scratch_store_dwordx4 off, v[82:85], off offset:336
.LBB22_343:
	s_or_b64 exec, exec, s[6:7]
	scratch_load_dwordx4 v[2:5], v57, off
	v_cmp_ne_u32_e32 vcc, 22, v0
                                        ; implicit-def: $vgpr6_vgpr7
                                        ; implicit-def: $vgpr10
	s_waitcnt vmcnt(0)
	ds_write_b128 v9, v[2:5]
	s_waitcnt lgkmcnt(0)
	; wave barrier
	s_waitcnt lgkmcnt(0)
	s_and_saveexec_b64 s[6:7], vcc
	s_cbranch_execz .LBB22_351
; %bb.344:
	ds_read_b128 v[2:5], v9
	s_and_b64 vcc, exec, s[0:1]
	s_cbranch_vccnz .LBB22_346
; %bb.345:
	scratch_load_dwordx4 v[6:9], v8, off
	s_waitcnt vmcnt(0) lgkmcnt(0)
	v_mul_f64 v[10:11], v[4:5], v[8:9]
	v_mul_f64 v[8:9], v[2:3], v[8:9]
	v_fmac_f64_e32 v[8:9], v[4:5], v[6:7]
	v_fma_f64 v[2:3], v[2:3], v[6:7], -v[10:11]
	v_mov_b64_e32 v[4:5], v[8:9]
.LBB22_346:
	s_and_saveexec_b64 s[0:1], s[2:3]
	s_cbranch_execz .LBB22_350
; %bb.347:
	v_mov_b32_e32 v7, 0
	v_add_u32_e32 v6, 0x180, v56
	v_add3_u32 v7, v56, v7, 24
	s_mov_b64 s[2:3], 0
.LBB22_348:                             ; =>This Inner Loop Header: Depth=1
	v_add_u32_e32 v8, -8, v7
	scratch_load_dwordx4 v[8:11], v8, off
	ds_read_b128 v[82:85], v6
	v_add_u32_e32 v0, 1, v0
	v_cmp_lt_u32_e32 vcc, 20, v0
	v_add_u32_e32 v6, 16, v6
	v_add_u32_e32 v7, 16, v7
	s_or_b64 s[2:3], vcc, s[2:3]
	s_waitcnt vmcnt(0) lgkmcnt(0)
	v_mul_f64 v[12:13], v[84:85], v[10:11]
	v_mul_f64 v[10:11], v[82:83], v[10:11]
	v_fma_f64 v[12:13], v[82:83], v[8:9], -v[12:13]
	v_fmac_f64_e32 v[10:11], v[84:85], v[8:9]
	v_add_f64 v[2:3], v[2:3], v[12:13]
	v_add_f64 v[4:5], v[4:5], v[10:11]
	s_andn2_b64 exec, exec, s[2:3]
	s_cbranch_execnz .LBB22_348
; %bb.349:
	s_or_b64 exec, exec, s[2:3]
.LBB22_350:
	s_or_b64 exec, exec, s[0:1]
	v_mov_b32_e32 v0, 0
	ds_read_b128 v[82:85], v0 offset:352
	v_mov_b32_e32 v0, 0
	v_add_u32_e32 v10, 0x168, v0
	s_or_b64 s[4:5], s[4:5], exec
	s_waitcnt lgkmcnt(0)
	v_mul_f64 v[8:9], v[4:5], v[84:85]
	v_mul_f64 v[6:7], v[2:3], v[84:85]
	v_fma_f64 v[2:3], v[2:3], v[82:83], -v[8:9]
	v_fmac_f64_e32 v[6:7], v[4:5], v[82:83]
	scratch_store_dwordx2 off, v[2:3], off offset:352
.LBB22_351:
	s_or_b64 exec, exec, s[6:7]
.LBB22_352:
	s_and_saveexec_b64 s[0:1], s[4:5]
	s_cbranch_execz .LBB22_354
; %bb.353:
	scratch_store_dwordx2 v10, v[6:7], off
.LBB22_354:
	s_or_b64 exec, exec, s[0:1]
	scratch_load_dwordx4 v[2:5], off, off
	scratch_load_dwordx4 v[6:9], v76, off
	scratch_load_dwordx4 v[10:13], v77, off
	;; [unrolled: 1-line block ×6, first 2 shown]
	s_waitcnt vmcnt(6)
	global_store_dwordx4 v[16:17], v[2:5], off
	scratch_load_dwordx4 v[2:5], v75, off
	s_nop 0
	scratch_load_dwordx4 v[76:79], v74, off
	s_waitcnt vmcnt(8)
	global_store_dwordx4 v[14:15], v[6:9], off
	scratch_load_dwordx4 v[6:9], v72, off
	s_nop 0
	scratch_load_dwordx4 v[14:17], v73, off
	;; [unrolled: 5-line block ×8, first 2 shown]
	s_waitcnt vmcnt(21)
	global_store_dwordx4 v[30:31], v[76:79], off
	s_waitcnt vmcnt(20)
	global_store_dwordx4 v[32:33], v[6:9], off
	;; [unrolled: 2-line block ×15, first 2 shown]
.LBB22_355:
	s_endpgm
	.section	.rodata,"a",@progbits
	.p2align	6, 0x0
	.amdhsa_kernel _ZN9rocsolver6v33100L18trti2_kernel_smallILi23E19rocblas_complex_numIdEPS3_EEv13rocblas_fill_17rocblas_diagonal_T1_iil
		.amdhsa_group_segment_fixed_size 736
		.amdhsa_private_segment_fixed_size 384
		.amdhsa_kernarg_size 32
		.amdhsa_user_sgpr_count 2
		.amdhsa_user_sgpr_dispatch_ptr 0
		.amdhsa_user_sgpr_queue_ptr 0
		.amdhsa_user_sgpr_kernarg_segment_ptr 1
		.amdhsa_user_sgpr_dispatch_id 0
		.amdhsa_user_sgpr_kernarg_preload_length 0
		.amdhsa_user_sgpr_kernarg_preload_offset 0
		.amdhsa_user_sgpr_private_segment_size 0
		.amdhsa_uses_dynamic_stack 0
		.amdhsa_enable_private_segment 1
		.amdhsa_system_sgpr_workgroup_id_x 1
		.amdhsa_system_sgpr_workgroup_id_y 0
		.amdhsa_system_sgpr_workgroup_id_z 0
		.amdhsa_system_sgpr_workgroup_info 0
		.amdhsa_system_vgpr_workitem_id 0
		.amdhsa_next_free_vgpr 98
		.amdhsa_next_free_sgpr 12
		.amdhsa_accum_offset 100
		.amdhsa_reserve_vcc 1
		.amdhsa_float_round_mode_32 0
		.amdhsa_float_round_mode_16_64 0
		.amdhsa_float_denorm_mode_32 3
		.amdhsa_float_denorm_mode_16_64 3
		.amdhsa_dx10_clamp 1
		.amdhsa_ieee_mode 1
		.amdhsa_fp16_overflow 0
		.amdhsa_tg_split 0
		.amdhsa_exception_fp_ieee_invalid_op 0
		.amdhsa_exception_fp_denorm_src 0
		.amdhsa_exception_fp_ieee_div_zero 0
		.amdhsa_exception_fp_ieee_overflow 0
		.amdhsa_exception_fp_ieee_underflow 0
		.amdhsa_exception_fp_ieee_inexact 0
		.amdhsa_exception_int_div_zero 0
	.end_amdhsa_kernel
	.section	.text._ZN9rocsolver6v33100L18trti2_kernel_smallILi23E19rocblas_complex_numIdEPS3_EEv13rocblas_fill_17rocblas_diagonal_T1_iil,"axG",@progbits,_ZN9rocsolver6v33100L18trti2_kernel_smallILi23E19rocblas_complex_numIdEPS3_EEv13rocblas_fill_17rocblas_diagonal_T1_iil,comdat
.Lfunc_end22:
	.size	_ZN9rocsolver6v33100L18trti2_kernel_smallILi23E19rocblas_complex_numIdEPS3_EEv13rocblas_fill_17rocblas_diagonal_T1_iil, .Lfunc_end22-_ZN9rocsolver6v33100L18trti2_kernel_smallILi23E19rocblas_complex_numIdEPS3_EEv13rocblas_fill_17rocblas_diagonal_T1_iil
                                        ; -- End function
	.section	.AMDGPU.csdata,"",@progbits
; Kernel info:
; codeLenInByte = 15012
; NumSgprs: 18
; NumVgprs: 98
; NumAgprs: 0
; TotalNumVgprs: 98
; ScratchSize: 384
; MemoryBound: 0
; FloatMode: 240
; IeeeMode: 1
; LDSByteSize: 736 bytes/workgroup (compile time only)
; SGPRBlocks: 2
; VGPRBlocks: 12
; NumSGPRsForWavesPerEU: 18
; NumVGPRsForWavesPerEU: 98
; AccumOffset: 100
; Occupancy: 4
; WaveLimiterHint : 0
; COMPUTE_PGM_RSRC2:SCRATCH_EN: 1
; COMPUTE_PGM_RSRC2:USER_SGPR: 2
; COMPUTE_PGM_RSRC2:TRAP_HANDLER: 0
; COMPUTE_PGM_RSRC2:TGID_X_EN: 1
; COMPUTE_PGM_RSRC2:TGID_Y_EN: 0
; COMPUTE_PGM_RSRC2:TGID_Z_EN: 0
; COMPUTE_PGM_RSRC2:TIDIG_COMP_CNT: 0
; COMPUTE_PGM_RSRC3_GFX90A:ACCUM_OFFSET: 24
; COMPUTE_PGM_RSRC3_GFX90A:TG_SPLIT: 0
	.section	.text._ZN9rocsolver6v33100L18trti2_kernel_smallILi24E19rocblas_complex_numIdEPS3_EEv13rocblas_fill_17rocblas_diagonal_T1_iil,"axG",@progbits,_ZN9rocsolver6v33100L18trti2_kernel_smallILi24E19rocblas_complex_numIdEPS3_EEv13rocblas_fill_17rocblas_diagonal_T1_iil,comdat
	.globl	_ZN9rocsolver6v33100L18trti2_kernel_smallILi24E19rocblas_complex_numIdEPS3_EEv13rocblas_fill_17rocblas_diagonal_T1_iil ; -- Begin function _ZN9rocsolver6v33100L18trti2_kernel_smallILi24E19rocblas_complex_numIdEPS3_EEv13rocblas_fill_17rocblas_diagonal_T1_iil
	.p2align	8
	.type	_ZN9rocsolver6v33100L18trti2_kernel_smallILi24E19rocblas_complex_numIdEPS3_EEv13rocblas_fill_17rocblas_diagonal_T1_iil,@function
_ZN9rocsolver6v33100L18trti2_kernel_smallILi24E19rocblas_complex_numIdEPS3_EEv13rocblas_fill_17rocblas_diagonal_T1_iil: ; @_ZN9rocsolver6v33100L18trti2_kernel_smallILi24E19rocblas_complex_numIdEPS3_EEv13rocblas_fill_17rocblas_diagonal_T1_iil
; %bb.0:
	v_cmp_gt_u32_e32 vcc, 24, v0
	s_and_saveexec_b64 s[4:5], vcc
	s_cbranch_execz .LBB23_371
; %bb.1:
	s_load_dwordx8 s[4:11], s[0:1], 0x0
	s_ashr_i32 s3, s2, 31
	v_lshlrev_b32_e32 v18, 4, v0
	v_mov_b32_e32 v19, 0
	v_mov_b32_e32 v1, 0
	s_waitcnt lgkmcnt(0)
	s_ashr_i32 s1, s8, 31
	s_mov_b32 s0, s8
	s_mul_i32 s8, s2, s11
	s_mul_hi_u32 s11, s2, s10
	s_add_i32 s8, s11, s8
	s_mul_i32 s3, s3, s10
	s_add_i32 s3, s8, s3
	s_mul_i32 s2, s2, s10
	s_lshl_b64 s[2:3], s[2:3], 4
	s_add_u32 s2, s6, s2
	s_addc_u32 s3, s7, s3
	s_lshl_b64 s[0:1], s[0:1], 4
	s_add_u32 s0, s2, s0
	s_addc_u32 s1, s3, s1
	s_add_i32 s6, s9, s9
	v_add_u32_e32 v10, s6, v0
	s_mov_b32 s2, s9
	s_ashr_i32 s3, s9, 31
	v_lshl_add_u64 v[16:17], s[0:1], 0, v[18:19]
	v_add_u32_e32 v20, s9, v10
	v_ashrrev_i32_e32 v11, 31, v10
	global_load_dwordx4 v[2:5], v18, s[0:1]
	v_lshl_add_u64 v[14:15], s[2:3], 4, v[16:17]
	global_load_dwordx4 v[6:9], v[14:15], off
	v_lshl_add_u64 v[38:39], v[10:11], 4, s[0:1]
	v_ashrrev_i32_e32 v21, 31, v20
	global_load_dwordx4 v[10:13], v[38:39], off
	v_lshl_add_u64 v[34:35], v[20:21], 4, s[0:1]
	global_load_dwordx4 v[44:47], v[34:35], off
	v_add_u32_e32 v20, s9, v20
	v_ashrrev_i32_e32 v21, 31, v20
	v_lshl_add_u64 v[28:29], v[20:21], 4, s[0:1]
	global_load_dwordx4 v[48:51], v[28:29], off
	v_add_u32_e32 v20, s9, v20
	v_add_u32_e32 v22, s9, v20
	v_ashrrev_i32_e32 v21, 31, v20
	v_add_u32_e32 v26, s9, v22
	v_lshl_add_u64 v[30:31], v[20:21], 4, s[0:1]
	v_ashrrev_i32_e32 v23, 31, v22
	v_add_u32_e32 v20, s9, v26
	v_lshl_add_u64 v[24:25], v[22:23], 4, s[0:1]
	v_add_u32_e32 v22, s9, v20
	v_add_u32_e32 v32, s9, v22
	;; [unrolled: 1-line block ×15, first 2 shown]
	v_ashrrev_i32_e32 v27, 31, v26
	v_ashrrev_i32_e32 v37, 31, v36
	v_lshl_add_u64 v[26:27], v[26:27], 4, s[0:1]
	v_ashrrev_i32_e32 v21, 31, v20
	v_ashrrev_i32_e32 v23, 31, v22
	v_lshl_add_u64 v[36:37], v[36:37], 4, s[0:1]
	global_load_dwordx4 v[52:55], v[30:31], off
	global_load_dwordx4 v[56:59], v[24:25], off
	v_lshl_add_u64 v[20:21], v[20:21], 4, s[0:1]
	global_load_dwordx4 v[60:63], v[26:27], off
	global_load_dwordx4 v[64:67], v[20:21], off
	v_lshl_add_u64 v[22:23], v[22:23], 4, s[0:1]
	v_ashrrev_i32_e32 v33, 31, v32
	v_ashrrev_i32_e32 v41, 31, v40
	global_load_dwordx4 v[68:71], v[36:37], off
	v_lshl_add_u64 v[32:33], v[32:33], 4, s[0:1]
	v_lshl_add_u64 v[40:41], v[40:41], 4, s[0:1]
	v_ashrrev_i32_e32 v43, 31, v42
	v_lshl_add_u64 v[42:43], v[42:43], 4, s[0:1]
	v_ashrrev_i32_e32 v77, 31, v76
	v_ashrrev_i32_e32 v81, 31, v80
	;; [unrolled: 1-line block ×10, first 2 shown]
	s_cmpk_lg_i32 s5, 0x84
	s_cselect_b64 s[6:7], -1, 0
	s_cmpk_eq_i32 s5, 0x84
	s_waitcnt vmcnt(9)
	scratch_store_dwordx4 off, v[2:5], off
	s_waitcnt vmcnt(9)
	scratch_store_dwordx4 off, v[6:9], off offset:16
	global_load_dwordx4 v[2:5], v[22:23], off
	s_nop 0
	global_load_dwordx4 v[6:9], v[32:33], off
	s_waitcnt vmcnt(11)
	scratch_store_dwordx4 off, v[10:13], off offset:32
	s_waitcnt vmcnt(11)
	scratch_store_dwordx4 off, v[44:47], off offset:48
	global_load_dwordx4 v[10:13], v[40:41], off
	global_load_dwordx4 v[72:75], v[42:43], off
	v_lshl_add_u64 v[44:45], v[76:77], 4, s[0:1]
	global_load_dwordx4 v[76:79], v[44:45], off
	v_lshl_add_u64 v[46:47], v[80:81], 4, s[0:1]
	global_load_dwordx4 v[80:83], v[46:47], off
	s_waitcnt vmcnt(15)
	scratch_store_dwordx4 off, v[48:51], off offset:64
	s_waitcnt vmcnt(15)
	scratch_store_dwordx4 off, v[52:55], off offset:80
	v_lshl_add_u64 v[48:49], v[84:85], 4, s[0:1]
	s_nop 0
	v_lshl_add_u64 v[52:53], v[88:89], 4, s[0:1]
	v_lshl_add_u64 v[50:51], v[86:87], 4, s[0:1]
	v_lshl_add_u64 v[54:55], v[90:91], 4, s[0:1]
	s_waitcnt vmcnt(15)
	scratch_store_dwordx4 off, v[56:59], off offset:96
	s_waitcnt vmcnt(15)
	scratch_store_dwordx4 off, v[60:63], off offset:112
	;; [unrolled: 2-line block ×8, first 2 shown]
	v_lshl_add_u64 v[56:57], v[92:93], 4, s[0:1]
	v_lshl_add_u64 v[60:61], v[96:97], 4, s[0:1]
	;; [unrolled: 1-line block ×3, first 2 shown]
	global_load_dwordx4 v[2:5], v[48:49], off
	global_load_dwordx4 v[6:9], v[50:51], off
	;; [unrolled: 1-line block ×4, first 2 shown]
	v_lshl_add_u64 v[58:59], v[94:95], 4, s[0:1]
	global_load_dwordx4 v[72:75], v[56:57], off
	global_load_dwordx4 v[76:79], v[58:59], off
	;; [unrolled: 1-line block ×4, first 2 shown]
	s_waitcnt vmcnt(18)
	scratch_store_dwordx4 off, v[80:83], off offset:224
	s_waitcnt vmcnt(8)
	scratch_store_dwordx4 off, v[2:5], off offset:240
	;; [unrolled: 2-line block ×8, first 2 shown]
	scratch_store_dwordx4 off, v[68:71], off offset:368
	s_waitcnt vmcnt(9)
	scratch_store_dwordx4 off, v[88:91], off offset:352
	s_cbranch_scc1 .LBB23_7
; %bb.2:
	scratch_load_dwordx4 v[2:5], v18, off
                                        ; implicit-def: $vgpr10_vgpr11
	s_waitcnt vmcnt(0)
	v_xor_b32_e32 v7, 0x80000000, v3
	v_cmp_gt_f64_e32 vcc, 0, v[2:3]
	v_xor_b32_e32 v8, 0x80000000, v5
	v_mov_b32_e32 v6, v2
	v_cndmask_b32_e32 v7, v3, v7, vcc
	v_cmp_gt_f64_e32 vcc, 0, v[4:5]
	s_nop 1
	v_cndmask_b32_e32 v9, v5, v8, vcc
	v_mov_b32_e32 v8, v4
	v_cmp_ngt_f64_e32 vcc, v[6:7], v[8:9]
                                        ; implicit-def: $vgpr6_vgpr7
	s_and_saveexec_b64 s[0:1], vcc
	s_xor_b64 s[0:1], exec, s[0:1]
	s_cbranch_execz .LBB23_4
; %bb.3:
	v_div_scale_f64 v[6:7], s[2:3], v[4:5], v[4:5], v[2:3]
	v_rcp_f64_e32 v[8:9], v[6:7]
	v_div_scale_f64 v[10:11], vcc, v[2:3], v[4:5], v[2:3]
	v_fma_f64 v[12:13], -v[6:7], v[8:9], 1.0
	v_fmac_f64_e32 v[8:9], v[8:9], v[12:13]
	v_fma_f64 v[12:13], -v[6:7], v[8:9], 1.0
	v_fmac_f64_e32 v[8:9], v[8:9], v[12:13]
	v_mul_f64 v[12:13], v[10:11], v[8:9]
	v_fma_f64 v[6:7], -v[6:7], v[12:13], v[10:11]
	v_div_fmas_f64 v[6:7], v[6:7], v[8:9], v[12:13]
	v_div_fixup_f64 v[6:7], v[6:7], v[4:5], v[2:3]
	v_fmac_f64_e32 v[4:5], v[2:3], v[6:7]
	v_div_scale_f64 v[2:3], s[2:3], v[4:5], v[4:5], 1.0
	v_rcp_f64_e32 v[8:9], v[2:3]
	s_nop 0
	v_fma_f64 v[10:11], -v[2:3], v[8:9], 1.0
	v_fmac_f64_e32 v[8:9], v[8:9], v[10:11]
	v_fma_f64 v[10:11], -v[2:3], v[8:9], 1.0
	v_fmac_f64_e32 v[8:9], v[8:9], v[10:11]
	v_div_scale_f64 v[10:11], vcc, 1.0, v[4:5], 1.0
	v_mul_f64 v[12:13], v[10:11], v[8:9]
	v_fma_f64 v[2:3], -v[2:3], v[12:13], v[10:11]
	s_nop 1
	v_div_fmas_f64 v[2:3], v[2:3], v[8:9], v[12:13]
	v_div_fixup_f64 v[8:9], v[2:3], v[4:5], 1.0
	v_mul_f64 v[6:7], v[6:7], v[8:9]
	v_xor_b32_e32 v9, 0x80000000, v9
	v_xor_b32_e32 v11, 0x80000000, v7
	v_mov_b32_e32 v10, v6
                                        ; implicit-def: $vgpr2_vgpr3
.LBB23_4:
	s_or_saveexec_b64 s[0:1], s[0:1]
	v_add_u32_e32 v12, 0, v18
	s_xor_b64 exec, exec, s[0:1]
	s_cbranch_execz .LBB23_6
; %bb.5:
	v_div_scale_f64 v[6:7], s[2:3], v[2:3], v[2:3], v[4:5]
	v_rcp_f64_e32 v[8:9], v[6:7]
	v_div_scale_f64 v[10:11], vcc, v[4:5], v[2:3], v[4:5]
	v_fma_f64 v[64:65], -v[6:7], v[8:9], 1.0
	v_fmac_f64_e32 v[8:9], v[8:9], v[64:65]
	v_fma_f64 v[64:65], -v[6:7], v[8:9], 1.0
	v_fmac_f64_e32 v[8:9], v[8:9], v[64:65]
	v_mul_f64 v[64:65], v[10:11], v[8:9]
	v_fma_f64 v[6:7], -v[6:7], v[64:65], v[10:11]
	v_div_fmas_f64 v[6:7], v[6:7], v[8:9], v[64:65]
	v_div_fixup_f64 v[8:9], v[6:7], v[2:3], v[4:5]
	v_fmac_f64_e32 v[2:3], v[4:5], v[8:9]
	v_div_scale_f64 v[4:5], s[2:3], v[2:3], v[2:3], 1.0
	v_rcp_f64_e32 v[6:7], v[4:5]
	s_nop 0
	v_fma_f64 v[10:11], -v[4:5], v[6:7], 1.0
	v_fmac_f64_e32 v[6:7], v[6:7], v[10:11]
	v_fma_f64 v[10:11], -v[4:5], v[6:7], 1.0
	v_fmac_f64_e32 v[6:7], v[6:7], v[10:11]
	v_div_scale_f64 v[10:11], vcc, 1.0, v[2:3], 1.0
	v_mul_f64 v[64:65], v[10:11], v[6:7]
	v_fma_f64 v[4:5], -v[4:5], v[64:65], v[10:11]
	s_nop 1
	v_div_fmas_f64 v[4:5], v[4:5], v[6:7], v[64:65]
	v_div_fixup_f64 v[6:7], v[4:5], v[2:3], 1.0
	v_xor_b32_e32 v11, 0x80000000, v7
	v_mov_b32_e32 v10, v6
	v_mul_f64 v[8:9], v[8:9], -v[6:7]
.LBB23_6:
	s_or_b64 exec, exec, s[0:1]
	scratch_store_dwordx4 v12, v[6:9], off
	s_nop 1
	v_xor_b32_e32 v9, 0x80000000, v9
	s_branch .LBB23_8
.LBB23_7:
	v_mov_b64_e32 v[8:9], 0
	v_mov_b64_e32 v[10:11], -1.0
.LBB23_8:
	v_add_u32_e32 v82, 16, v1
	v_add_u32_e32 v80, 32, v1
	;; [unrolled: 1-line block ×23, first 2 shown]
	v_mov_b32_e32 v12, v8
	v_mov_b32_e32 v13, v9
	s_cmpk_eq_i32 s4, 0x79
	v_add_u32_e32 v9, 0x180, v18
	v_add_u32_e32 v8, 0, v18
	ds_write_b128 v18, v[10:13]
	s_cbranch_scc1 .LBB23_188
; %bb.9:
	scratch_load_dwordx4 v[2:5], v19, off
	v_cmp_eq_u32_e64 s[0:1], 23, v0
	s_waitcnt vmcnt(0)
	ds_write_b128 v9, v[2:5]
	s_waitcnt lgkmcnt(0)
	; wave barrier
	s_waitcnt lgkmcnt(0)
	s_and_saveexec_b64 s[2:3], s[0:1]
	s_cbranch_execz .LBB23_13
; %bb.10:
	ds_read_b128 v[2:5], v9
	s_andn2_b64 vcc, exec, s[6:7]
	s_cbranch_vccnz .LBB23_12
; %bb.11:
	scratch_load_dwordx4 v[10:13], v8, off
	s_waitcnt vmcnt(0) lgkmcnt(0)
	v_mul_f64 v[6:7], v[4:5], v[12:13]
	v_mul_f64 v[12:13], v[2:3], v[12:13]
	v_fmac_f64_e32 v[12:13], v[4:5], v[10:11]
	v_fma_f64 v[2:3], v[2:3], v[10:11], -v[6:7]
	v_mov_b64_e32 v[4:5], v[12:13]
.LBB23_12:
	v_mov_b32_e32 v6, 0
	ds_read_b128 v[10:13], v6 offset:352
	s_waitcnt lgkmcnt(0)
	v_mul_f64 v[6:7], v[4:5], v[12:13]
	v_mul_f64 v[88:89], v[2:3], v[12:13]
	v_fma_f64 v[86:87], v[2:3], v[10:11], -v[6:7]
	v_fmac_f64_e32 v[88:89], v[4:5], v[10:11]
	scratch_store_dwordx4 off, v[86:89], off offset:352
.LBB23_13:
	s_or_b64 exec, exec, s[2:3]
	scratch_load_dwordx4 v[2:5], v64, off
	v_cmp_lt_u32_e64 s[2:3], 21, v0
	s_waitcnt vmcnt(0)
	ds_write_b128 v9, v[2:5]
	s_waitcnt lgkmcnt(0)
	; wave barrier
	s_waitcnt lgkmcnt(0)
	s_and_saveexec_b64 s[4:5], s[2:3]
	s_cbranch_execz .LBB23_19
; %bb.14:
	ds_read_b128 v[2:5], v9
	s_andn2_b64 vcc, exec, s[6:7]
	s_cbranch_vccnz .LBB23_16
; %bb.15:
	scratch_load_dwordx4 v[10:13], v8, off
	s_waitcnt vmcnt(0) lgkmcnt(0)
	v_mul_f64 v[6:7], v[4:5], v[12:13]
	v_mul_f64 v[12:13], v[2:3], v[12:13]
	v_fmac_f64_e32 v[12:13], v[4:5], v[10:11]
	v_fma_f64 v[2:3], v[2:3], v[10:11], -v[6:7]
	v_mov_b64_e32 v[4:5], v[12:13]
.LBB23_16:
	s_and_saveexec_b64 s[8:9], s[0:1]
	s_cbranch_execz .LBB23_18
; %bb.17:
	scratch_load_dwordx4 v[10:13], off, off offset:352
	v_mov_b32_e32 v6, 0
	ds_read_b128 v[86:89], v6 offset:736
	s_waitcnt vmcnt(0) lgkmcnt(0)
	v_mul_f64 v[6:7], v[86:87], v[12:13]
	v_mul_f64 v[12:13], v[88:89], v[12:13]
	v_fmac_f64_e32 v[6:7], v[88:89], v[10:11]
	v_fma_f64 v[10:11], v[86:87], v[10:11], -v[12:13]
	v_add_f64 v[4:5], v[4:5], v[6:7]
	v_add_f64 v[2:3], v[2:3], v[10:11]
.LBB23_18:
	s_or_b64 exec, exec, s[8:9]
	v_mov_b32_e32 v6, 0
	ds_read_b128 v[10:13], v6 offset:336
	s_waitcnt lgkmcnt(0)
	v_mul_f64 v[6:7], v[4:5], v[12:13]
	v_mul_f64 v[88:89], v[2:3], v[12:13]
	v_fma_f64 v[86:87], v[2:3], v[10:11], -v[6:7]
	v_fmac_f64_e32 v[88:89], v[4:5], v[10:11]
	scratch_store_dwordx4 off, v[86:89], off offset:336
.LBB23_19:
	s_or_b64 exec, exec, s[4:5]
	scratch_load_dwordx4 v[2:5], v65, off
	v_cmp_lt_u32_e64 s[0:1], 20, v0
	s_waitcnt vmcnt(0)
	ds_write_b128 v9, v[2:5]
	s_waitcnt lgkmcnt(0)
	; wave barrier
	s_waitcnt lgkmcnt(0)
	s_and_saveexec_b64 s[4:5], s[0:1]
	s_cbranch_execz .LBB23_27
; %bb.20:
	ds_read_b128 v[2:5], v9
	s_andn2_b64 vcc, exec, s[6:7]
	s_cbranch_vccnz .LBB23_22
; %bb.21:
	scratch_load_dwordx4 v[10:13], v8, off
	s_waitcnt vmcnt(0) lgkmcnt(0)
	v_mul_f64 v[6:7], v[4:5], v[12:13]
	v_mul_f64 v[12:13], v[2:3], v[12:13]
	v_fmac_f64_e32 v[12:13], v[4:5], v[10:11]
	v_fma_f64 v[2:3], v[2:3], v[10:11], -v[6:7]
	v_mov_b64_e32 v[4:5], v[12:13]
.LBB23_22:
	s_and_saveexec_b64 s[8:9], s[2:3]
	s_cbranch_execz .LBB23_26
; %bb.23:
	v_mov_b32_e32 v7, 0
	v_subrev_u32_e32 v6, 21, v0
	v_add_u32_e32 v7, 0x158, v7
	s_movk_i32 s10, 0x2d0
	s_mov_b64 s[2:3], 0
.LBB23_24:                              ; =>This Inner Loop Header: Depth=1
	v_add_u32_e32 v10, -8, v7
	scratch_load_dwordx4 v[10:13], v10, off
	v_mov_b32_e32 v85, s10
	ds_read_b128 v[86:89], v85
	v_add_u32_e32 v6, -1, v6
	s_add_i32 s10, s10, 16
	v_cmp_eq_u32_e32 vcc, 0, v6
	v_add_u32_e32 v7, 16, v7
	s_or_b64 s[2:3], vcc, s[2:3]
	s_waitcnt vmcnt(0) lgkmcnt(0)
	v_mul_f64 v[90:91], v[88:89], v[12:13]
	v_mul_f64 v[12:13], v[86:87], v[12:13]
	v_fma_f64 v[86:87], v[86:87], v[10:11], -v[90:91]
	v_fmac_f64_e32 v[12:13], v[88:89], v[10:11]
	v_add_f64 v[2:3], v[2:3], v[86:87]
	v_add_f64 v[4:5], v[4:5], v[12:13]
	s_andn2_b64 exec, exec, s[2:3]
	s_cbranch_execnz .LBB23_24
; %bb.25:
	s_or_b64 exec, exec, s[2:3]
.LBB23_26:
	s_or_b64 exec, exec, s[8:9]
	v_mov_b32_e32 v6, 0
	ds_read_b128 v[10:13], v6 offset:320
	s_waitcnt lgkmcnt(0)
	v_mul_f64 v[6:7], v[4:5], v[12:13]
	v_mul_f64 v[88:89], v[2:3], v[12:13]
	v_fma_f64 v[86:87], v[2:3], v[10:11], -v[6:7]
	v_fmac_f64_e32 v[88:89], v[4:5], v[10:11]
	scratch_store_dwordx4 off, v[86:89], off offset:320
.LBB23_27:
	s_or_b64 exec, exec, s[4:5]
	scratch_load_dwordx4 v[2:5], v66, off
	v_cmp_lt_u32_e64 s[2:3], 19, v0
	s_waitcnt vmcnt(0)
	ds_write_b128 v9, v[2:5]
	s_waitcnt lgkmcnt(0)
	; wave barrier
	s_waitcnt lgkmcnt(0)
	s_and_saveexec_b64 s[4:5], s[2:3]
	s_cbranch_execz .LBB23_35
; %bb.28:
	ds_read_b128 v[2:5], v9
	s_andn2_b64 vcc, exec, s[6:7]
	s_cbranch_vccnz .LBB23_30
; %bb.29:
	scratch_load_dwordx4 v[10:13], v8, off
	s_waitcnt vmcnt(0) lgkmcnt(0)
	v_mul_f64 v[6:7], v[4:5], v[12:13]
	v_mul_f64 v[12:13], v[2:3], v[12:13]
	v_fmac_f64_e32 v[12:13], v[4:5], v[10:11]
	v_fma_f64 v[2:3], v[2:3], v[10:11], -v[6:7]
	v_mov_b64_e32 v[4:5], v[12:13]
.LBB23_30:
	s_and_saveexec_b64 s[8:9], s[0:1]
	s_cbranch_execz .LBB23_34
; %bb.31:
	v_mov_b32_e32 v7, 0
	v_subrev_u32_e32 v6, 20, v0
	v_add_u32_e32 v7, 0x148, v7
	s_movk_i32 s10, 0x2c0
	s_mov_b64 s[0:1], 0
.LBB23_32:                              ; =>This Inner Loop Header: Depth=1
	v_add_u32_e32 v10, -8, v7
	scratch_load_dwordx4 v[10:13], v10, off
	v_mov_b32_e32 v85, s10
	ds_read_b128 v[86:89], v85
	v_add_u32_e32 v6, -1, v6
	s_add_i32 s10, s10, 16
	v_cmp_eq_u32_e32 vcc, 0, v6
	v_add_u32_e32 v7, 16, v7
	s_or_b64 s[0:1], vcc, s[0:1]
	s_waitcnt vmcnt(0) lgkmcnt(0)
	v_mul_f64 v[90:91], v[88:89], v[12:13]
	v_mul_f64 v[12:13], v[86:87], v[12:13]
	v_fma_f64 v[86:87], v[86:87], v[10:11], -v[90:91]
	v_fmac_f64_e32 v[12:13], v[88:89], v[10:11]
	v_add_f64 v[2:3], v[2:3], v[86:87]
	v_add_f64 v[4:5], v[4:5], v[12:13]
	s_andn2_b64 exec, exec, s[0:1]
	s_cbranch_execnz .LBB23_32
; %bb.33:
	s_or_b64 exec, exec, s[0:1]
.LBB23_34:
	s_or_b64 exec, exec, s[8:9]
	v_mov_b32_e32 v6, 0
	ds_read_b128 v[10:13], v6 offset:304
	s_waitcnt lgkmcnt(0)
	v_mul_f64 v[6:7], v[4:5], v[12:13]
	v_mul_f64 v[88:89], v[2:3], v[12:13]
	v_fma_f64 v[86:87], v[2:3], v[10:11], -v[6:7]
	v_fmac_f64_e32 v[88:89], v[4:5], v[10:11]
	scratch_store_dwordx4 off, v[86:89], off offset:304
.LBB23_35:
	;; [unrolled: 63-line block ×5, first 2 shown]
	s_or_b64 exec, exec, s[4:5]
	scratch_load_dwordx4 v[2:5], v71, off
	v_cmp_lt_u32_e64 s[2:3], 15, v0
	s_waitcnt vmcnt(0)
	ds_write_b128 v9, v[2:5]
	s_waitcnt lgkmcnt(0)
	; wave barrier
	s_waitcnt lgkmcnt(0)
	s_and_saveexec_b64 s[4:5], s[2:3]
	s_cbranch_execz .LBB23_67
; %bb.60:
	ds_read_b128 v[2:5], v9
	s_andn2_b64 vcc, exec, s[6:7]
	s_cbranch_vccnz .LBB23_62
; %bb.61:
	scratch_load_dwordx4 v[10:13], v8, off
	s_waitcnt vmcnt(0) lgkmcnt(0)
	v_mul_f64 v[6:7], v[4:5], v[12:13]
	v_mul_f64 v[12:13], v[2:3], v[12:13]
	v_fmac_f64_e32 v[12:13], v[4:5], v[10:11]
	v_fma_f64 v[2:3], v[2:3], v[10:11], -v[6:7]
	v_mov_b64_e32 v[4:5], v[12:13]
.LBB23_62:
	s_and_saveexec_b64 s[8:9], s[0:1]
	s_cbranch_execz .LBB23_66
; %bb.63:
	v_mov_b32_e32 v7, 0
	v_add_u32_e32 v6, -16, v0
	v_add_u32_e32 v7, 0x108, v7
	s_movk_i32 s10, 0x280
	s_mov_b64 s[0:1], 0
.LBB23_64:                              ; =>This Inner Loop Header: Depth=1
	v_add_u32_e32 v10, -8, v7
	scratch_load_dwordx4 v[10:13], v10, off
	v_mov_b32_e32 v85, s10
	ds_read_b128 v[86:89], v85
	v_add_u32_e32 v6, -1, v6
	s_add_i32 s10, s10, 16
	v_cmp_eq_u32_e32 vcc, 0, v6
	v_add_u32_e32 v7, 16, v7
	s_or_b64 s[0:1], vcc, s[0:1]
	s_waitcnt vmcnt(0) lgkmcnt(0)
	v_mul_f64 v[90:91], v[88:89], v[12:13]
	v_mul_f64 v[12:13], v[86:87], v[12:13]
	v_fma_f64 v[86:87], v[86:87], v[10:11], -v[90:91]
	v_fmac_f64_e32 v[12:13], v[88:89], v[10:11]
	v_add_f64 v[2:3], v[2:3], v[86:87]
	v_add_f64 v[4:5], v[4:5], v[12:13]
	s_andn2_b64 exec, exec, s[0:1]
	s_cbranch_execnz .LBB23_64
; %bb.65:
	s_or_b64 exec, exec, s[0:1]
.LBB23_66:
	s_or_b64 exec, exec, s[8:9]
	v_mov_b32_e32 v6, 0
	ds_read_b128 v[10:13], v6 offset:240
	s_waitcnt lgkmcnt(0)
	v_mul_f64 v[6:7], v[4:5], v[12:13]
	v_mul_f64 v[88:89], v[2:3], v[12:13]
	v_fma_f64 v[86:87], v[2:3], v[10:11], -v[6:7]
	v_fmac_f64_e32 v[88:89], v[4:5], v[10:11]
	scratch_store_dwordx4 off, v[86:89], off offset:240
.LBB23_67:
	s_or_b64 exec, exec, s[4:5]
	scratch_load_dwordx4 v[2:5], v70, off
	v_cmp_lt_u32_e64 s[0:1], 14, v0
	s_waitcnt vmcnt(0)
	ds_write_b128 v9, v[2:5]
	s_waitcnt lgkmcnt(0)
	; wave barrier
	s_waitcnt lgkmcnt(0)
	s_and_saveexec_b64 s[4:5], s[0:1]
	s_cbranch_execz .LBB23_75
; %bb.68:
	ds_read_b128 v[2:5], v9
	s_andn2_b64 vcc, exec, s[6:7]
	s_cbranch_vccnz .LBB23_70
; %bb.69:
	scratch_load_dwordx4 v[10:13], v8, off
	s_waitcnt vmcnt(0) lgkmcnt(0)
	v_mul_f64 v[6:7], v[4:5], v[12:13]
	v_mul_f64 v[12:13], v[2:3], v[12:13]
	v_fmac_f64_e32 v[12:13], v[4:5], v[10:11]
	v_fma_f64 v[2:3], v[2:3], v[10:11], -v[6:7]
	v_mov_b64_e32 v[4:5], v[12:13]
.LBB23_70:
	s_and_saveexec_b64 s[8:9], s[2:3]
	s_cbranch_execz .LBB23_74
; %bb.71:
	v_mov_b32_e32 v7, 0
	v_add_u32_e32 v6, -15, v0
	v_add_u32_e32 v7, 0xf8, v7
	s_movk_i32 s10, 0x270
	s_mov_b64 s[2:3], 0
.LBB23_72:                              ; =>This Inner Loop Header: Depth=1
	v_add_u32_e32 v10, -8, v7
	scratch_load_dwordx4 v[10:13], v10, off
	v_mov_b32_e32 v85, s10
	ds_read_b128 v[86:89], v85
	v_add_u32_e32 v6, -1, v6
	s_add_i32 s10, s10, 16
	v_cmp_eq_u32_e32 vcc, 0, v6
	v_add_u32_e32 v7, 16, v7
	s_or_b64 s[2:3], vcc, s[2:3]
	s_waitcnt vmcnt(0) lgkmcnt(0)
	v_mul_f64 v[90:91], v[88:89], v[12:13]
	v_mul_f64 v[12:13], v[86:87], v[12:13]
	v_fma_f64 v[86:87], v[86:87], v[10:11], -v[90:91]
	v_fmac_f64_e32 v[12:13], v[88:89], v[10:11]
	v_add_f64 v[2:3], v[2:3], v[86:87]
	v_add_f64 v[4:5], v[4:5], v[12:13]
	s_andn2_b64 exec, exec, s[2:3]
	s_cbranch_execnz .LBB23_72
; %bb.73:
	s_or_b64 exec, exec, s[2:3]
.LBB23_74:
	s_or_b64 exec, exec, s[8:9]
	v_mov_b32_e32 v6, 0
	ds_read_b128 v[10:13], v6 offset:224
	s_waitcnt lgkmcnt(0)
	v_mul_f64 v[6:7], v[4:5], v[12:13]
	v_mul_f64 v[88:89], v[2:3], v[12:13]
	v_fma_f64 v[86:87], v[2:3], v[10:11], -v[6:7]
	v_fmac_f64_e32 v[88:89], v[4:5], v[10:11]
	scratch_store_dwordx4 off, v[86:89], off offset:224
.LBB23_75:
	;; [unrolled: 63-line block ×5, first 2 shown]
	s_or_b64 exec, exec, s[4:5]
	scratch_load_dwordx4 v[2:5], v74, off
	v_cmp_lt_u32_e64 s[0:1], 10, v0
	s_waitcnt vmcnt(0)
	ds_write_b128 v9, v[2:5]
	s_waitcnt lgkmcnt(0)
	; wave barrier
	s_waitcnt lgkmcnt(0)
	s_and_saveexec_b64 s[4:5], s[0:1]
	s_cbranch_execz .LBB23_107
; %bb.100:
	ds_read_b128 v[2:5], v9
	s_andn2_b64 vcc, exec, s[6:7]
	s_cbranch_vccnz .LBB23_102
; %bb.101:
	scratch_load_dwordx4 v[10:13], v8, off
	s_waitcnt vmcnt(0) lgkmcnt(0)
	v_mul_f64 v[6:7], v[4:5], v[12:13]
	v_mul_f64 v[12:13], v[2:3], v[12:13]
	v_fmac_f64_e32 v[12:13], v[4:5], v[10:11]
	v_fma_f64 v[2:3], v[2:3], v[10:11], -v[6:7]
	v_mov_b64_e32 v[4:5], v[12:13]
.LBB23_102:
	s_and_saveexec_b64 s[8:9], s[2:3]
	s_cbranch_execz .LBB23_106
; %bb.103:
	v_mov_b32_e32 v7, 0
	v_add_u32_e32 v6, -11, v0
	v_add_u32_e32 v7, 0xb8, v7
	s_movk_i32 s10, 0x230
	s_mov_b64 s[2:3], 0
.LBB23_104:                             ; =>This Inner Loop Header: Depth=1
	v_add_u32_e32 v10, -8, v7
	scratch_load_dwordx4 v[10:13], v10, off
	v_mov_b32_e32 v85, s10
	ds_read_b128 v[86:89], v85
	v_add_u32_e32 v6, -1, v6
	s_add_i32 s10, s10, 16
	v_cmp_eq_u32_e32 vcc, 0, v6
	v_add_u32_e32 v7, 16, v7
	s_or_b64 s[2:3], vcc, s[2:3]
	s_waitcnt vmcnt(0) lgkmcnt(0)
	v_mul_f64 v[90:91], v[88:89], v[12:13]
	v_mul_f64 v[12:13], v[86:87], v[12:13]
	v_fma_f64 v[86:87], v[86:87], v[10:11], -v[90:91]
	v_fmac_f64_e32 v[12:13], v[88:89], v[10:11]
	v_add_f64 v[2:3], v[2:3], v[86:87]
	v_add_f64 v[4:5], v[4:5], v[12:13]
	s_andn2_b64 exec, exec, s[2:3]
	s_cbranch_execnz .LBB23_104
; %bb.105:
	s_or_b64 exec, exec, s[2:3]
.LBB23_106:
	s_or_b64 exec, exec, s[8:9]
	v_mov_b32_e32 v6, 0
	ds_read_b128 v[10:13], v6 offset:160
	s_waitcnt lgkmcnt(0)
	v_mul_f64 v[6:7], v[4:5], v[12:13]
	v_mul_f64 v[88:89], v[2:3], v[12:13]
	v_fma_f64 v[86:87], v[2:3], v[10:11], -v[6:7]
	v_fmac_f64_e32 v[88:89], v[4:5], v[10:11]
	scratch_store_dwordx4 off, v[86:89], off offset:160
.LBB23_107:
	s_or_b64 exec, exec, s[4:5]
	scratch_load_dwordx4 v[2:5], v76, off
	v_cmp_lt_u32_e64 s[2:3], 9, v0
	s_waitcnt vmcnt(0)
	ds_write_b128 v9, v[2:5]
	s_waitcnt lgkmcnt(0)
	; wave barrier
	s_waitcnt lgkmcnt(0)
	s_and_saveexec_b64 s[4:5], s[2:3]
	s_cbranch_execz .LBB23_115
; %bb.108:
	ds_read_b128 v[2:5], v9
	s_andn2_b64 vcc, exec, s[6:7]
	s_cbranch_vccnz .LBB23_110
; %bb.109:
	scratch_load_dwordx4 v[10:13], v8, off
	s_waitcnt vmcnt(0) lgkmcnt(0)
	v_mul_f64 v[6:7], v[4:5], v[12:13]
	v_mul_f64 v[12:13], v[2:3], v[12:13]
	v_fmac_f64_e32 v[12:13], v[4:5], v[10:11]
	v_fma_f64 v[2:3], v[2:3], v[10:11], -v[6:7]
	v_mov_b64_e32 v[4:5], v[12:13]
.LBB23_110:
	s_and_saveexec_b64 s[8:9], s[0:1]
	s_cbranch_execz .LBB23_114
; %bb.111:
	v_mov_b32_e32 v7, 0
	v_add_u32_e32 v6, -10, v0
	v_add_u32_e32 v7, 0xa8, v7
	s_movk_i32 s10, 0x220
	s_mov_b64 s[0:1], 0
.LBB23_112:                             ; =>This Inner Loop Header: Depth=1
	v_add_u32_e32 v10, -8, v7
	scratch_load_dwordx4 v[10:13], v10, off
	v_mov_b32_e32 v85, s10
	ds_read_b128 v[86:89], v85
	v_add_u32_e32 v6, -1, v6
	s_add_i32 s10, s10, 16
	v_cmp_eq_u32_e32 vcc, 0, v6
	v_add_u32_e32 v7, 16, v7
	s_or_b64 s[0:1], vcc, s[0:1]
	s_waitcnt vmcnt(0) lgkmcnt(0)
	v_mul_f64 v[90:91], v[88:89], v[12:13]
	v_mul_f64 v[12:13], v[86:87], v[12:13]
	v_fma_f64 v[86:87], v[86:87], v[10:11], -v[90:91]
	v_fmac_f64_e32 v[12:13], v[88:89], v[10:11]
	v_add_f64 v[2:3], v[2:3], v[86:87]
	v_add_f64 v[4:5], v[4:5], v[12:13]
	s_andn2_b64 exec, exec, s[0:1]
	s_cbranch_execnz .LBB23_112
; %bb.113:
	s_or_b64 exec, exec, s[0:1]
.LBB23_114:
	s_or_b64 exec, exec, s[8:9]
	v_mov_b32_e32 v6, 0
	ds_read_b128 v[10:13], v6 offset:144
	s_waitcnt lgkmcnt(0)
	v_mul_f64 v[6:7], v[4:5], v[12:13]
	v_mul_f64 v[88:89], v[2:3], v[12:13]
	v_fma_f64 v[86:87], v[2:3], v[10:11], -v[6:7]
	v_fmac_f64_e32 v[88:89], v[4:5], v[10:11]
	scratch_store_dwordx4 off, v[86:89], off offset:144
.LBB23_115:
	;; [unrolled: 63-line block ×10, first 2 shown]
	s_or_b64 exec, exec, s[2:3]
	scratch_load_dwordx4 v[2:5], off, off
	v_cmp_ne_u32_e32 vcc, 0, v0
	s_mov_b64 s[2:3], 0
	s_mov_b64 s[4:5], 0
                                        ; implicit-def: $vgpr6_vgpr7
                                        ; implicit-def: $vgpr10
	s_waitcnt vmcnt(0)
	ds_write_b128 v9, v[2:5]
	s_waitcnt lgkmcnt(0)
	; wave barrier
	s_waitcnt lgkmcnt(0)
	s_and_saveexec_b64 s[8:9], vcc
	s_cbranch_execz .LBB23_187
; %bb.180:
	ds_read_b128 v[2:5], v9
	s_andn2_b64 vcc, exec, s[6:7]
	s_cbranch_vccnz .LBB23_182
; %bb.181:
	scratch_load_dwordx4 v[10:13], v8, off
	s_waitcnt vmcnt(0) lgkmcnt(0)
	v_mul_f64 v[6:7], v[4:5], v[12:13]
	v_mul_f64 v[12:13], v[2:3], v[12:13]
	v_fmac_f64_e32 v[12:13], v[4:5], v[10:11]
	v_fma_f64 v[2:3], v[2:3], v[10:11], -v[6:7]
	v_mov_b64_e32 v[4:5], v[12:13]
.LBB23_182:
	s_and_saveexec_b64 s[4:5], s[0:1]
	s_cbranch_execz .LBB23_186
; %bb.183:
	v_mov_b32_e32 v7, 0
	v_add_u32_e32 v6, -1, v0
	v_add_u32_e32 v7, 24, v7
	s_movk_i32 s10, 0x190
	s_mov_b64 s[0:1], 0
.LBB23_184:                             ; =>This Inner Loop Header: Depth=1
	v_add_u32_e32 v10, -8, v7
	scratch_load_dwordx4 v[10:13], v10, off
	v_mov_b32_e32 v85, s10
	ds_read_b128 v[86:89], v85
	v_add_u32_e32 v6, -1, v6
	s_add_i32 s10, s10, 16
	v_cmp_eq_u32_e32 vcc, 0, v6
	v_add_u32_e32 v7, 16, v7
	s_or_b64 s[0:1], vcc, s[0:1]
	s_waitcnt vmcnt(0) lgkmcnt(0)
	v_mul_f64 v[90:91], v[88:89], v[12:13]
	v_mul_f64 v[12:13], v[86:87], v[12:13]
	v_fma_f64 v[86:87], v[86:87], v[10:11], -v[90:91]
	v_fmac_f64_e32 v[12:13], v[88:89], v[10:11]
	v_add_f64 v[2:3], v[2:3], v[86:87]
	v_add_f64 v[4:5], v[4:5], v[12:13]
	s_andn2_b64 exec, exec, s[0:1]
	s_cbranch_execnz .LBB23_184
; %bb.185:
	s_or_b64 exec, exec, s[0:1]
.LBB23_186:
	s_or_b64 exec, exec, s[4:5]
	v_mov_b32_e32 v6, 0
	ds_read_b128 v[86:89], v6
	v_mov_b32_e32 v6, 0
	v_or_b32_e32 v10, 8, v6
	s_mov_b64 s[4:5], exec
	s_waitcnt lgkmcnt(0)
	v_mul_f64 v[12:13], v[4:5], v[88:89]
	v_mul_f64 v[6:7], v[2:3], v[88:89]
	v_fma_f64 v[2:3], v[2:3], v[86:87], -v[12:13]
	v_fmac_f64_e32 v[6:7], v[4:5], v[86:87]
	scratch_store_dwordx2 off, v[2:3], off
.LBB23_187:
	s_or_b64 exec, exec, s[8:9]
	s_and_b64 vcc, exec, s[2:3]
	s_cbranch_vccnz .LBB23_189
	s_branch .LBB23_368
.LBB23_188:
	s_mov_b64 s[4:5], 0
                                        ; implicit-def: $vgpr6_vgpr7
                                        ; implicit-def: $vgpr10
	s_cbranch_execz .LBB23_368
.LBB23_189:
	scratch_load_dwordx4 v[2:5], v82, off
	v_cndmask_b32_e64 v6, 0, 1, s[6:7]
	v_cmp_eq_u32_e64 s[2:3], 0, v0
	v_cmp_ne_u32_e64 s[0:1], 1, v6
	s_waitcnt vmcnt(0)
	ds_write_b128 v9, v[2:5]
	s_waitcnt lgkmcnt(0)
	; wave barrier
	s_waitcnt lgkmcnt(0)
	s_and_saveexec_b64 s[6:7], s[2:3]
	s_cbranch_execz .LBB23_193
; %bb.190:
	ds_read_b128 v[2:5], v9
	s_and_b64 vcc, exec, s[0:1]
	s_cbranch_vccnz .LBB23_192
; %bb.191:
	scratch_load_dwordx4 v[10:13], v8, off
	s_waitcnt vmcnt(0) lgkmcnt(0)
	v_mul_f64 v[6:7], v[4:5], v[12:13]
	v_mul_f64 v[12:13], v[2:3], v[12:13]
	v_fmac_f64_e32 v[12:13], v[4:5], v[10:11]
	v_fma_f64 v[2:3], v[2:3], v[10:11], -v[6:7]
	v_mov_b64_e32 v[4:5], v[12:13]
.LBB23_192:
	v_mov_b32_e32 v6, 0
	ds_read_b128 v[10:13], v6 offset:16
	s_waitcnt lgkmcnt(0)
	v_mul_f64 v[6:7], v[4:5], v[12:13]
	v_mul_f64 v[88:89], v[2:3], v[12:13]
	v_fma_f64 v[86:87], v[2:3], v[10:11], -v[6:7]
	v_fmac_f64_e32 v[88:89], v[4:5], v[10:11]
	scratch_store_dwordx4 off, v[86:89], off offset:16
.LBB23_193:
	s_or_b64 exec, exec, s[6:7]
	scratch_load_dwordx4 v[2:5], v80, off
	v_cmp_gt_u32_e32 vcc, 2, v0
	s_waitcnt vmcnt(0)
	ds_write_b128 v9, v[2:5]
	s_waitcnt lgkmcnt(0)
	; wave barrier
	s_waitcnt lgkmcnt(0)
	s_and_saveexec_b64 s[6:7], vcc
	s_cbranch_execz .LBB23_199
; %bb.194:
	ds_read_b128 v[2:5], v9
	s_and_b64 vcc, exec, s[0:1]
	s_cbranch_vccnz .LBB23_196
; %bb.195:
	scratch_load_dwordx4 v[10:13], v8, off
	s_waitcnt vmcnt(0) lgkmcnt(0)
	v_mul_f64 v[6:7], v[4:5], v[12:13]
	v_mul_f64 v[12:13], v[2:3], v[12:13]
	v_fmac_f64_e32 v[12:13], v[4:5], v[10:11]
	v_fma_f64 v[2:3], v[2:3], v[10:11], -v[6:7]
	v_mov_b64_e32 v[4:5], v[12:13]
.LBB23_196:
	s_and_saveexec_b64 s[8:9], s[2:3]
	s_cbranch_execz .LBB23_198
; %bb.197:
	scratch_load_dwordx4 v[10:13], v8, off offset:16
	ds_read_b128 v[86:89], v9 offset:16
	s_waitcnt vmcnt(0) lgkmcnt(0)
	v_mul_f64 v[6:7], v[88:89], v[12:13]
	v_mul_f64 v[12:13], v[86:87], v[12:13]
	v_fma_f64 v[6:7], v[86:87], v[10:11], -v[6:7]
	v_fmac_f64_e32 v[12:13], v[88:89], v[10:11]
	v_add_f64 v[2:3], v[2:3], v[6:7]
	v_add_f64 v[4:5], v[4:5], v[12:13]
.LBB23_198:
	s_or_b64 exec, exec, s[8:9]
	v_mov_b32_e32 v6, 0
	ds_read_b128 v[10:13], v6 offset:32
	s_waitcnt lgkmcnt(0)
	v_mul_f64 v[6:7], v[4:5], v[12:13]
	v_mul_f64 v[88:89], v[2:3], v[12:13]
	v_fma_f64 v[86:87], v[2:3], v[10:11], -v[6:7]
	v_fmac_f64_e32 v[88:89], v[4:5], v[10:11]
	scratch_store_dwordx4 off, v[86:89], off offset:32
.LBB23_199:
	s_or_b64 exec, exec, s[6:7]
	scratch_load_dwordx4 v[2:5], v83, off
	v_cmp_gt_u32_e32 vcc, 3, v0
	s_waitcnt vmcnt(0)
	ds_write_b128 v9, v[2:5]
	s_waitcnt lgkmcnt(0)
	; wave barrier
	s_waitcnt lgkmcnt(0)
	s_and_saveexec_b64 s[6:7], vcc
	s_cbranch_execz .LBB23_207
; %bb.200:
	ds_read_b128 v[2:5], v9
	s_and_b64 vcc, exec, s[0:1]
	s_cbranch_vccnz .LBB23_202
; %bb.201:
	scratch_load_dwordx4 v[10:13], v8, off
	s_waitcnt vmcnt(0) lgkmcnt(0)
	v_mul_f64 v[6:7], v[4:5], v[12:13]
	v_mul_f64 v[12:13], v[2:3], v[12:13]
	v_fmac_f64_e32 v[12:13], v[4:5], v[10:11]
	v_fma_f64 v[2:3], v[2:3], v[10:11], -v[6:7]
	v_mov_b64_e32 v[4:5], v[12:13]
.LBB23_202:
	v_cmp_ne_u32_e32 vcc, 2, v0
	s_and_saveexec_b64 s[8:9], vcc
	s_cbranch_execz .LBB23_206
; %bb.203:
	scratch_load_dwordx4 v[10:13], v8, off offset:16
	ds_read_b128 v[86:89], v9 offset:16
	s_waitcnt vmcnt(0) lgkmcnt(0)
	v_mul_f64 v[6:7], v[88:89], v[12:13]
	v_mul_f64 v[12:13], v[86:87], v[12:13]
	v_fma_f64 v[6:7], v[86:87], v[10:11], -v[6:7]
	v_fmac_f64_e32 v[12:13], v[88:89], v[10:11]
	v_add_f64 v[2:3], v[2:3], v[6:7]
	v_add_f64 v[4:5], v[4:5], v[12:13]
	s_and_saveexec_b64 s[10:11], s[2:3]
	s_cbranch_execz .LBB23_205
; %bb.204:
	scratch_load_dwordx4 v[10:13], off, off offset:32
	v_mov_b32_e32 v6, 0
	ds_read_b128 v[86:89], v6 offset:416
	s_waitcnt vmcnt(0) lgkmcnt(0)
	v_mul_f64 v[6:7], v[86:87], v[12:13]
	v_mul_f64 v[12:13], v[88:89], v[12:13]
	v_fmac_f64_e32 v[6:7], v[88:89], v[10:11]
	v_fma_f64 v[10:11], v[86:87], v[10:11], -v[12:13]
	v_add_f64 v[4:5], v[4:5], v[6:7]
	v_add_f64 v[2:3], v[2:3], v[10:11]
.LBB23_205:
	s_or_b64 exec, exec, s[10:11]
.LBB23_206:
	s_or_b64 exec, exec, s[8:9]
	v_mov_b32_e32 v6, 0
	ds_read_b128 v[10:13], v6 offset:48
	s_waitcnt lgkmcnt(0)
	v_mul_f64 v[6:7], v[4:5], v[12:13]
	v_mul_f64 v[88:89], v[2:3], v[12:13]
	v_fma_f64 v[86:87], v[2:3], v[10:11], -v[6:7]
	v_fmac_f64_e32 v[88:89], v[4:5], v[10:11]
	scratch_store_dwordx4 off, v[86:89], off offset:48
.LBB23_207:
	s_or_b64 exec, exec, s[6:7]
	scratch_load_dwordx4 v[2:5], v81, off
	v_cmp_gt_u32_e32 vcc, 4, v0
	s_waitcnt vmcnt(0)
	ds_write_b128 v9, v[2:5]
	s_waitcnt lgkmcnt(0)
	; wave barrier
	s_waitcnt lgkmcnt(0)
	s_and_saveexec_b64 s[2:3], vcc
	s_cbranch_execz .LBB23_215
; %bb.208:
	ds_read_b128 v[2:5], v9
	s_and_b64 vcc, exec, s[0:1]
	s_cbranch_vccnz .LBB23_210
; %bb.209:
	scratch_load_dwordx4 v[10:13], v8, off
	s_waitcnt vmcnt(0) lgkmcnt(0)
	v_mul_f64 v[6:7], v[4:5], v[12:13]
	v_mul_f64 v[12:13], v[2:3], v[12:13]
	v_fmac_f64_e32 v[12:13], v[4:5], v[10:11]
	v_fma_f64 v[2:3], v[2:3], v[10:11], -v[6:7]
	v_mov_b64_e32 v[4:5], v[12:13]
.LBB23_210:
	v_cmp_ne_u32_e32 vcc, 3, v0
	s_and_saveexec_b64 s[6:7], vcc
	s_cbranch_execz .LBB23_214
; %bb.211:
	v_mov_b32_e32 v7, 0
	v_add_u32_e32 v6, 0x190, v18
	v_add3_u32 v7, v18, v7, 24
	s_mov_b64 s[8:9], 0
	v_mov_b32_e32 v10, v0
.LBB23_212:                             ; =>This Inner Loop Header: Depth=1
	v_add_u32_e32 v11, -8, v7
	scratch_load_dwordx4 v[86:89], v11, off
	ds_read_b128 v[90:93], v6
	v_add_u32_e32 v10, 1, v10
	v_cmp_lt_u32_e32 vcc, 2, v10
	v_add_u32_e32 v6, 16, v6
	v_add_u32_e32 v7, 16, v7
	s_or_b64 s[8:9], vcc, s[8:9]
	s_waitcnt vmcnt(0) lgkmcnt(0)
	v_mul_f64 v[12:13], v[92:93], v[88:89]
	v_mul_f64 v[88:89], v[90:91], v[88:89]
	v_fma_f64 v[12:13], v[90:91], v[86:87], -v[12:13]
	v_fmac_f64_e32 v[88:89], v[92:93], v[86:87]
	v_add_f64 v[2:3], v[2:3], v[12:13]
	v_add_f64 v[4:5], v[4:5], v[88:89]
	s_andn2_b64 exec, exec, s[8:9]
	s_cbranch_execnz .LBB23_212
; %bb.213:
	s_or_b64 exec, exec, s[8:9]
.LBB23_214:
	s_or_b64 exec, exec, s[6:7]
	v_mov_b32_e32 v6, 0
	ds_read_b128 v[10:13], v6 offset:64
	s_waitcnt lgkmcnt(0)
	v_mul_f64 v[6:7], v[4:5], v[12:13]
	v_mul_f64 v[88:89], v[2:3], v[12:13]
	v_fma_f64 v[86:87], v[2:3], v[10:11], -v[6:7]
	v_fmac_f64_e32 v[88:89], v[4:5], v[10:11]
	scratch_store_dwordx4 off, v[86:89], off offset:64
.LBB23_215:
	s_or_b64 exec, exec, s[2:3]
	scratch_load_dwordx4 v[2:5], v84, off
	v_cmp_gt_u32_e32 vcc, 5, v0
	s_waitcnt vmcnt(0)
	ds_write_b128 v9, v[2:5]
	s_waitcnt lgkmcnt(0)
	; wave barrier
	s_waitcnt lgkmcnt(0)
	s_and_saveexec_b64 s[2:3], vcc
	s_cbranch_execz .LBB23_223
; %bb.216:
	ds_read_b128 v[2:5], v9
	s_and_b64 vcc, exec, s[0:1]
	s_cbranch_vccnz .LBB23_218
; %bb.217:
	scratch_load_dwordx4 v[10:13], v8, off
	s_waitcnt vmcnt(0) lgkmcnt(0)
	v_mul_f64 v[6:7], v[4:5], v[12:13]
	v_mul_f64 v[12:13], v[2:3], v[12:13]
	v_fmac_f64_e32 v[12:13], v[4:5], v[10:11]
	v_fma_f64 v[2:3], v[2:3], v[10:11], -v[6:7]
	v_mov_b64_e32 v[4:5], v[12:13]
.LBB23_218:
	v_cmp_ne_u32_e32 vcc, 4, v0
	s_and_saveexec_b64 s[6:7], vcc
	s_cbranch_execz .LBB23_222
; %bb.219:
	v_mov_b32_e32 v7, 0
	v_add_u32_e32 v6, 0x190, v18
	v_add3_u32 v7, v18, v7, 24
	s_mov_b64 s[8:9], 0
	v_mov_b32_e32 v10, v0
.LBB23_220:                             ; =>This Inner Loop Header: Depth=1
	v_add_u32_e32 v11, -8, v7
	scratch_load_dwordx4 v[86:89], v11, off
	ds_read_b128 v[90:93], v6
	v_add_u32_e32 v10, 1, v10
	v_cmp_lt_u32_e32 vcc, 3, v10
	v_add_u32_e32 v6, 16, v6
	v_add_u32_e32 v7, 16, v7
	s_or_b64 s[8:9], vcc, s[8:9]
	s_waitcnt vmcnt(0) lgkmcnt(0)
	v_mul_f64 v[12:13], v[92:93], v[88:89]
	v_mul_f64 v[88:89], v[90:91], v[88:89]
	v_fma_f64 v[12:13], v[90:91], v[86:87], -v[12:13]
	v_fmac_f64_e32 v[88:89], v[92:93], v[86:87]
	v_add_f64 v[2:3], v[2:3], v[12:13]
	v_add_f64 v[4:5], v[4:5], v[88:89]
	s_andn2_b64 exec, exec, s[8:9]
	s_cbranch_execnz .LBB23_220
; %bb.221:
	s_or_b64 exec, exec, s[8:9]
.LBB23_222:
	s_or_b64 exec, exec, s[6:7]
	v_mov_b32_e32 v6, 0
	ds_read_b128 v[10:13], v6 offset:80
	s_waitcnt lgkmcnt(0)
	v_mul_f64 v[6:7], v[4:5], v[12:13]
	v_mul_f64 v[88:89], v[2:3], v[12:13]
	v_fma_f64 v[86:87], v[2:3], v[10:11], -v[6:7]
	v_fmac_f64_e32 v[88:89], v[4:5], v[10:11]
	scratch_store_dwordx4 off, v[86:89], off offset:80
.LBB23_223:
	;; [unrolled: 63-line block ×18, first 2 shown]
	s_or_b64 exec, exec, s[2:3]
	scratch_load_dwordx4 v[2:5], v19, off
	v_cmp_gt_u32_e64 s[2:3], 22, v0
	s_waitcnt vmcnt(0)
	ds_write_b128 v9, v[2:5]
	s_waitcnt lgkmcnt(0)
	; wave barrier
	s_waitcnt lgkmcnt(0)
	s_and_saveexec_b64 s[6:7], s[2:3]
	s_cbranch_execz .LBB23_359
; %bb.352:
	ds_read_b128 v[2:5], v9
	s_and_b64 vcc, exec, s[0:1]
	s_cbranch_vccnz .LBB23_354
; %bb.353:
	scratch_load_dwordx4 v[10:13], v8, off
	s_waitcnt vmcnt(0) lgkmcnt(0)
	v_mul_f64 v[6:7], v[4:5], v[12:13]
	v_mul_f64 v[12:13], v[2:3], v[12:13]
	v_fmac_f64_e32 v[12:13], v[4:5], v[10:11]
	v_fma_f64 v[2:3], v[2:3], v[10:11], -v[6:7]
	v_mov_b64_e32 v[4:5], v[12:13]
.LBB23_354:
	v_cmp_ne_u32_e32 vcc, 21, v0
	s_and_saveexec_b64 s[8:9], vcc
	s_cbranch_execz .LBB23_358
; %bb.355:
	v_mov_b32_e32 v7, 0
	v_add_u32_e32 v6, 0x190, v18
	v_add3_u32 v7, v18, v7, 24
	s_mov_b64 s[10:11], 0
	v_mov_b32_e32 v10, v0
.LBB23_356:                             ; =>This Inner Loop Header: Depth=1
	v_add_u32_e32 v11, -8, v7
	scratch_load_dwordx4 v[86:89], v11, off
	ds_read_b128 v[90:93], v6
	v_add_u32_e32 v10, 1, v10
	v_cmp_lt_u32_e32 vcc, 20, v10
	v_add_u32_e32 v6, 16, v6
	v_add_u32_e32 v7, 16, v7
	s_or_b64 s[10:11], vcc, s[10:11]
	s_waitcnt vmcnt(0) lgkmcnt(0)
	v_mul_f64 v[12:13], v[92:93], v[88:89]
	v_mul_f64 v[88:89], v[90:91], v[88:89]
	v_fma_f64 v[12:13], v[90:91], v[86:87], -v[12:13]
	v_fmac_f64_e32 v[88:89], v[92:93], v[86:87]
	v_add_f64 v[2:3], v[2:3], v[12:13]
	v_add_f64 v[4:5], v[4:5], v[88:89]
	s_andn2_b64 exec, exec, s[10:11]
	s_cbranch_execnz .LBB23_356
; %bb.357:
	s_or_b64 exec, exec, s[10:11]
.LBB23_358:
	s_or_b64 exec, exec, s[8:9]
	v_mov_b32_e32 v6, 0
	ds_read_b128 v[10:13], v6 offset:352
	s_waitcnt lgkmcnt(0)
	v_mul_f64 v[6:7], v[4:5], v[12:13]
	v_mul_f64 v[88:89], v[2:3], v[12:13]
	v_fma_f64 v[86:87], v[2:3], v[10:11], -v[6:7]
	v_fmac_f64_e32 v[88:89], v[4:5], v[10:11]
	scratch_store_dwordx4 off, v[86:89], off offset:352
.LBB23_359:
	s_or_b64 exec, exec, s[6:7]
	scratch_load_dwordx4 v[2:5], v1, off
	v_cmp_ne_u32_e32 vcc, 23, v0
                                        ; implicit-def: $vgpr6_vgpr7
                                        ; implicit-def: $vgpr10
	s_waitcnt vmcnt(0)
	ds_write_b128 v9, v[2:5]
	s_waitcnt lgkmcnt(0)
	; wave barrier
	s_waitcnt lgkmcnt(0)
	s_and_saveexec_b64 s[6:7], vcc
	s_cbranch_execz .LBB23_367
; %bb.360:
	ds_read_b128 v[2:5], v9
	s_and_b64 vcc, exec, s[0:1]
	s_cbranch_vccnz .LBB23_362
; %bb.361:
	scratch_load_dwordx4 v[6:9], v8, off
	s_waitcnt vmcnt(0) lgkmcnt(0)
	v_mul_f64 v[10:11], v[4:5], v[8:9]
	v_mul_f64 v[8:9], v[2:3], v[8:9]
	v_fmac_f64_e32 v[8:9], v[4:5], v[6:7]
	v_fma_f64 v[2:3], v[2:3], v[6:7], -v[10:11]
	v_mov_b64_e32 v[4:5], v[8:9]
.LBB23_362:
	s_and_saveexec_b64 s[0:1], s[2:3]
	s_cbranch_execz .LBB23_366
; %bb.363:
	v_mov_b32_e32 v7, 0
	v_add_u32_e32 v6, 0x190, v18
	v_add3_u32 v7, v18, v7, 24
	s_mov_b64 s[2:3], 0
.LBB23_364:                             ; =>This Inner Loop Header: Depth=1
	v_add_u32_e32 v8, -8, v7
	scratch_load_dwordx4 v[8:11], v8, off
	ds_read_b128 v[86:89], v6
	v_add_u32_e32 v0, 1, v0
	v_cmp_lt_u32_e32 vcc, 21, v0
	v_add_u32_e32 v6, 16, v6
	v_add_u32_e32 v7, 16, v7
	s_or_b64 s[2:3], vcc, s[2:3]
	s_waitcnt vmcnt(0) lgkmcnt(0)
	v_mul_f64 v[12:13], v[88:89], v[10:11]
	v_mul_f64 v[10:11], v[86:87], v[10:11]
	v_fma_f64 v[12:13], v[86:87], v[8:9], -v[12:13]
	v_fmac_f64_e32 v[10:11], v[88:89], v[8:9]
	v_add_f64 v[2:3], v[2:3], v[12:13]
	v_add_f64 v[4:5], v[4:5], v[10:11]
	s_andn2_b64 exec, exec, s[2:3]
	s_cbranch_execnz .LBB23_364
; %bb.365:
	s_or_b64 exec, exec, s[2:3]
.LBB23_366:
	s_or_b64 exec, exec, s[0:1]
	v_mov_b32_e32 v0, 0
	ds_read_b128 v[86:89], v0 offset:368
	v_mov_b32_e32 v0, 0
	v_add_u32_e32 v10, 0x178, v0
	s_or_b64 s[4:5], s[4:5], exec
	s_waitcnt lgkmcnt(0)
	v_mul_f64 v[8:9], v[4:5], v[88:89]
	v_mul_f64 v[6:7], v[2:3], v[88:89]
	v_fma_f64 v[2:3], v[2:3], v[86:87], -v[8:9]
	v_fmac_f64_e32 v[6:7], v[4:5], v[86:87]
	scratch_store_dwordx2 off, v[2:3], off offset:368
.LBB23_367:
	s_or_b64 exec, exec, s[6:7]
.LBB23_368:
	s_and_saveexec_b64 s[0:1], s[4:5]
	s_cbranch_execz .LBB23_370
; %bb.369:
	scratch_store_dwordx2 v10, v[6:7], off
.LBB23_370:
	s_or_b64 exec, exec, s[0:1]
	scratch_load_dwordx4 v[2:5], off, off
	scratch_load_dwordx4 v[6:9], v82, off
	scratch_load_dwordx4 v[10:13], v80, off
	;; [unrolled: 1-line block ×5, first 2 shown]
	s_waitcnt vmcnt(5)
	global_store_dwordx4 v[16:17], v[2:5], off
	scratch_load_dwordx4 v[2:5], v79, off
	s_nop 0
	scratch_load_dwordx4 v[80:83], v78, off
	s_waitcnt vmcnt(7)
	global_store_dwordx4 v[14:15], v[6:9], off
	scratch_load_dwordx4 v[6:9], v77, off
	s_nop 0
	scratch_load_dwordx4 v[14:17], v76, off
	;; [unrolled: 5-line block ×9, first 2 shown]
	s_waitcnt vmcnt(21)
	global_store_dwordx4 v[22:23], v[14:17], off
	s_waitcnt vmcnt(20)
	global_store_dwordx4 v[32:33], v[10:13], off
	;; [unrolled: 2-line block ×15, first 2 shown]
.LBB23_371:
	s_endpgm
	.section	.rodata,"a",@progbits
	.p2align	6, 0x0
	.amdhsa_kernel _ZN9rocsolver6v33100L18trti2_kernel_smallILi24E19rocblas_complex_numIdEPS3_EEv13rocblas_fill_17rocblas_diagonal_T1_iil
		.amdhsa_group_segment_fixed_size 768
		.amdhsa_private_segment_fixed_size 400
		.amdhsa_kernarg_size 32
		.amdhsa_user_sgpr_count 2
		.amdhsa_user_sgpr_dispatch_ptr 0
		.amdhsa_user_sgpr_queue_ptr 0
		.amdhsa_user_sgpr_kernarg_segment_ptr 1
		.amdhsa_user_sgpr_dispatch_id 0
		.amdhsa_user_sgpr_kernarg_preload_length 0
		.amdhsa_user_sgpr_kernarg_preload_offset 0
		.amdhsa_user_sgpr_private_segment_size 0
		.amdhsa_uses_dynamic_stack 0
		.amdhsa_enable_private_segment 1
		.amdhsa_system_sgpr_workgroup_id_x 1
		.amdhsa_system_sgpr_workgroup_id_y 0
		.amdhsa_system_sgpr_workgroup_id_z 0
		.amdhsa_system_sgpr_workgroup_info 0
		.amdhsa_system_vgpr_workitem_id 0
		.amdhsa_next_free_vgpr 102
		.amdhsa_next_free_sgpr 12
		.amdhsa_accum_offset 104
		.amdhsa_reserve_vcc 1
		.amdhsa_float_round_mode_32 0
		.amdhsa_float_round_mode_16_64 0
		.amdhsa_float_denorm_mode_32 3
		.amdhsa_float_denorm_mode_16_64 3
		.amdhsa_dx10_clamp 1
		.amdhsa_ieee_mode 1
		.amdhsa_fp16_overflow 0
		.amdhsa_tg_split 0
		.amdhsa_exception_fp_ieee_invalid_op 0
		.amdhsa_exception_fp_denorm_src 0
		.amdhsa_exception_fp_ieee_div_zero 0
		.amdhsa_exception_fp_ieee_overflow 0
		.amdhsa_exception_fp_ieee_underflow 0
		.amdhsa_exception_fp_ieee_inexact 0
		.amdhsa_exception_int_div_zero 0
	.end_amdhsa_kernel
	.section	.text._ZN9rocsolver6v33100L18trti2_kernel_smallILi24E19rocblas_complex_numIdEPS3_EEv13rocblas_fill_17rocblas_diagonal_T1_iil,"axG",@progbits,_ZN9rocsolver6v33100L18trti2_kernel_smallILi24E19rocblas_complex_numIdEPS3_EEv13rocblas_fill_17rocblas_diagonal_T1_iil,comdat
.Lfunc_end23:
	.size	_ZN9rocsolver6v33100L18trti2_kernel_smallILi24E19rocblas_complex_numIdEPS3_EEv13rocblas_fill_17rocblas_diagonal_T1_iil, .Lfunc_end23-_ZN9rocsolver6v33100L18trti2_kernel_smallILi24E19rocblas_complex_numIdEPS3_EEv13rocblas_fill_17rocblas_diagonal_T1_iil
                                        ; -- End function
	.section	.AMDGPU.csdata,"",@progbits
; Kernel info:
; codeLenInByte = 15680
; NumSgprs: 18
; NumVgprs: 102
; NumAgprs: 0
; TotalNumVgprs: 102
; ScratchSize: 400
; MemoryBound: 0
; FloatMode: 240
; IeeeMode: 1
; LDSByteSize: 768 bytes/workgroup (compile time only)
; SGPRBlocks: 2
; VGPRBlocks: 12
; NumSGPRsForWavesPerEU: 18
; NumVGPRsForWavesPerEU: 102
; AccumOffset: 104
; Occupancy: 4
; WaveLimiterHint : 0
; COMPUTE_PGM_RSRC2:SCRATCH_EN: 1
; COMPUTE_PGM_RSRC2:USER_SGPR: 2
; COMPUTE_PGM_RSRC2:TRAP_HANDLER: 0
; COMPUTE_PGM_RSRC2:TGID_X_EN: 1
; COMPUTE_PGM_RSRC2:TGID_Y_EN: 0
; COMPUTE_PGM_RSRC2:TGID_Z_EN: 0
; COMPUTE_PGM_RSRC2:TIDIG_COMP_CNT: 0
; COMPUTE_PGM_RSRC3_GFX90A:ACCUM_OFFSET: 25
; COMPUTE_PGM_RSRC3_GFX90A:TG_SPLIT: 0
	.section	.text._ZN9rocsolver6v33100L18trti2_kernel_smallILi25E19rocblas_complex_numIdEPS3_EEv13rocblas_fill_17rocblas_diagonal_T1_iil,"axG",@progbits,_ZN9rocsolver6v33100L18trti2_kernel_smallILi25E19rocblas_complex_numIdEPS3_EEv13rocblas_fill_17rocblas_diagonal_T1_iil,comdat
	.globl	_ZN9rocsolver6v33100L18trti2_kernel_smallILi25E19rocblas_complex_numIdEPS3_EEv13rocblas_fill_17rocblas_diagonal_T1_iil ; -- Begin function _ZN9rocsolver6v33100L18trti2_kernel_smallILi25E19rocblas_complex_numIdEPS3_EEv13rocblas_fill_17rocblas_diagonal_T1_iil
	.p2align	8
	.type	_ZN9rocsolver6v33100L18trti2_kernel_smallILi25E19rocblas_complex_numIdEPS3_EEv13rocblas_fill_17rocblas_diagonal_T1_iil,@function
_ZN9rocsolver6v33100L18trti2_kernel_smallILi25E19rocblas_complex_numIdEPS3_EEv13rocblas_fill_17rocblas_diagonal_T1_iil: ; @_ZN9rocsolver6v33100L18trti2_kernel_smallILi25E19rocblas_complex_numIdEPS3_EEv13rocblas_fill_17rocblas_diagonal_T1_iil
; %bb.0:
	v_cmp_gt_u32_e32 vcc, 25, v0
	s_and_saveexec_b64 s[4:5], vcc
	s_cbranch_execz .LBB24_387
; %bb.1:
	s_load_dwordx8 s[4:11], s[0:1], 0x0
	s_ashr_i32 s3, s2, 31
	v_lshlrev_b32_e32 v60, 4, v0
	v_mov_b32_e32 v61, 0
	v_mov_b32_e32 v1, 0
	s_waitcnt lgkmcnt(0)
	s_ashr_i32 s1, s8, 31
	s_mov_b32 s0, s8
	s_mul_i32 s8, s2, s11
	s_mul_hi_u32 s11, s2, s10
	s_add_i32 s8, s11, s8
	s_mul_i32 s3, s3, s10
	s_add_i32 s3, s8, s3
	s_mul_i32 s2, s2, s10
	s_lshl_b64 s[2:3], s[2:3], 4
	s_add_u32 s2, s6, s2
	s_addc_u32 s3, s7, s3
	s_lshl_b64 s[0:1], s[0:1], 4
	s_add_u32 s0, s2, s0
	s_addc_u32 s1, s3, s1
	v_lshl_add_u64 v[16:17], s[0:1], 0, v[60:61]
	s_ashr_i32 s3, s9, 31
	s_mov_b32 s2, s9
	v_lshl_add_u64 v[14:15], s[2:3], 4, v[16:17]
	s_add_i32 s2, s9, s9
	v_add_u32_e32 v20, s2, v0
	v_add_u32_e32 v22, s9, v20
	;; [unrolled: 1-line block ×4, first 2 shown]
	v_ashrrev_i32_e32 v21, 31, v20
	v_ashrrev_i32_e32 v23, 31, v22
	;; [unrolled: 1-line block ×4, first 2 shown]
	v_add_u32_e32 v28, s9, v26
	v_lshl_add_u64 v[18:19], v[20:21], 4, s[0:1]
	v_lshl_add_u64 v[20:21], v[22:23], 4, s[0:1]
	;; [unrolled: 1-line block ×4, first 2 shown]
	v_ashrrev_i32_e32 v29, 31, v28
	global_load_dwordx4 v[2:5], v60, s[0:1]
	global_load_dwordx4 v[6:9], v[14:15], off
	global_load_dwordx4 v[10:13], v[18:19], off
	;; [unrolled: 1-line block ×4, first 2 shown]
	v_lshl_add_u64 v[26:27], v[28:29], 4, s[0:1]
	global_load_dwordx4 v[62:65], v[24:25], off
	global_load_dwordx4 v[66:69], v[26:27], off
	v_add_u32_e32 v30, s9, v28
	v_ashrrev_i32_e32 v31, 31, v30
	v_lshl_add_u64 v[28:29], v[30:31], 4, s[0:1]
	global_load_dwordx4 v[70:73], v[28:29], off
	v_add_u32_e32 v30, s9, v30
	v_add_u32_e32 v32, s9, v30
	;; [unrolled: 1-line block ×10, first 2 shown]
	v_ashrrev_i32_e32 v31, 31, v30
	v_ashrrev_i32_e32 v33, 31, v32
	;; [unrolled: 1-line block ×6, first 2 shown]
	v_add_u32_e32 v50, s9, v48
	v_lshl_add_u64 v[30:31], v[30:31], 4, s[0:1]
	global_load_dwordx4 v[74:77], v[30:31], off
	v_lshl_add_u64 v[32:33], v[32:33], 4, s[0:1]
	v_ashrrev_i32_e32 v35, 31, v34
	v_lshl_add_u64 v[36:37], v[36:37], 4, s[0:1]
	v_ashrrev_i32_e32 v39, 31, v38
	;; [unrolled: 2-line block ×5, first 2 shown]
	v_add_u32_e32 v118, s9, v50
	v_lshl_add_u64 v[34:35], v[34:35], 4, s[0:1]
	global_load_dwordx4 v[78:81], v[32:33], off
	global_load_dwordx4 v[82:85], v[34:35], off
	v_lshl_add_u64 v[38:39], v[38:39], 4, s[0:1]
	global_load_dwordx4 v[86:89], v[36:37], off
	global_load_dwordx4 v[90:93], v[38:39], off
	;; [unrolled: 3-line block ×5, first 2 shown]
	v_ashrrev_i32_e32 v119, 31, v118
	s_cmpk_lg_i32 s5, 0x84
	s_cselect_b64 s[6:7], -1, 0
	s_cmpk_eq_i32 s5, 0x84
	s_waitcnt vmcnt(18)
	scratch_store_dwordx4 off, v[2:5], off
	s_waitcnt vmcnt(18)
	scratch_store_dwordx4 off, v[6:9], off offset:16
	s_waitcnt vmcnt(18)
	scratch_store_dwordx4 off, v[10:13], off offset:32
	;; [unrolled: 2-line block ×6, first 2 shown]
	v_add_u32_e32 v10, s9, v118
	v_ashrrev_i32_e32 v11, 31, v10
	v_lshl_add_u64 v[54:55], v[10:11], 4, s[0:1]
	v_add_u32_e32 v10, s9, v10
	v_add_u32_e32 v62, s9, v10
	;; [unrolled: 1-line block ×3, first 2 shown]
	v_ashrrev_i32_e32 v63, 31, v62
	v_ashrrev_i32_e32 v65, 31, v64
	v_lshl_add_u64 v[58:59], v[62:63], 4, s[0:1]
	v_lshl_add_u64 v[62:63], v[64:65], 4, s[0:1]
	v_add_u32_e32 v64, s9, v64
	v_ashrrev_i32_e32 v11, 31, v10
	v_ashrrev_i32_e32 v65, 31, v64
	v_lshl_add_u64 v[52:53], v[118:119], 4, s[0:1]
	v_lshl_add_u64 v[56:57], v[10:11], 4, s[0:1]
	;; [unrolled: 1-line block ×3, first 2 shown]
	global_load_dwordx4 v[2:5], v[52:53], off
	global_load_dwordx4 v[6:9], v[54:55], off
	global_load_dwordx4 v[10:13], v[56:57], off
	global_load_dwordx4 v[66:69], v[58:59], off
	global_load_dwordx4 v[118:121], v[62:63], off
	s_waitcnt vmcnt(23)
	scratch_store_dwordx4 off, v[70:73], off offset:112
	global_load_dwordx4 v[70:73], v[64:65], off
	s_waitcnt vmcnt(24)
	scratch_store_dwordx4 off, v[74:77], off offset:128
	s_waitcnt vmcnt(24)
	scratch_store_dwordx4 off, v[78:81], off offset:144
	;; [unrolled: 2-line block ×17, first 2 shown]
	s_cbranch_scc1 .LBB24_7
; %bb.2:
	scratch_load_dwordx4 v[2:5], v60, off
                                        ; implicit-def: $vgpr10_vgpr11
	s_waitcnt vmcnt(0)
	v_xor_b32_e32 v7, 0x80000000, v3
	v_cmp_gt_f64_e32 vcc, 0, v[2:3]
	v_xor_b32_e32 v8, 0x80000000, v5
	v_mov_b32_e32 v6, v2
	v_cndmask_b32_e32 v7, v3, v7, vcc
	v_cmp_gt_f64_e32 vcc, 0, v[4:5]
	s_nop 1
	v_cndmask_b32_e32 v9, v5, v8, vcc
	v_mov_b32_e32 v8, v4
	v_cmp_ngt_f64_e32 vcc, v[6:7], v[8:9]
                                        ; implicit-def: $vgpr6_vgpr7
	s_and_saveexec_b64 s[0:1], vcc
	s_xor_b64 s[0:1], exec, s[0:1]
	s_cbranch_execz .LBB24_4
; %bb.3:
	v_div_scale_f64 v[6:7], s[2:3], v[4:5], v[4:5], v[2:3]
	v_rcp_f64_e32 v[8:9], v[6:7]
	v_div_scale_f64 v[10:11], vcc, v[2:3], v[4:5], v[2:3]
	v_fma_f64 v[12:13], -v[6:7], v[8:9], 1.0
	v_fmac_f64_e32 v[8:9], v[8:9], v[12:13]
	v_fma_f64 v[12:13], -v[6:7], v[8:9], 1.0
	v_fmac_f64_e32 v[8:9], v[8:9], v[12:13]
	v_mul_f64 v[12:13], v[10:11], v[8:9]
	v_fma_f64 v[6:7], -v[6:7], v[12:13], v[10:11]
	v_div_fmas_f64 v[6:7], v[6:7], v[8:9], v[12:13]
	v_div_fixup_f64 v[6:7], v[6:7], v[4:5], v[2:3]
	v_fmac_f64_e32 v[4:5], v[2:3], v[6:7]
	v_div_scale_f64 v[2:3], s[2:3], v[4:5], v[4:5], 1.0
	v_rcp_f64_e32 v[8:9], v[2:3]
	s_nop 0
	v_fma_f64 v[10:11], -v[2:3], v[8:9], 1.0
	v_fmac_f64_e32 v[8:9], v[8:9], v[10:11]
	v_fma_f64 v[10:11], -v[2:3], v[8:9], 1.0
	v_fmac_f64_e32 v[8:9], v[8:9], v[10:11]
	v_div_scale_f64 v[10:11], vcc, 1.0, v[4:5], 1.0
	v_mul_f64 v[12:13], v[10:11], v[8:9]
	v_fma_f64 v[2:3], -v[2:3], v[12:13], v[10:11]
	s_nop 1
	v_div_fmas_f64 v[2:3], v[2:3], v[8:9], v[12:13]
	v_div_fixup_f64 v[8:9], v[2:3], v[4:5], 1.0
	v_mul_f64 v[6:7], v[6:7], v[8:9]
	v_xor_b32_e32 v9, 0x80000000, v9
	v_xor_b32_e32 v11, 0x80000000, v7
	v_mov_b32_e32 v10, v6
                                        ; implicit-def: $vgpr2_vgpr3
.LBB24_4:
	s_or_saveexec_b64 s[0:1], s[0:1]
	v_add_u32_e32 v12, 0, v60
	s_xor_b64 exec, exec, s[0:1]
	s_cbranch_execz .LBB24_6
; %bb.5:
	v_div_scale_f64 v[6:7], s[2:3], v[2:3], v[2:3], v[4:5]
	v_rcp_f64_e32 v[8:9], v[6:7]
	v_div_scale_f64 v[10:11], vcc, v[4:5], v[2:3], v[4:5]
	v_fma_f64 v[66:67], -v[6:7], v[8:9], 1.0
	v_fmac_f64_e32 v[8:9], v[8:9], v[66:67]
	v_fma_f64 v[66:67], -v[6:7], v[8:9], 1.0
	v_fmac_f64_e32 v[8:9], v[8:9], v[66:67]
	v_mul_f64 v[66:67], v[10:11], v[8:9]
	v_fma_f64 v[6:7], -v[6:7], v[66:67], v[10:11]
	v_div_fmas_f64 v[6:7], v[6:7], v[8:9], v[66:67]
	v_div_fixup_f64 v[8:9], v[6:7], v[2:3], v[4:5]
	v_fmac_f64_e32 v[2:3], v[4:5], v[8:9]
	v_div_scale_f64 v[4:5], s[2:3], v[2:3], v[2:3], 1.0
	v_rcp_f64_e32 v[6:7], v[4:5]
	s_nop 0
	v_fma_f64 v[10:11], -v[4:5], v[6:7], 1.0
	v_fmac_f64_e32 v[6:7], v[6:7], v[10:11]
	v_fma_f64 v[10:11], -v[4:5], v[6:7], 1.0
	v_fmac_f64_e32 v[6:7], v[6:7], v[10:11]
	v_div_scale_f64 v[10:11], vcc, 1.0, v[2:3], 1.0
	v_mul_f64 v[66:67], v[10:11], v[6:7]
	v_fma_f64 v[4:5], -v[4:5], v[66:67], v[10:11]
	s_nop 1
	v_div_fmas_f64 v[4:5], v[4:5], v[6:7], v[66:67]
	v_div_fixup_f64 v[6:7], v[4:5], v[2:3], 1.0
	v_xor_b32_e32 v11, 0x80000000, v7
	v_mov_b32_e32 v10, v6
	v_mul_f64 v[8:9], v[8:9], -v[6:7]
.LBB24_6:
	s_or_b64 exec, exec, s[0:1]
	scratch_store_dwordx4 v12, v[6:9], off
	s_nop 1
	v_xor_b32_e32 v9, 0x80000000, v9
	s_branch .LBB24_8
.LBB24_7:
	v_mov_b64_e32 v[8:9], 0
	v_mov_b64_e32 v[10:11], -1.0
.LBB24_8:
	v_add_u32_e32 v76, 16, v1
	v_add_u32_e32 v84, 32, v1
	;; [unrolled: 1-line block ×24, first 2 shown]
	v_mov_b32_e32 v12, v8
	v_mov_b32_e32 v13, v9
	s_cmpk_eq_i32 s4, 0x79
	v_add_u32_e32 v9, 0x190, v60
	v_add_u32_e32 v8, 0, v60
	ds_write_b128 v60, v[10:13]
	s_cbranch_scc1 .LBB24_196
; %bb.9:
	scratch_load_dwordx4 v[2:5], v61, off
	v_cmp_eq_u32_e64 s[0:1], 24, v0
	s_waitcnt vmcnt(0)
	ds_write_b128 v9, v[2:5]
	s_waitcnt lgkmcnt(0)
	; wave barrier
	s_waitcnt lgkmcnt(0)
	s_and_saveexec_b64 s[2:3], s[0:1]
	s_cbranch_execz .LBB24_13
; %bb.10:
	ds_read_b128 v[2:5], v9
	s_andn2_b64 vcc, exec, s[6:7]
	s_cbranch_vccnz .LBB24_12
; %bb.11:
	scratch_load_dwordx4 v[10:13], v8, off
	s_waitcnt vmcnt(0) lgkmcnt(0)
	v_mul_f64 v[6:7], v[4:5], v[12:13]
	v_mul_f64 v[12:13], v[2:3], v[12:13]
	v_fmac_f64_e32 v[12:13], v[4:5], v[10:11]
	v_fma_f64 v[2:3], v[2:3], v[10:11], -v[6:7]
	v_mov_b64_e32 v[4:5], v[12:13]
.LBB24_12:
	v_mov_b32_e32 v6, 0
	ds_read_b128 v[10:13], v6 offset:368
	s_waitcnt lgkmcnt(0)
	v_mul_f64 v[6:7], v[4:5], v[12:13]
	v_mul_f64 v[90:91], v[2:3], v[12:13]
	v_fma_f64 v[88:89], v[2:3], v[10:11], -v[6:7]
	v_fmac_f64_e32 v[90:91], v[4:5], v[10:11]
	scratch_store_dwordx4 off, v[88:91], off offset:368
.LBB24_13:
	s_or_b64 exec, exec, s[2:3]
	scratch_load_dwordx4 v[2:5], v66, off
	v_cmp_lt_u32_e64 s[2:3], 22, v0
	s_waitcnt vmcnt(0)
	ds_write_b128 v9, v[2:5]
	s_waitcnt lgkmcnt(0)
	; wave barrier
	s_waitcnt lgkmcnt(0)
	s_and_saveexec_b64 s[4:5], s[2:3]
	s_cbranch_execz .LBB24_19
; %bb.14:
	ds_read_b128 v[2:5], v9
	s_andn2_b64 vcc, exec, s[6:7]
	s_cbranch_vccnz .LBB24_16
; %bb.15:
	scratch_load_dwordx4 v[10:13], v8, off
	s_waitcnt vmcnt(0) lgkmcnt(0)
	v_mul_f64 v[6:7], v[4:5], v[12:13]
	v_mul_f64 v[12:13], v[2:3], v[12:13]
	v_fmac_f64_e32 v[12:13], v[4:5], v[10:11]
	v_fma_f64 v[2:3], v[2:3], v[10:11], -v[6:7]
	v_mov_b64_e32 v[4:5], v[12:13]
.LBB24_16:
	s_and_saveexec_b64 s[8:9], s[0:1]
	s_cbranch_execz .LBB24_18
; %bb.17:
	scratch_load_dwordx4 v[10:13], off, off offset:368
	v_mov_b32_e32 v6, 0
	ds_read_b128 v[88:91], v6 offset:768
	s_waitcnt vmcnt(0) lgkmcnt(0)
	v_mul_f64 v[6:7], v[88:89], v[12:13]
	v_mul_f64 v[12:13], v[90:91], v[12:13]
	v_fmac_f64_e32 v[6:7], v[90:91], v[10:11]
	v_fma_f64 v[10:11], v[88:89], v[10:11], -v[12:13]
	v_add_f64 v[4:5], v[4:5], v[6:7]
	v_add_f64 v[2:3], v[2:3], v[10:11]
.LBB24_18:
	s_or_b64 exec, exec, s[8:9]
	v_mov_b32_e32 v6, 0
	ds_read_b128 v[10:13], v6 offset:352
	s_waitcnt lgkmcnt(0)
	v_mul_f64 v[6:7], v[4:5], v[12:13]
	v_mul_f64 v[90:91], v[2:3], v[12:13]
	v_fma_f64 v[88:89], v[2:3], v[10:11], -v[6:7]
	v_fmac_f64_e32 v[90:91], v[4:5], v[10:11]
	scratch_store_dwordx4 off, v[88:91], off offset:352
.LBB24_19:
	s_or_b64 exec, exec, s[4:5]
	scratch_load_dwordx4 v[2:5], v67, off
	v_cmp_lt_u32_e64 s[0:1], 21, v0
	s_waitcnt vmcnt(0)
	ds_write_b128 v9, v[2:5]
	s_waitcnt lgkmcnt(0)
	; wave barrier
	s_waitcnt lgkmcnt(0)
	s_and_saveexec_b64 s[4:5], s[0:1]
	s_cbranch_execz .LBB24_27
; %bb.20:
	ds_read_b128 v[2:5], v9
	s_andn2_b64 vcc, exec, s[6:7]
	s_cbranch_vccnz .LBB24_22
; %bb.21:
	scratch_load_dwordx4 v[10:13], v8, off
	s_waitcnt vmcnt(0) lgkmcnt(0)
	v_mul_f64 v[6:7], v[4:5], v[12:13]
	v_mul_f64 v[12:13], v[2:3], v[12:13]
	v_fmac_f64_e32 v[12:13], v[4:5], v[10:11]
	v_fma_f64 v[2:3], v[2:3], v[10:11], -v[6:7]
	v_mov_b64_e32 v[4:5], v[12:13]
.LBB24_22:
	s_and_saveexec_b64 s[8:9], s[2:3]
	s_cbranch_execz .LBB24_26
; %bb.23:
	v_mov_b32_e32 v7, 0
	v_subrev_u32_e32 v6, 22, v0
	v_add_u32_e32 v7, 0x168, v7
	s_movk_i32 s10, 0x2f0
	s_mov_b64 s[2:3], 0
.LBB24_24:                              ; =>This Inner Loop Header: Depth=1
	v_add_u32_e32 v10, -8, v7
	scratch_load_dwordx4 v[10:13], v10, off
	v_mov_b32_e32 v88, s10
	ds_read_b128 v[88:91], v88
	v_add_u32_e32 v6, -1, v6
	s_add_i32 s10, s10, 16
	v_cmp_eq_u32_e32 vcc, 0, v6
	v_add_u32_e32 v7, 16, v7
	s_or_b64 s[2:3], vcc, s[2:3]
	s_waitcnt vmcnt(0) lgkmcnt(0)
	v_mul_f64 v[92:93], v[90:91], v[12:13]
	v_mul_f64 v[12:13], v[88:89], v[12:13]
	v_fma_f64 v[88:89], v[88:89], v[10:11], -v[92:93]
	v_fmac_f64_e32 v[12:13], v[90:91], v[10:11]
	v_add_f64 v[2:3], v[2:3], v[88:89]
	v_add_f64 v[4:5], v[4:5], v[12:13]
	s_andn2_b64 exec, exec, s[2:3]
	s_cbranch_execnz .LBB24_24
; %bb.25:
	s_or_b64 exec, exec, s[2:3]
.LBB24_26:
	s_or_b64 exec, exec, s[8:9]
	v_mov_b32_e32 v6, 0
	ds_read_b128 v[10:13], v6 offset:336
	s_waitcnt lgkmcnt(0)
	v_mul_f64 v[6:7], v[4:5], v[12:13]
	v_mul_f64 v[90:91], v[2:3], v[12:13]
	v_fma_f64 v[88:89], v[2:3], v[10:11], -v[6:7]
	v_fmac_f64_e32 v[90:91], v[4:5], v[10:11]
	scratch_store_dwordx4 off, v[88:91], off offset:336
.LBB24_27:
	s_or_b64 exec, exec, s[4:5]
	scratch_load_dwordx4 v[2:5], v69, off
	v_cmp_lt_u32_e64 s[2:3], 20, v0
	s_waitcnt vmcnt(0)
	ds_write_b128 v9, v[2:5]
	s_waitcnt lgkmcnt(0)
	; wave barrier
	s_waitcnt lgkmcnt(0)
	s_and_saveexec_b64 s[4:5], s[2:3]
	s_cbranch_execz .LBB24_35
; %bb.28:
	ds_read_b128 v[2:5], v9
	s_andn2_b64 vcc, exec, s[6:7]
	s_cbranch_vccnz .LBB24_30
; %bb.29:
	scratch_load_dwordx4 v[10:13], v8, off
	s_waitcnt vmcnt(0) lgkmcnt(0)
	v_mul_f64 v[6:7], v[4:5], v[12:13]
	v_mul_f64 v[12:13], v[2:3], v[12:13]
	v_fmac_f64_e32 v[12:13], v[4:5], v[10:11]
	v_fma_f64 v[2:3], v[2:3], v[10:11], -v[6:7]
	v_mov_b64_e32 v[4:5], v[12:13]
.LBB24_30:
	s_and_saveexec_b64 s[8:9], s[0:1]
	s_cbranch_execz .LBB24_34
; %bb.31:
	v_mov_b32_e32 v7, 0
	v_subrev_u32_e32 v6, 21, v0
	v_add_u32_e32 v7, 0x158, v7
	s_movk_i32 s10, 0x2e0
	s_mov_b64 s[0:1], 0
.LBB24_32:                              ; =>This Inner Loop Header: Depth=1
	v_add_u32_e32 v10, -8, v7
	scratch_load_dwordx4 v[10:13], v10, off
	v_mov_b32_e32 v88, s10
	ds_read_b128 v[88:91], v88
	v_add_u32_e32 v6, -1, v6
	s_add_i32 s10, s10, 16
	v_cmp_eq_u32_e32 vcc, 0, v6
	v_add_u32_e32 v7, 16, v7
	s_or_b64 s[0:1], vcc, s[0:1]
	s_waitcnt vmcnt(0) lgkmcnt(0)
	v_mul_f64 v[92:93], v[90:91], v[12:13]
	v_mul_f64 v[12:13], v[88:89], v[12:13]
	v_fma_f64 v[88:89], v[88:89], v[10:11], -v[92:93]
	v_fmac_f64_e32 v[12:13], v[90:91], v[10:11]
	v_add_f64 v[2:3], v[2:3], v[88:89]
	v_add_f64 v[4:5], v[4:5], v[12:13]
	s_andn2_b64 exec, exec, s[0:1]
	s_cbranch_execnz .LBB24_32
; %bb.33:
	s_or_b64 exec, exec, s[0:1]
.LBB24_34:
	s_or_b64 exec, exec, s[8:9]
	v_mov_b32_e32 v6, 0
	ds_read_b128 v[10:13], v6 offset:320
	s_waitcnt lgkmcnt(0)
	v_mul_f64 v[6:7], v[4:5], v[12:13]
	v_mul_f64 v[90:91], v[2:3], v[12:13]
	v_fma_f64 v[88:89], v[2:3], v[10:11], -v[6:7]
	v_fmac_f64_e32 v[90:91], v[4:5], v[10:11]
	scratch_store_dwordx4 off, v[88:91], off offset:320
.LBB24_35:
	;; [unrolled: 63-line block ×6, first 2 shown]
	s_or_b64 exec, exec, s[4:5]
	scratch_load_dwordx4 v[2:5], v72, off
	v_cmp_lt_u32_e64 s[0:1], 15, v0
	s_waitcnt vmcnt(0)
	ds_write_b128 v9, v[2:5]
	s_waitcnt lgkmcnt(0)
	; wave barrier
	s_waitcnt lgkmcnt(0)
	s_and_saveexec_b64 s[4:5], s[0:1]
	s_cbranch_execz .LBB24_75
; %bb.68:
	ds_read_b128 v[2:5], v9
	s_andn2_b64 vcc, exec, s[6:7]
	s_cbranch_vccnz .LBB24_70
; %bb.69:
	scratch_load_dwordx4 v[10:13], v8, off
	s_waitcnt vmcnt(0) lgkmcnt(0)
	v_mul_f64 v[6:7], v[4:5], v[12:13]
	v_mul_f64 v[12:13], v[2:3], v[12:13]
	v_fmac_f64_e32 v[12:13], v[4:5], v[10:11]
	v_fma_f64 v[2:3], v[2:3], v[10:11], -v[6:7]
	v_mov_b64_e32 v[4:5], v[12:13]
.LBB24_70:
	s_and_saveexec_b64 s[8:9], s[2:3]
	s_cbranch_execz .LBB24_74
; %bb.71:
	v_mov_b32_e32 v7, 0
	v_add_u32_e32 v6, -16, v0
	v_add_u32_e32 v7, 0x108, v7
	s_movk_i32 s10, 0x290
	s_mov_b64 s[2:3], 0
.LBB24_72:                              ; =>This Inner Loop Header: Depth=1
	v_add_u32_e32 v10, -8, v7
	scratch_load_dwordx4 v[10:13], v10, off
	v_mov_b32_e32 v88, s10
	ds_read_b128 v[88:91], v88
	v_add_u32_e32 v6, -1, v6
	s_add_i32 s10, s10, 16
	v_cmp_eq_u32_e32 vcc, 0, v6
	v_add_u32_e32 v7, 16, v7
	s_or_b64 s[2:3], vcc, s[2:3]
	s_waitcnt vmcnt(0) lgkmcnt(0)
	v_mul_f64 v[92:93], v[90:91], v[12:13]
	v_mul_f64 v[12:13], v[88:89], v[12:13]
	v_fma_f64 v[88:89], v[88:89], v[10:11], -v[92:93]
	v_fmac_f64_e32 v[12:13], v[90:91], v[10:11]
	v_add_f64 v[2:3], v[2:3], v[88:89]
	v_add_f64 v[4:5], v[4:5], v[12:13]
	s_andn2_b64 exec, exec, s[2:3]
	s_cbranch_execnz .LBB24_72
; %bb.73:
	s_or_b64 exec, exec, s[2:3]
.LBB24_74:
	s_or_b64 exec, exec, s[8:9]
	v_mov_b32_e32 v6, 0
	ds_read_b128 v[10:13], v6 offset:240
	s_waitcnt lgkmcnt(0)
	v_mul_f64 v[6:7], v[4:5], v[12:13]
	v_mul_f64 v[90:91], v[2:3], v[12:13]
	v_fma_f64 v[88:89], v[2:3], v[10:11], -v[6:7]
	v_fmac_f64_e32 v[90:91], v[4:5], v[10:11]
	scratch_store_dwordx4 off, v[88:91], off offset:240
.LBB24_75:
	s_or_b64 exec, exec, s[4:5]
	scratch_load_dwordx4 v[2:5], v78, off
	v_cmp_lt_u32_e64 s[2:3], 14, v0
	s_waitcnt vmcnt(0)
	ds_write_b128 v9, v[2:5]
	s_waitcnt lgkmcnt(0)
	; wave barrier
	s_waitcnt lgkmcnt(0)
	s_and_saveexec_b64 s[4:5], s[2:3]
	s_cbranch_execz .LBB24_83
; %bb.76:
	ds_read_b128 v[2:5], v9
	s_andn2_b64 vcc, exec, s[6:7]
	s_cbranch_vccnz .LBB24_78
; %bb.77:
	scratch_load_dwordx4 v[10:13], v8, off
	s_waitcnt vmcnt(0) lgkmcnt(0)
	v_mul_f64 v[6:7], v[4:5], v[12:13]
	v_mul_f64 v[12:13], v[2:3], v[12:13]
	v_fmac_f64_e32 v[12:13], v[4:5], v[10:11]
	v_fma_f64 v[2:3], v[2:3], v[10:11], -v[6:7]
	v_mov_b64_e32 v[4:5], v[12:13]
.LBB24_78:
	s_and_saveexec_b64 s[8:9], s[0:1]
	s_cbranch_execz .LBB24_82
; %bb.79:
	v_mov_b32_e32 v7, 0
	v_add_u32_e32 v6, -15, v0
	v_add_u32_e32 v7, 0xf8, v7
	s_movk_i32 s10, 0x280
	s_mov_b64 s[0:1], 0
.LBB24_80:                              ; =>This Inner Loop Header: Depth=1
	v_add_u32_e32 v10, -8, v7
	scratch_load_dwordx4 v[10:13], v10, off
	v_mov_b32_e32 v88, s10
	ds_read_b128 v[88:91], v88
	v_add_u32_e32 v6, -1, v6
	s_add_i32 s10, s10, 16
	v_cmp_eq_u32_e32 vcc, 0, v6
	v_add_u32_e32 v7, 16, v7
	s_or_b64 s[0:1], vcc, s[0:1]
	s_waitcnt vmcnt(0) lgkmcnt(0)
	v_mul_f64 v[92:93], v[90:91], v[12:13]
	v_mul_f64 v[12:13], v[88:89], v[12:13]
	v_fma_f64 v[88:89], v[88:89], v[10:11], -v[92:93]
	v_fmac_f64_e32 v[12:13], v[90:91], v[10:11]
	v_add_f64 v[2:3], v[2:3], v[88:89]
	v_add_f64 v[4:5], v[4:5], v[12:13]
	s_andn2_b64 exec, exec, s[0:1]
	s_cbranch_execnz .LBB24_80
; %bb.81:
	s_or_b64 exec, exec, s[0:1]
.LBB24_82:
	s_or_b64 exec, exec, s[8:9]
	v_mov_b32_e32 v6, 0
	ds_read_b128 v[10:13], v6 offset:224
	s_waitcnt lgkmcnt(0)
	v_mul_f64 v[6:7], v[4:5], v[12:13]
	v_mul_f64 v[90:91], v[2:3], v[12:13]
	v_fma_f64 v[88:89], v[2:3], v[10:11], -v[6:7]
	v_fmac_f64_e32 v[90:91], v[4:5], v[10:11]
	scratch_store_dwordx4 off, v[88:91], off offset:224
.LBB24_83:
	;; [unrolled: 63-line block ×4, first 2 shown]
	s_or_b64 exec, exec, s[4:5]
	scratch_load_dwordx4 v[2:5], v85, off
	v_cmp_lt_u32_e64 s[0:1], 11, v0
	s_waitcnt vmcnt(0)
	ds_write_b128 v9, v[2:5]
	s_waitcnt lgkmcnt(0)
	; wave barrier
	s_waitcnt lgkmcnt(0)
	s_and_saveexec_b64 s[4:5], s[0:1]
	s_cbranch_execz .LBB24_107
; %bb.100:
	ds_read_b128 v[2:5], v9
	s_andn2_b64 vcc, exec, s[6:7]
	s_cbranch_vccnz .LBB24_102
; %bb.101:
	scratch_load_dwordx4 v[10:13], v8, off
	s_waitcnt vmcnt(0) lgkmcnt(0)
	v_mul_f64 v[6:7], v[4:5], v[12:13]
	v_mul_f64 v[12:13], v[2:3], v[12:13]
	v_fmac_f64_e32 v[12:13], v[4:5], v[10:11]
	v_fma_f64 v[2:3], v[2:3], v[10:11], -v[6:7]
	v_mov_b64_e32 v[4:5], v[12:13]
.LBB24_102:
	s_and_saveexec_b64 s[8:9], s[2:3]
	s_cbranch_execz .LBB24_106
; %bb.103:
	v_mov_b32_e32 v7, 0
	v_add_u32_e32 v6, -12, v0
	v_add_u32_e32 v7, 0xc8, v7
	s_movk_i32 s10, 0x250
	s_mov_b64 s[2:3], 0
.LBB24_104:                             ; =>This Inner Loop Header: Depth=1
	v_add_u32_e32 v10, -8, v7
	scratch_load_dwordx4 v[10:13], v10, off
	v_mov_b32_e32 v88, s10
	ds_read_b128 v[88:91], v88
	v_add_u32_e32 v6, -1, v6
	s_add_i32 s10, s10, 16
	v_cmp_eq_u32_e32 vcc, 0, v6
	v_add_u32_e32 v7, 16, v7
	s_or_b64 s[2:3], vcc, s[2:3]
	s_waitcnt vmcnt(0) lgkmcnt(0)
	v_mul_f64 v[92:93], v[90:91], v[12:13]
	v_mul_f64 v[12:13], v[88:89], v[12:13]
	v_fma_f64 v[88:89], v[88:89], v[10:11], -v[92:93]
	v_fmac_f64_e32 v[12:13], v[90:91], v[10:11]
	v_add_f64 v[2:3], v[2:3], v[88:89]
	v_add_f64 v[4:5], v[4:5], v[12:13]
	s_andn2_b64 exec, exec, s[2:3]
	s_cbranch_execnz .LBB24_104
; %bb.105:
	s_or_b64 exec, exec, s[2:3]
.LBB24_106:
	s_or_b64 exec, exec, s[8:9]
	v_mov_b32_e32 v6, 0
	ds_read_b128 v[10:13], v6 offset:176
	s_waitcnt lgkmcnt(0)
	v_mul_f64 v[6:7], v[4:5], v[12:13]
	v_mul_f64 v[90:91], v[2:3], v[12:13]
	v_fma_f64 v[88:89], v[2:3], v[10:11], -v[6:7]
	v_fmac_f64_e32 v[90:91], v[4:5], v[10:11]
	scratch_store_dwordx4 off, v[88:91], off offset:176
.LBB24_107:
	s_or_b64 exec, exec, s[4:5]
	scratch_load_dwordx4 v[2:5], v80, off
	v_cmp_lt_u32_e64 s[2:3], 10, v0
	s_waitcnt vmcnt(0)
	ds_write_b128 v9, v[2:5]
	s_waitcnt lgkmcnt(0)
	; wave barrier
	s_waitcnt lgkmcnt(0)
	s_and_saveexec_b64 s[4:5], s[2:3]
	s_cbranch_execz .LBB24_115
; %bb.108:
	ds_read_b128 v[2:5], v9
	s_andn2_b64 vcc, exec, s[6:7]
	s_cbranch_vccnz .LBB24_110
; %bb.109:
	scratch_load_dwordx4 v[10:13], v8, off
	s_waitcnt vmcnt(0) lgkmcnt(0)
	v_mul_f64 v[6:7], v[4:5], v[12:13]
	v_mul_f64 v[12:13], v[2:3], v[12:13]
	v_fmac_f64_e32 v[12:13], v[4:5], v[10:11]
	v_fma_f64 v[2:3], v[2:3], v[10:11], -v[6:7]
	v_mov_b64_e32 v[4:5], v[12:13]
.LBB24_110:
	s_and_saveexec_b64 s[8:9], s[0:1]
	s_cbranch_execz .LBB24_114
; %bb.111:
	v_mov_b32_e32 v7, 0
	v_add_u32_e32 v6, -11, v0
	v_add_u32_e32 v7, 0xb8, v7
	s_movk_i32 s10, 0x240
	s_mov_b64 s[0:1], 0
.LBB24_112:                             ; =>This Inner Loop Header: Depth=1
	v_add_u32_e32 v10, -8, v7
	scratch_load_dwordx4 v[10:13], v10, off
	v_mov_b32_e32 v88, s10
	ds_read_b128 v[88:91], v88
	v_add_u32_e32 v6, -1, v6
	s_add_i32 s10, s10, 16
	v_cmp_eq_u32_e32 vcc, 0, v6
	v_add_u32_e32 v7, 16, v7
	s_or_b64 s[0:1], vcc, s[0:1]
	s_waitcnt vmcnt(0) lgkmcnt(0)
	v_mul_f64 v[92:93], v[90:91], v[12:13]
	v_mul_f64 v[12:13], v[88:89], v[12:13]
	v_fma_f64 v[88:89], v[88:89], v[10:11], -v[92:93]
	v_fmac_f64_e32 v[12:13], v[90:91], v[10:11]
	v_add_f64 v[2:3], v[2:3], v[88:89]
	v_add_f64 v[4:5], v[4:5], v[12:13]
	s_andn2_b64 exec, exec, s[0:1]
	s_cbranch_execnz .LBB24_112
; %bb.113:
	s_or_b64 exec, exec, s[0:1]
.LBB24_114:
	s_or_b64 exec, exec, s[8:9]
	v_mov_b32_e32 v6, 0
	ds_read_b128 v[10:13], v6 offset:160
	s_waitcnt lgkmcnt(0)
	v_mul_f64 v[6:7], v[4:5], v[12:13]
	v_mul_f64 v[90:91], v[2:3], v[12:13]
	v_fma_f64 v[88:89], v[2:3], v[10:11], -v[6:7]
	v_fmac_f64_e32 v[90:91], v[4:5], v[10:11]
	scratch_store_dwordx4 off, v[88:91], off offset:160
.LBB24_115:
	;; [unrolled: 63-line block ×11, first 2 shown]
	s_or_b64 exec, exec, s[4:5]
	scratch_load_dwordx4 v[2:5], off, off
	v_cmp_ne_u32_e32 vcc, 0, v0
	s_mov_b64 s[2:3], 0
	s_mov_b64 s[4:5], 0
                                        ; implicit-def: $vgpr6_vgpr7
                                        ; implicit-def: $vgpr10
	s_waitcnt vmcnt(0)
	ds_write_b128 v9, v[2:5]
	s_waitcnt lgkmcnt(0)
	; wave barrier
	s_waitcnt lgkmcnt(0)
	s_and_saveexec_b64 s[8:9], vcc
	s_cbranch_execz .LBB24_195
; %bb.188:
	ds_read_b128 v[2:5], v9
	s_andn2_b64 vcc, exec, s[6:7]
	s_cbranch_vccnz .LBB24_190
; %bb.189:
	scratch_load_dwordx4 v[10:13], v8, off
	s_waitcnt vmcnt(0) lgkmcnt(0)
	v_mul_f64 v[6:7], v[4:5], v[12:13]
	v_mul_f64 v[12:13], v[2:3], v[12:13]
	v_fmac_f64_e32 v[12:13], v[4:5], v[10:11]
	v_fma_f64 v[2:3], v[2:3], v[10:11], -v[6:7]
	v_mov_b64_e32 v[4:5], v[12:13]
.LBB24_190:
	s_and_saveexec_b64 s[4:5], s[0:1]
	s_cbranch_execz .LBB24_194
; %bb.191:
	v_mov_b32_e32 v7, 0
	v_add_u32_e32 v6, -1, v0
	v_add_u32_e32 v7, 24, v7
	s_movk_i32 s10, 0x1a0
	s_mov_b64 s[0:1], 0
.LBB24_192:                             ; =>This Inner Loop Header: Depth=1
	v_add_u32_e32 v10, -8, v7
	scratch_load_dwordx4 v[10:13], v10, off
	v_mov_b32_e32 v88, s10
	ds_read_b128 v[88:91], v88
	v_add_u32_e32 v6, -1, v6
	s_add_i32 s10, s10, 16
	v_cmp_eq_u32_e32 vcc, 0, v6
	v_add_u32_e32 v7, 16, v7
	s_or_b64 s[0:1], vcc, s[0:1]
	s_waitcnt vmcnt(0) lgkmcnt(0)
	v_mul_f64 v[92:93], v[90:91], v[12:13]
	v_mul_f64 v[12:13], v[88:89], v[12:13]
	v_fma_f64 v[88:89], v[88:89], v[10:11], -v[92:93]
	v_fmac_f64_e32 v[12:13], v[90:91], v[10:11]
	v_add_f64 v[2:3], v[2:3], v[88:89]
	v_add_f64 v[4:5], v[4:5], v[12:13]
	s_andn2_b64 exec, exec, s[0:1]
	s_cbranch_execnz .LBB24_192
; %bb.193:
	s_or_b64 exec, exec, s[0:1]
.LBB24_194:
	s_or_b64 exec, exec, s[4:5]
	v_mov_b32_e32 v6, 0
	ds_read_b128 v[88:91], v6
	v_mov_b32_e32 v6, 0
	v_or_b32_e32 v10, 8, v6
	s_mov_b64 s[4:5], exec
	s_waitcnt lgkmcnt(0)
	v_mul_f64 v[12:13], v[4:5], v[90:91]
	v_mul_f64 v[6:7], v[2:3], v[90:91]
	v_fma_f64 v[2:3], v[2:3], v[88:89], -v[12:13]
	v_fmac_f64_e32 v[6:7], v[4:5], v[88:89]
	scratch_store_dwordx2 off, v[2:3], off
.LBB24_195:
	s_or_b64 exec, exec, s[8:9]
	s_and_b64 vcc, exec, s[2:3]
	s_cbranch_vccnz .LBB24_197
	s_branch .LBB24_384
.LBB24_196:
	s_mov_b64 s[4:5], 0
                                        ; implicit-def: $vgpr6_vgpr7
                                        ; implicit-def: $vgpr10
	s_cbranch_execz .LBB24_384
.LBB24_197:
	scratch_load_dwordx4 v[2:5], v76, off
	v_cndmask_b32_e64 v6, 0, 1, s[6:7]
	v_cmp_eq_u32_e64 s[2:3], 0, v0
	v_cmp_ne_u32_e64 s[0:1], 1, v6
	s_waitcnt vmcnt(0)
	ds_write_b128 v9, v[2:5]
	s_waitcnt lgkmcnt(0)
	; wave barrier
	s_waitcnt lgkmcnt(0)
	s_and_saveexec_b64 s[6:7], s[2:3]
	s_cbranch_execz .LBB24_201
; %bb.198:
	ds_read_b128 v[2:5], v9
	s_and_b64 vcc, exec, s[0:1]
	s_cbranch_vccnz .LBB24_200
; %bb.199:
	scratch_load_dwordx4 v[10:13], v8, off
	s_waitcnt vmcnt(0) lgkmcnt(0)
	v_mul_f64 v[6:7], v[4:5], v[12:13]
	v_mul_f64 v[12:13], v[2:3], v[12:13]
	v_fmac_f64_e32 v[12:13], v[4:5], v[10:11]
	v_fma_f64 v[2:3], v[2:3], v[10:11], -v[6:7]
	v_mov_b64_e32 v[4:5], v[12:13]
.LBB24_200:
	v_mov_b32_e32 v6, 0
	ds_read_b128 v[10:13], v6 offset:16
	s_waitcnt lgkmcnt(0)
	v_mul_f64 v[6:7], v[4:5], v[12:13]
	v_mul_f64 v[90:91], v[2:3], v[12:13]
	v_fma_f64 v[88:89], v[2:3], v[10:11], -v[6:7]
	v_fmac_f64_e32 v[90:91], v[4:5], v[10:11]
	scratch_store_dwordx4 off, v[88:91], off offset:16
.LBB24_201:
	s_or_b64 exec, exec, s[6:7]
	scratch_load_dwordx4 v[2:5], v84, off
	v_cmp_gt_u32_e32 vcc, 2, v0
	s_waitcnt vmcnt(0)
	ds_write_b128 v9, v[2:5]
	s_waitcnt lgkmcnt(0)
	; wave barrier
	s_waitcnt lgkmcnt(0)
	s_and_saveexec_b64 s[6:7], vcc
	s_cbranch_execz .LBB24_207
; %bb.202:
	ds_read_b128 v[2:5], v9
	s_and_b64 vcc, exec, s[0:1]
	s_cbranch_vccnz .LBB24_204
; %bb.203:
	scratch_load_dwordx4 v[10:13], v8, off
	s_waitcnt vmcnt(0) lgkmcnt(0)
	v_mul_f64 v[6:7], v[4:5], v[12:13]
	v_mul_f64 v[12:13], v[2:3], v[12:13]
	v_fmac_f64_e32 v[12:13], v[4:5], v[10:11]
	v_fma_f64 v[2:3], v[2:3], v[10:11], -v[6:7]
	v_mov_b64_e32 v[4:5], v[12:13]
.LBB24_204:
	s_and_saveexec_b64 s[8:9], s[2:3]
	s_cbranch_execz .LBB24_206
; %bb.205:
	scratch_load_dwordx4 v[10:13], v8, off offset:16
	ds_read_b128 v[88:91], v9 offset:16
	s_waitcnt vmcnt(0) lgkmcnt(0)
	v_mul_f64 v[6:7], v[90:91], v[12:13]
	v_mul_f64 v[12:13], v[88:89], v[12:13]
	v_fma_f64 v[6:7], v[88:89], v[10:11], -v[6:7]
	v_fmac_f64_e32 v[12:13], v[90:91], v[10:11]
	v_add_f64 v[2:3], v[2:3], v[6:7]
	v_add_f64 v[4:5], v[4:5], v[12:13]
.LBB24_206:
	s_or_b64 exec, exec, s[8:9]
	v_mov_b32_e32 v6, 0
	ds_read_b128 v[10:13], v6 offset:32
	s_waitcnt lgkmcnt(0)
	v_mul_f64 v[6:7], v[4:5], v[12:13]
	v_mul_f64 v[90:91], v[2:3], v[12:13]
	v_fma_f64 v[88:89], v[2:3], v[10:11], -v[6:7]
	v_fmac_f64_e32 v[90:91], v[4:5], v[10:11]
	scratch_store_dwordx4 off, v[88:91], off offset:32
.LBB24_207:
	s_or_b64 exec, exec, s[6:7]
	scratch_load_dwordx4 v[2:5], v75, off
	v_cmp_gt_u32_e32 vcc, 3, v0
	s_waitcnt vmcnt(0)
	ds_write_b128 v9, v[2:5]
	s_waitcnt lgkmcnt(0)
	; wave barrier
	s_waitcnt lgkmcnt(0)
	s_and_saveexec_b64 s[6:7], vcc
	s_cbranch_execz .LBB24_215
; %bb.208:
	ds_read_b128 v[2:5], v9
	s_and_b64 vcc, exec, s[0:1]
	s_cbranch_vccnz .LBB24_210
; %bb.209:
	scratch_load_dwordx4 v[10:13], v8, off
	s_waitcnt vmcnt(0) lgkmcnt(0)
	v_mul_f64 v[6:7], v[4:5], v[12:13]
	v_mul_f64 v[12:13], v[2:3], v[12:13]
	v_fmac_f64_e32 v[12:13], v[4:5], v[10:11]
	v_fma_f64 v[2:3], v[2:3], v[10:11], -v[6:7]
	v_mov_b64_e32 v[4:5], v[12:13]
.LBB24_210:
	v_cmp_ne_u32_e32 vcc, 2, v0
	s_and_saveexec_b64 s[8:9], vcc
	s_cbranch_execz .LBB24_214
; %bb.211:
	scratch_load_dwordx4 v[10:13], v8, off offset:16
	ds_read_b128 v[88:91], v9 offset:16
	s_waitcnt vmcnt(0) lgkmcnt(0)
	v_mul_f64 v[6:7], v[90:91], v[12:13]
	v_mul_f64 v[12:13], v[88:89], v[12:13]
	v_fma_f64 v[6:7], v[88:89], v[10:11], -v[6:7]
	v_fmac_f64_e32 v[12:13], v[90:91], v[10:11]
	v_add_f64 v[2:3], v[2:3], v[6:7]
	v_add_f64 v[4:5], v[4:5], v[12:13]
	s_and_saveexec_b64 s[10:11], s[2:3]
	s_cbranch_execz .LBB24_213
; %bb.212:
	scratch_load_dwordx4 v[10:13], off, off offset:32
	v_mov_b32_e32 v6, 0
	ds_read_b128 v[88:91], v6 offset:432
	s_waitcnt vmcnt(0) lgkmcnt(0)
	v_mul_f64 v[6:7], v[88:89], v[12:13]
	v_mul_f64 v[12:13], v[90:91], v[12:13]
	v_fmac_f64_e32 v[6:7], v[90:91], v[10:11]
	v_fma_f64 v[10:11], v[88:89], v[10:11], -v[12:13]
	v_add_f64 v[4:5], v[4:5], v[6:7]
	v_add_f64 v[2:3], v[2:3], v[10:11]
.LBB24_213:
	s_or_b64 exec, exec, s[10:11]
.LBB24_214:
	s_or_b64 exec, exec, s[8:9]
	v_mov_b32_e32 v6, 0
	ds_read_b128 v[10:13], v6 offset:48
	s_waitcnt lgkmcnt(0)
	v_mul_f64 v[6:7], v[4:5], v[12:13]
	v_mul_f64 v[90:91], v[2:3], v[12:13]
	v_fma_f64 v[88:89], v[2:3], v[10:11], -v[6:7]
	v_fmac_f64_e32 v[90:91], v[4:5], v[10:11]
	scratch_store_dwordx4 off, v[88:91], off offset:48
.LBB24_215:
	s_or_b64 exec, exec, s[6:7]
	scratch_load_dwordx4 v[2:5], v83, off
	v_cmp_gt_u32_e32 vcc, 4, v0
	s_waitcnt vmcnt(0)
	ds_write_b128 v9, v[2:5]
	s_waitcnt lgkmcnt(0)
	; wave barrier
	s_waitcnt lgkmcnt(0)
	s_and_saveexec_b64 s[2:3], vcc
	s_cbranch_execz .LBB24_223
; %bb.216:
	ds_read_b128 v[2:5], v9
	s_and_b64 vcc, exec, s[0:1]
	s_cbranch_vccnz .LBB24_218
; %bb.217:
	scratch_load_dwordx4 v[10:13], v8, off
	s_waitcnt vmcnt(0) lgkmcnt(0)
	v_mul_f64 v[6:7], v[4:5], v[12:13]
	v_mul_f64 v[12:13], v[2:3], v[12:13]
	v_fmac_f64_e32 v[12:13], v[4:5], v[10:11]
	v_fma_f64 v[2:3], v[2:3], v[10:11], -v[6:7]
	v_mov_b64_e32 v[4:5], v[12:13]
.LBB24_218:
	v_cmp_ne_u32_e32 vcc, 3, v0
	s_and_saveexec_b64 s[6:7], vcc
	s_cbranch_execz .LBB24_222
; %bb.219:
	v_mov_b32_e32 v7, 0
	v_add_u32_e32 v6, 0x1a0, v60
	v_add3_u32 v7, v60, v7, 24
	s_mov_b64 s[8:9], 0
	v_mov_b32_e32 v10, v0
.LBB24_220:                             ; =>This Inner Loop Header: Depth=1
	v_add_u32_e32 v11, -8, v7
	scratch_load_dwordx4 v[88:91], v11, off
	ds_read_b128 v[92:95], v6
	v_add_u32_e32 v10, 1, v10
	v_cmp_lt_u32_e32 vcc, 2, v10
	v_add_u32_e32 v6, 16, v6
	v_add_u32_e32 v7, 16, v7
	s_or_b64 s[8:9], vcc, s[8:9]
	s_waitcnt vmcnt(0) lgkmcnt(0)
	v_mul_f64 v[12:13], v[94:95], v[90:91]
	v_mul_f64 v[90:91], v[92:93], v[90:91]
	v_fma_f64 v[12:13], v[92:93], v[88:89], -v[12:13]
	v_fmac_f64_e32 v[90:91], v[94:95], v[88:89]
	v_add_f64 v[2:3], v[2:3], v[12:13]
	v_add_f64 v[4:5], v[4:5], v[90:91]
	s_andn2_b64 exec, exec, s[8:9]
	s_cbranch_execnz .LBB24_220
; %bb.221:
	s_or_b64 exec, exec, s[8:9]
.LBB24_222:
	s_or_b64 exec, exec, s[6:7]
	v_mov_b32_e32 v6, 0
	ds_read_b128 v[10:13], v6 offset:64
	s_waitcnt lgkmcnt(0)
	v_mul_f64 v[6:7], v[4:5], v[12:13]
	v_mul_f64 v[90:91], v[2:3], v[12:13]
	v_fma_f64 v[88:89], v[2:3], v[10:11], -v[6:7]
	v_fmac_f64_e32 v[90:91], v[4:5], v[10:11]
	scratch_store_dwordx4 off, v[88:91], off offset:64
.LBB24_223:
	s_or_b64 exec, exec, s[2:3]
	scratch_load_dwordx4 v[2:5], v74, off
	v_cmp_gt_u32_e32 vcc, 5, v0
	s_waitcnt vmcnt(0)
	ds_write_b128 v9, v[2:5]
	s_waitcnt lgkmcnt(0)
	; wave barrier
	s_waitcnt lgkmcnt(0)
	s_and_saveexec_b64 s[2:3], vcc
	s_cbranch_execz .LBB24_231
; %bb.224:
	ds_read_b128 v[2:5], v9
	s_and_b64 vcc, exec, s[0:1]
	s_cbranch_vccnz .LBB24_226
; %bb.225:
	scratch_load_dwordx4 v[10:13], v8, off
	s_waitcnt vmcnt(0) lgkmcnt(0)
	v_mul_f64 v[6:7], v[4:5], v[12:13]
	v_mul_f64 v[12:13], v[2:3], v[12:13]
	v_fmac_f64_e32 v[12:13], v[4:5], v[10:11]
	v_fma_f64 v[2:3], v[2:3], v[10:11], -v[6:7]
	v_mov_b64_e32 v[4:5], v[12:13]
.LBB24_226:
	v_cmp_ne_u32_e32 vcc, 4, v0
	s_and_saveexec_b64 s[6:7], vcc
	s_cbranch_execz .LBB24_230
; %bb.227:
	v_mov_b32_e32 v7, 0
	v_add_u32_e32 v6, 0x1a0, v60
	v_add3_u32 v7, v60, v7, 24
	s_mov_b64 s[8:9], 0
	v_mov_b32_e32 v10, v0
.LBB24_228:                             ; =>This Inner Loop Header: Depth=1
	v_add_u32_e32 v11, -8, v7
	scratch_load_dwordx4 v[88:91], v11, off
	ds_read_b128 v[92:95], v6
	v_add_u32_e32 v10, 1, v10
	v_cmp_lt_u32_e32 vcc, 3, v10
	v_add_u32_e32 v6, 16, v6
	v_add_u32_e32 v7, 16, v7
	s_or_b64 s[8:9], vcc, s[8:9]
	s_waitcnt vmcnt(0) lgkmcnt(0)
	v_mul_f64 v[12:13], v[94:95], v[90:91]
	v_mul_f64 v[90:91], v[92:93], v[90:91]
	v_fma_f64 v[12:13], v[92:93], v[88:89], -v[12:13]
	v_fmac_f64_e32 v[90:91], v[94:95], v[88:89]
	v_add_f64 v[2:3], v[2:3], v[12:13]
	v_add_f64 v[4:5], v[4:5], v[90:91]
	s_andn2_b64 exec, exec, s[8:9]
	s_cbranch_execnz .LBB24_228
; %bb.229:
	s_or_b64 exec, exec, s[8:9]
.LBB24_230:
	s_or_b64 exec, exec, s[6:7]
	v_mov_b32_e32 v6, 0
	ds_read_b128 v[10:13], v6 offset:80
	s_waitcnt lgkmcnt(0)
	v_mul_f64 v[6:7], v[4:5], v[12:13]
	v_mul_f64 v[90:91], v[2:3], v[12:13]
	v_fma_f64 v[88:89], v[2:3], v[10:11], -v[6:7]
	v_fmac_f64_e32 v[90:91], v[4:5], v[10:11]
	scratch_store_dwordx4 off, v[88:91], off offset:80
.LBB24_231:
	;; [unrolled: 63-line block ×19, first 2 shown]
	s_or_b64 exec, exec, s[2:3]
	scratch_load_dwordx4 v[2:5], v61, off
	v_cmp_gt_u32_e64 s[2:3], 23, v0
	s_waitcnt vmcnt(0)
	ds_write_b128 v9, v[2:5]
	s_waitcnt lgkmcnt(0)
	; wave barrier
	s_waitcnt lgkmcnt(0)
	s_and_saveexec_b64 s[6:7], s[2:3]
	s_cbranch_execz .LBB24_375
; %bb.368:
	ds_read_b128 v[2:5], v9
	s_and_b64 vcc, exec, s[0:1]
	s_cbranch_vccnz .LBB24_370
; %bb.369:
	scratch_load_dwordx4 v[10:13], v8, off
	s_waitcnt vmcnt(0) lgkmcnt(0)
	v_mul_f64 v[6:7], v[4:5], v[12:13]
	v_mul_f64 v[12:13], v[2:3], v[12:13]
	v_fmac_f64_e32 v[12:13], v[4:5], v[10:11]
	v_fma_f64 v[2:3], v[2:3], v[10:11], -v[6:7]
	v_mov_b64_e32 v[4:5], v[12:13]
.LBB24_370:
	v_cmp_ne_u32_e32 vcc, 22, v0
	s_and_saveexec_b64 s[8:9], vcc
	s_cbranch_execz .LBB24_374
; %bb.371:
	v_mov_b32_e32 v7, 0
	v_add_u32_e32 v6, 0x1a0, v60
	v_add3_u32 v7, v60, v7, 24
	s_mov_b64 s[10:11], 0
	v_mov_b32_e32 v10, v0
.LBB24_372:                             ; =>This Inner Loop Header: Depth=1
	v_add_u32_e32 v11, -8, v7
	scratch_load_dwordx4 v[88:91], v11, off
	ds_read_b128 v[92:95], v6
	v_add_u32_e32 v10, 1, v10
	v_cmp_lt_u32_e32 vcc, 21, v10
	v_add_u32_e32 v6, 16, v6
	v_add_u32_e32 v7, 16, v7
	s_or_b64 s[10:11], vcc, s[10:11]
	s_waitcnt vmcnt(0) lgkmcnt(0)
	v_mul_f64 v[12:13], v[94:95], v[90:91]
	v_mul_f64 v[90:91], v[92:93], v[90:91]
	v_fma_f64 v[12:13], v[92:93], v[88:89], -v[12:13]
	v_fmac_f64_e32 v[90:91], v[94:95], v[88:89]
	v_add_f64 v[2:3], v[2:3], v[12:13]
	v_add_f64 v[4:5], v[4:5], v[90:91]
	s_andn2_b64 exec, exec, s[10:11]
	s_cbranch_execnz .LBB24_372
; %bb.373:
	s_or_b64 exec, exec, s[10:11]
.LBB24_374:
	s_or_b64 exec, exec, s[8:9]
	v_mov_b32_e32 v6, 0
	ds_read_b128 v[10:13], v6 offset:368
	s_waitcnt lgkmcnt(0)
	v_mul_f64 v[6:7], v[4:5], v[12:13]
	v_mul_f64 v[90:91], v[2:3], v[12:13]
	v_fma_f64 v[88:89], v[2:3], v[10:11], -v[6:7]
	v_fmac_f64_e32 v[90:91], v[4:5], v[10:11]
	scratch_store_dwordx4 off, v[88:91], off offset:368
.LBB24_375:
	s_or_b64 exec, exec, s[6:7]
	scratch_load_dwordx4 v[2:5], v1, off
	v_cmp_ne_u32_e32 vcc, 24, v0
                                        ; implicit-def: $vgpr6_vgpr7
                                        ; implicit-def: $vgpr10
	s_waitcnt vmcnt(0)
	ds_write_b128 v9, v[2:5]
	s_waitcnt lgkmcnt(0)
	; wave barrier
	s_waitcnt lgkmcnt(0)
	s_and_saveexec_b64 s[6:7], vcc
	s_cbranch_execz .LBB24_383
; %bb.376:
	ds_read_b128 v[2:5], v9
	s_and_b64 vcc, exec, s[0:1]
	s_cbranch_vccnz .LBB24_378
; %bb.377:
	scratch_load_dwordx4 v[6:9], v8, off
	s_waitcnt vmcnt(0) lgkmcnt(0)
	v_mul_f64 v[10:11], v[4:5], v[8:9]
	v_mul_f64 v[8:9], v[2:3], v[8:9]
	v_fmac_f64_e32 v[8:9], v[4:5], v[6:7]
	v_fma_f64 v[2:3], v[2:3], v[6:7], -v[10:11]
	v_mov_b64_e32 v[4:5], v[8:9]
.LBB24_378:
	s_and_saveexec_b64 s[0:1], s[2:3]
	s_cbranch_execz .LBB24_382
; %bb.379:
	v_mov_b32_e32 v7, 0
	v_add_u32_e32 v6, 0x1a0, v60
	v_add3_u32 v7, v60, v7, 24
	s_mov_b64 s[2:3], 0
.LBB24_380:                             ; =>This Inner Loop Header: Depth=1
	v_add_u32_e32 v8, -8, v7
	scratch_load_dwordx4 v[8:11], v8, off
	ds_read_b128 v[88:91], v6
	v_add_u32_e32 v0, 1, v0
	v_cmp_lt_u32_e32 vcc, 22, v0
	v_add_u32_e32 v6, 16, v6
	v_add_u32_e32 v7, 16, v7
	s_or_b64 s[2:3], vcc, s[2:3]
	s_waitcnt vmcnt(0) lgkmcnt(0)
	v_mul_f64 v[12:13], v[90:91], v[10:11]
	v_mul_f64 v[10:11], v[88:89], v[10:11]
	v_fma_f64 v[12:13], v[88:89], v[8:9], -v[12:13]
	v_fmac_f64_e32 v[10:11], v[90:91], v[8:9]
	v_add_f64 v[2:3], v[2:3], v[12:13]
	v_add_f64 v[4:5], v[4:5], v[10:11]
	s_andn2_b64 exec, exec, s[2:3]
	s_cbranch_execnz .LBB24_380
; %bb.381:
	s_or_b64 exec, exec, s[2:3]
.LBB24_382:
	s_or_b64 exec, exec, s[0:1]
	v_mov_b32_e32 v0, 0
	ds_read_b128 v[88:91], v0 offset:384
	v_mov_b32_e32 v0, 0
	v_add_u32_e32 v10, 0x188, v0
	s_or_b64 s[4:5], s[4:5], exec
	s_waitcnt lgkmcnt(0)
	v_mul_f64 v[8:9], v[4:5], v[90:91]
	v_mul_f64 v[6:7], v[2:3], v[90:91]
	v_fma_f64 v[2:3], v[2:3], v[88:89], -v[8:9]
	v_fmac_f64_e32 v[6:7], v[4:5], v[88:89]
	scratch_store_dwordx2 off, v[2:3], off offset:384
.LBB24_383:
	s_or_b64 exec, exec, s[6:7]
.LBB24_384:
	s_and_saveexec_b64 s[0:1], s[4:5]
	s_cbranch_execz .LBB24_386
; %bb.385:
	scratch_store_dwordx2 v10, v[6:7], off
.LBB24_386:
	s_or_b64 exec, exec, s[0:1]
	scratch_load_dwordx4 v[2:5], off, off
	scratch_load_dwordx4 v[6:9], v76, off
	scratch_load_dwordx4 v[10:13], v84, off
	;; [unrolled: 1-line block ×12, first 2 shown]
                                        ; kill: killed $vgpr87
                                        ; kill: killed $vgpr84
                                        ; kill: killed $vgpr86
                                        ; kill: killed $vgpr83
                                        ; kill: killed $vgpr85
                                        ; kill: killed $vgpr82
                                        ; kill: killed $vgpr76
                                        ; kill: killed $vgpr81
                                        ; kill: killed $vgpr75
                                        ; kill: killed $vgpr80
                                        ; kill: killed $vgpr74
                                        ; kill: killed $vgpr79
	s_nop 0
	scratch_load_dwordx4 v[80:83], v77, off
	scratch_load_dwordx4 v[84:87], v78, off
	s_waitcnt vmcnt(14)
	global_store_dwordx4 v[16:17], v[2:5], off
	scratch_load_dwordx4 v[2:5], v72, off
	s_nop 0
	scratch_load_dwordx4 v[74:77], v73, off
	s_waitcnt vmcnt(16)
	global_store_dwordx4 v[14:15], v[6:9], off
	scratch_load_dwordx4 v[6:9], v70, off
	s_nop 0
	;; [unrolled: 5-line block ×5, first 2 shown]
	scratch_load_dwordx4 v[92:95], v1, off
	s_waitcnt vmcnt(24)
	global_store_dwordx4 v[24:25], v[96:99], off
	s_waitcnt vmcnt(24)
	global_store_dwordx4 v[26:27], v[100:103], off
	;; [unrolled: 2-line block ×20, first 2 shown]
.LBB24_387:
	s_endpgm
	.section	.rodata,"a",@progbits
	.p2align	6, 0x0
	.amdhsa_kernel _ZN9rocsolver6v33100L18trti2_kernel_smallILi25E19rocblas_complex_numIdEPS3_EEv13rocblas_fill_17rocblas_diagonal_T1_iil
		.amdhsa_group_segment_fixed_size 800
		.amdhsa_private_segment_fixed_size 416
		.amdhsa_kernarg_size 32
		.amdhsa_user_sgpr_count 2
		.amdhsa_user_sgpr_dispatch_ptr 0
		.amdhsa_user_sgpr_queue_ptr 0
		.amdhsa_user_sgpr_kernarg_segment_ptr 1
		.amdhsa_user_sgpr_dispatch_id 0
		.amdhsa_user_sgpr_kernarg_preload_length 0
		.amdhsa_user_sgpr_kernarg_preload_offset 0
		.amdhsa_user_sgpr_private_segment_size 0
		.amdhsa_uses_dynamic_stack 0
		.amdhsa_enable_private_segment 1
		.amdhsa_system_sgpr_workgroup_id_x 1
		.amdhsa_system_sgpr_workgroup_id_y 0
		.amdhsa_system_sgpr_workgroup_id_z 0
		.amdhsa_system_sgpr_workgroup_info 0
		.amdhsa_system_vgpr_workitem_id 0
		.amdhsa_next_free_vgpr 128
		.amdhsa_next_free_sgpr 12
		.amdhsa_accum_offset 128
		.amdhsa_reserve_vcc 1
		.amdhsa_float_round_mode_32 0
		.amdhsa_float_round_mode_16_64 0
		.amdhsa_float_denorm_mode_32 3
		.amdhsa_float_denorm_mode_16_64 3
		.amdhsa_dx10_clamp 1
		.amdhsa_ieee_mode 1
		.amdhsa_fp16_overflow 0
		.amdhsa_tg_split 0
		.amdhsa_exception_fp_ieee_invalid_op 0
		.amdhsa_exception_fp_denorm_src 0
		.amdhsa_exception_fp_ieee_div_zero 0
		.amdhsa_exception_fp_ieee_overflow 0
		.amdhsa_exception_fp_ieee_underflow 0
		.amdhsa_exception_fp_ieee_inexact 0
		.amdhsa_exception_int_div_zero 0
	.end_amdhsa_kernel
	.section	.text._ZN9rocsolver6v33100L18trti2_kernel_smallILi25E19rocblas_complex_numIdEPS3_EEv13rocblas_fill_17rocblas_diagonal_T1_iil,"axG",@progbits,_ZN9rocsolver6v33100L18trti2_kernel_smallILi25E19rocblas_complex_numIdEPS3_EEv13rocblas_fill_17rocblas_diagonal_T1_iil,comdat
.Lfunc_end24:
	.size	_ZN9rocsolver6v33100L18trti2_kernel_smallILi25E19rocblas_complex_numIdEPS3_EEv13rocblas_fill_17rocblas_diagonal_T1_iil, .Lfunc_end24-_ZN9rocsolver6v33100L18trti2_kernel_smallILi25E19rocblas_complex_numIdEPS3_EEv13rocblas_fill_17rocblas_diagonal_T1_iil
                                        ; -- End function
	.section	.AMDGPU.csdata,"",@progbits
; Kernel info:
; codeLenInByte = 16328
; NumSgprs: 18
; NumVgprs: 128
; NumAgprs: 0
; TotalNumVgprs: 128
; ScratchSize: 416
; MemoryBound: 0
; FloatMode: 240
; IeeeMode: 1
; LDSByteSize: 800 bytes/workgroup (compile time only)
; SGPRBlocks: 2
; VGPRBlocks: 15
; NumSGPRsForWavesPerEU: 18
; NumVGPRsForWavesPerEU: 128
; AccumOffset: 128
; Occupancy: 4
; WaveLimiterHint : 0
; COMPUTE_PGM_RSRC2:SCRATCH_EN: 1
; COMPUTE_PGM_RSRC2:USER_SGPR: 2
; COMPUTE_PGM_RSRC2:TRAP_HANDLER: 0
; COMPUTE_PGM_RSRC2:TGID_X_EN: 1
; COMPUTE_PGM_RSRC2:TGID_Y_EN: 0
; COMPUTE_PGM_RSRC2:TGID_Z_EN: 0
; COMPUTE_PGM_RSRC2:TIDIG_COMP_CNT: 0
; COMPUTE_PGM_RSRC3_GFX90A:ACCUM_OFFSET: 31
; COMPUTE_PGM_RSRC3_GFX90A:TG_SPLIT: 0
	.section	.text._ZN9rocsolver6v33100L18trti2_kernel_smallILi26E19rocblas_complex_numIdEPS3_EEv13rocblas_fill_17rocblas_diagonal_T1_iil,"axG",@progbits,_ZN9rocsolver6v33100L18trti2_kernel_smallILi26E19rocblas_complex_numIdEPS3_EEv13rocblas_fill_17rocblas_diagonal_T1_iil,comdat
	.globl	_ZN9rocsolver6v33100L18trti2_kernel_smallILi26E19rocblas_complex_numIdEPS3_EEv13rocblas_fill_17rocblas_diagonal_T1_iil ; -- Begin function _ZN9rocsolver6v33100L18trti2_kernel_smallILi26E19rocblas_complex_numIdEPS3_EEv13rocblas_fill_17rocblas_diagonal_T1_iil
	.p2align	8
	.type	_ZN9rocsolver6v33100L18trti2_kernel_smallILi26E19rocblas_complex_numIdEPS3_EEv13rocblas_fill_17rocblas_diagonal_T1_iil,@function
_ZN9rocsolver6v33100L18trti2_kernel_smallILi26E19rocblas_complex_numIdEPS3_EEv13rocblas_fill_17rocblas_diagonal_T1_iil: ; @_ZN9rocsolver6v33100L18trti2_kernel_smallILi26E19rocblas_complex_numIdEPS3_EEv13rocblas_fill_17rocblas_diagonal_T1_iil
; %bb.0:
	v_cmp_gt_u32_e32 vcc, 26, v0
	s_and_saveexec_b64 s[4:5], vcc
	s_cbranch_execz .LBB25_403
; %bb.1:
	s_load_dwordx8 s[4:11], s[0:1], 0x0
	s_ashr_i32 s3, s2, 31
	v_lshlrev_b32_e32 v46, 4, v0
	v_mov_b32_e32 v47, 0
	v_mov_b32_e32 v1, 0
	s_waitcnt lgkmcnt(0)
	s_ashr_i32 s1, s8, 31
	s_mov_b32 s0, s8
	s_mul_i32 s8, s2, s11
	s_mul_hi_u32 s11, s2, s10
	s_add_i32 s8, s11, s8
	s_mul_i32 s3, s3, s10
	s_add_i32 s3, s8, s3
	s_mul_i32 s2, s2, s10
	s_lshl_b64 s[2:3], s[2:3], 4
	s_add_u32 s2, s6, s2
	s_addc_u32 s3, s7, s3
	s_lshl_b64 s[0:1], s[0:1], 4
	s_add_u32 s0, s2, s0
	s_addc_u32 s1, s3, s1
	v_lshl_add_u64 v[14:15], s[0:1], 0, v[46:47]
	s_ashr_i32 s3, s9, 31
	s_mov_b32 s2, s9
	v_lshl_add_u64 v[16:17], s[2:3], 4, v[14:15]
	s_add_i32 s2, s9, s9
	v_add_u32_e32 v20, s2, v0
	v_add_u32_e32 v22, s9, v20
	;; [unrolled: 1-line block ×6, first 2 shown]
	v_ashrrev_i32_e32 v21, 31, v20
	v_ashrrev_i32_e32 v23, 31, v22
	;; [unrolled: 1-line block ×6, first 2 shown]
	v_add_u32_e32 v32, s9, v30
	v_lshl_add_u64 v[18:19], v[20:21], 4, s[0:1]
	v_lshl_add_u64 v[20:21], v[22:23], 4, s[0:1]
	;; [unrolled: 1-line block ×6, first 2 shown]
	v_ashrrev_i32_e32 v33, 31, v32
	global_load_dwordx4 v[2:5], v46, s[0:1]
	global_load_dwordx4 v[6:9], v[16:17], off
	global_load_dwordx4 v[10:13], v[18:19], off
	;; [unrolled: 1-line block ×6, first 2 shown]
	v_lshl_add_u64 v[30:31], v[32:33], 4, s[0:1]
	global_load_dwordx4 v[66:69], v[28:29], off
	global_load_dwordx4 v[70:73], v[30:31], off
	v_add_u32_e32 v32, s9, v32
	v_add_u32_e32 v34, s9, v32
	;; [unrolled: 1-line block ×17, first 2 shown]
	v_ashrrev_i32_e32 v33, 31, v32
	v_ashrrev_i32_e32 v37, 31, v36
	;; [unrolled: 1-line block ×4, first 2 shown]
	v_lshl_add_u64 v[32:33], v[32:33], 4, s[0:1]
	v_ashrrev_i32_e32 v35, 31, v34
	v_lshl_add_u64 v[36:37], v[36:37], 4, s[0:1]
	v_ashrrev_i32_e32 v39, 31, v38
	;; [unrolled: 2-line block ×3, first 2 shown]
	v_ashrrev_i32_e32 v45, 31, v44
	v_lshl_add_u64 v[48:49], v[48:49], 4, s[0:1]
	v_ashrrev_i32_e32 v105, 31, v104
	v_ashrrev_i32_e32 v109, 31, v108
	;; [unrolled: 1-line block ×4, first 2 shown]
	v_lshl_add_u64 v[34:35], v[34:35], 4, s[0:1]
	global_load_dwordx4 v[74:77], v[32:33], off
	global_load_dwordx4 v[78:81], v[34:35], off
	v_lshl_add_u64 v[38:39], v[38:39], 4, s[0:1]
	global_load_dwordx4 v[82:85], v[36:37], off
	global_load_dwordx4 v[86:89], v[38:39], off
	;; [unrolled: 3-line block ×3, first 2 shown]
	v_lshl_add_u64 v[44:45], v[44:45], 4, s[0:1]
	v_ashrrev_i32_e32 v103, 31, v102
	global_load_dwordx4 v[98:101], v[48:49], off
	v_ashrrev_i32_e32 v107, 31, v106
	v_ashrrev_i32_e32 v111, 31, v110
	;; [unrolled: 1-line block ×4, first 2 shown]
	s_cmpk_lg_i32 s5, 0x84
	s_cselect_b64 s[6:7], -1, 0
	s_cmpk_eq_i32 s5, 0x84
	s_waitcnt vmcnt(15)
	scratch_store_dwordx4 off, v[2:5], off
	s_waitcnt vmcnt(15)
	scratch_store_dwordx4 off, v[6:9], off offset:16
	s_waitcnt vmcnt(15)
	scratch_store_dwordx4 off, v[10:13], off offset:32
	;; [unrolled: 2-line block ×8, first 2 shown]
	v_lshl_add_u64 v[52:53], v[104:105], 4, s[0:1]
	v_lshl_add_u64 v[56:57], v[108:109], 4, s[0:1]
	;; [unrolled: 1-line block ×5, first 2 shown]
	global_load_dwordx4 v[2:5], v[44:45], off
	global_load_dwordx4 v[6:9], v[50:51], off
	v_lshl_add_u64 v[54:55], v[106:107], 4, s[0:1]
	global_load_dwordx4 v[10:13], v[52:53], off
	global_load_dwordx4 v[68:71], v[54:55], off
	v_lshl_add_u64 v[58:59], v[110:111], 4, s[0:1]
	;; [unrolled: 3-line block ×4, first 2 shown]
	global_load_dwordx4 v[118:121], v[64:65], off
	global_load_dwordx4 v[122:125], v[66:67], off
	s_waitcnt vmcnt(25)
	scratch_store_dwordx4 off, v[74:77], off offset:144
	s_waitcnt vmcnt(25)
	scratch_store_dwordx4 off, v[78:81], off offset:160
	;; [unrolled: 2-line block ×16, first 2 shown]
	scratch_store_dwordx4 off, v[98:101], off offset:400
	s_cbranch_scc1 .LBB25_7
; %bb.2:
	scratch_load_dwordx4 v[2:5], v46, off
                                        ; implicit-def: $vgpr10_vgpr11
	s_waitcnt vmcnt(0)
	v_xor_b32_e32 v7, 0x80000000, v3
	v_cmp_gt_f64_e32 vcc, 0, v[2:3]
	v_xor_b32_e32 v8, 0x80000000, v5
	v_mov_b32_e32 v6, v2
	v_cndmask_b32_e32 v7, v3, v7, vcc
	v_cmp_gt_f64_e32 vcc, 0, v[4:5]
	s_nop 1
	v_cndmask_b32_e32 v9, v5, v8, vcc
	v_mov_b32_e32 v8, v4
	v_cmp_ngt_f64_e32 vcc, v[6:7], v[8:9]
                                        ; implicit-def: $vgpr6_vgpr7
	s_and_saveexec_b64 s[0:1], vcc
	s_xor_b64 s[0:1], exec, s[0:1]
	s_cbranch_execz .LBB25_4
; %bb.3:
	v_div_scale_f64 v[6:7], s[2:3], v[4:5], v[4:5], v[2:3]
	v_rcp_f64_e32 v[8:9], v[6:7]
	v_div_scale_f64 v[10:11], vcc, v[2:3], v[4:5], v[2:3]
	v_fma_f64 v[12:13], -v[6:7], v[8:9], 1.0
	v_fmac_f64_e32 v[8:9], v[8:9], v[12:13]
	v_fma_f64 v[12:13], -v[6:7], v[8:9], 1.0
	v_fmac_f64_e32 v[8:9], v[8:9], v[12:13]
	v_mul_f64 v[12:13], v[10:11], v[8:9]
	v_fma_f64 v[6:7], -v[6:7], v[12:13], v[10:11]
	v_div_fmas_f64 v[6:7], v[6:7], v[8:9], v[12:13]
	v_div_fixup_f64 v[6:7], v[6:7], v[4:5], v[2:3]
	v_fmac_f64_e32 v[4:5], v[2:3], v[6:7]
	v_div_scale_f64 v[2:3], s[2:3], v[4:5], v[4:5], 1.0
	v_rcp_f64_e32 v[8:9], v[2:3]
	s_nop 0
	v_fma_f64 v[10:11], -v[2:3], v[8:9], 1.0
	v_fmac_f64_e32 v[8:9], v[8:9], v[10:11]
	v_fma_f64 v[10:11], -v[2:3], v[8:9], 1.0
	v_fmac_f64_e32 v[8:9], v[8:9], v[10:11]
	v_div_scale_f64 v[10:11], vcc, 1.0, v[4:5], 1.0
	v_mul_f64 v[12:13], v[10:11], v[8:9]
	v_fma_f64 v[2:3], -v[2:3], v[12:13], v[10:11]
	s_nop 1
	v_div_fmas_f64 v[2:3], v[2:3], v[8:9], v[12:13]
	v_div_fixup_f64 v[8:9], v[2:3], v[4:5], 1.0
	v_mul_f64 v[6:7], v[6:7], v[8:9]
	v_xor_b32_e32 v9, 0x80000000, v9
	v_xor_b32_e32 v11, 0x80000000, v7
	v_mov_b32_e32 v10, v6
                                        ; implicit-def: $vgpr2_vgpr3
.LBB25_4:
	s_or_saveexec_b64 s[0:1], s[0:1]
	v_add_u32_e32 v12, 0, v46
	s_xor_b64 exec, exec, s[0:1]
	s_cbranch_execz .LBB25_6
; %bb.5:
	v_div_scale_f64 v[6:7], s[2:3], v[2:3], v[2:3], v[4:5]
	v_rcp_f64_e32 v[8:9], v[6:7]
	v_div_scale_f64 v[10:11], vcc, v[4:5], v[2:3], v[4:5]
	v_fma_f64 v[68:69], -v[6:7], v[8:9], 1.0
	v_fmac_f64_e32 v[8:9], v[8:9], v[68:69]
	v_fma_f64 v[68:69], -v[6:7], v[8:9], 1.0
	v_fmac_f64_e32 v[8:9], v[8:9], v[68:69]
	v_mul_f64 v[68:69], v[10:11], v[8:9]
	v_fma_f64 v[6:7], -v[6:7], v[68:69], v[10:11]
	v_div_fmas_f64 v[6:7], v[6:7], v[8:9], v[68:69]
	v_div_fixup_f64 v[8:9], v[6:7], v[2:3], v[4:5]
	v_fmac_f64_e32 v[2:3], v[4:5], v[8:9]
	v_div_scale_f64 v[4:5], s[2:3], v[2:3], v[2:3], 1.0
	v_rcp_f64_e32 v[6:7], v[4:5]
	s_nop 0
	v_fma_f64 v[10:11], -v[4:5], v[6:7], 1.0
	v_fmac_f64_e32 v[6:7], v[6:7], v[10:11]
	v_fma_f64 v[10:11], -v[4:5], v[6:7], 1.0
	v_fmac_f64_e32 v[6:7], v[6:7], v[10:11]
	v_div_scale_f64 v[10:11], vcc, 1.0, v[2:3], 1.0
	v_mul_f64 v[68:69], v[10:11], v[6:7]
	v_fma_f64 v[4:5], -v[4:5], v[68:69], v[10:11]
	s_nop 1
	v_div_fmas_f64 v[4:5], v[4:5], v[6:7], v[68:69]
	v_div_fixup_f64 v[6:7], v[4:5], v[2:3], 1.0
	v_xor_b32_e32 v11, 0x80000000, v7
	v_mov_b32_e32 v10, v6
	v_mul_f64 v[8:9], v[8:9], -v[6:7]
.LBB25_6:
	s_or_b64 exec, exec, s[0:1]
	scratch_store_dwordx4 v12, v[6:9], off
	s_nop 1
	v_xor_b32_e32 v9, 0x80000000, v9
	s_branch .LBB25_8
.LBB25_7:
	v_mov_b64_e32 v[8:9], 0
	v_mov_b64_e32 v[10:11], -1.0
.LBB25_8:
	v_add_u32_e32 v77, 16, v1
	v_add_u32_e32 v84, 32, v1
	;; [unrolled: 1-line block ×25, first 2 shown]
	v_mov_b32_e32 v12, v8
	v_mov_b32_e32 v13, v9
	s_cmpk_eq_i32 s4, 0x79
	v_add_u32_e32 v9, 0x1a0, v46
	v_add_u32_e32 v8, 0, v46
	ds_write_b128 v46, v[10:13]
	s_cbranch_scc1 .LBB25_204
; %bb.9:
	scratch_load_dwordx4 v[2:5], v47, off
	v_cmp_eq_u32_e64 s[0:1], 25, v0
	s_waitcnt vmcnt(0)
	ds_write_b128 v9, v[2:5]
	s_waitcnt lgkmcnt(0)
	; wave barrier
	s_waitcnt lgkmcnt(0)
	s_and_saveexec_b64 s[2:3], s[0:1]
	s_cbranch_execz .LBB25_13
; %bb.10:
	ds_read_b128 v[2:5], v9
	s_andn2_b64 vcc, exec, s[6:7]
	s_cbranch_vccnz .LBB25_12
; %bb.11:
	scratch_load_dwordx4 v[10:13], v8, off
	s_waitcnt vmcnt(0) lgkmcnt(0)
	v_mul_f64 v[6:7], v[4:5], v[12:13]
	v_mul_f64 v[12:13], v[2:3], v[12:13]
	v_fmac_f64_e32 v[12:13], v[4:5], v[10:11]
	v_fma_f64 v[2:3], v[2:3], v[10:11], -v[6:7]
	v_mov_b64_e32 v[4:5], v[12:13]
.LBB25_12:
	v_mov_b32_e32 v6, 0
	ds_read_b128 v[10:13], v6 offset:384
	s_waitcnt lgkmcnt(0)
	v_mul_f64 v[6:7], v[4:5], v[12:13]
	v_mul_f64 v[94:95], v[2:3], v[12:13]
	v_fma_f64 v[92:93], v[2:3], v[10:11], -v[6:7]
	v_fmac_f64_e32 v[94:95], v[4:5], v[10:11]
	scratch_store_dwordx4 off, v[92:95], off offset:384
.LBB25_13:
	s_or_b64 exec, exec, s[2:3]
	scratch_load_dwordx4 v[2:5], v68, off
	v_cmp_lt_u32_e64 s[2:3], 23, v0
	s_waitcnt vmcnt(0)
	ds_write_b128 v9, v[2:5]
	s_waitcnt lgkmcnt(0)
	; wave barrier
	s_waitcnt lgkmcnt(0)
	s_and_saveexec_b64 s[4:5], s[2:3]
	s_cbranch_execz .LBB25_19
; %bb.14:
	ds_read_b128 v[2:5], v9
	s_andn2_b64 vcc, exec, s[6:7]
	s_cbranch_vccnz .LBB25_16
; %bb.15:
	scratch_load_dwordx4 v[10:13], v8, off
	s_waitcnt vmcnt(0) lgkmcnt(0)
	v_mul_f64 v[6:7], v[4:5], v[12:13]
	v_mul_f64 v[12:13], v[2:3], v[12:13]
	v_fmac_f64_e32 v[12:13], v[4:5], v[10:11]
	v_fma_f64 v[2:3], v[2:3], v[10:11], -v[6:7]
	v_mov_b64_e32 v[4:5], v[12:13]
.LBB25_16:
	s_and_saveexec_b64 s[8:9], s[0:1]
	s_cbranch_execz .LBB25_18
; %bb.17:
	scratch_load_dwordx4 v[10:13], off, off offset:384
	v_mov_b32_e32 v6, 0
	ds_read_b128 v[92:95], v6 offset:800
	s_waitcnt vmcnt(0) lgkmcnt(0)
	v_mul_f64 v[6:7], v[92:93], v[12:13]
	v_mul_f64 v[12:13], v[94:95], v[12:13]
	v_fmac_f64_e32 v[6:7], v[94:95], v[10:11]
	v_fma_f64 v[10:11], v[92:93], v[10:11], -v[12:13]
	v_add_f64 v[4:5], v[4:5], v[6:7]
	v_add_f64 v[2:3], v[2:3], v[10:11]
.LBB25_18:
	s_or_b64 exec, exec, s[8:9]
	v_mov_b32_e32 v6, 0
	ds_read_b128 v[10:13], v6 offset:368
	s_waitcnt lgkmcnt(0)
	v_mul_f64 v[6:7], v[4:5], v[12:13]
	v_mul_f64 v[94:95], v[2:3], v[12:13]
	v_fma_f64 v[92:93], v[2:3], v[10:11], -v[6:7]
	v_fmac_f64_e32 v[94:95], v[4:5], v[10:11]
	scratch_store_dwordx4 off, v[92:95], off offset:368
.LBB25_19:
	s_or_b64 exec, exec, s[4:5]
	scratch_load_dwordx4 v[2:5], v69, off
	v_cmp_lt_u32_e64 s[0:1], 22, v0
	s_waitcnt vmcnt(0)
	ds_write_b128 v9, v[2:5]
	s_waitcnt lgkmcnt(0)
	; wave barrier
	s_waitcnt lgkmcnt(0)
	s_and_saveexec_b64 s[4:5], s[0:1]
	s_cbranch_execz .LBB25_27
; %bb.20:
	ds_read_b128 v[2:5], v9
	s_andn2_b64 vcc, exec, s[6:7]
	s_cbranch_vccnz .LBB25_22
; %bb.21:
	scratch_load_dwordx4 v[10:13], v8, off
	s_waitcnt vmcnt(0) lgkmcnt(0)
	v_mul_f64 v[6:7], v[4:5], v[12:13]
	v_mul_f64 v[12:13], v[2:3], v[12:13]
	v_fmac_f64_e32 v[12:13], v[4:5], v[10:11]
	v_fma_f64 v[2:3], v[2:3], v[10:11], -v[6:7]
	v_mov_b64_e32 v[4:5], v[12:13]
.LBB25_22:
	s_and_saveexec_b64 s[8:9], s[2:3]
	s_cbranch_execz .LBB25_26
; %bb.23:
	v_mov_b32_e32 v7, 0
	v_subrev_u32_e32 v6, 23, v0
	v_add_u32_e32 v7, 0x178, v7
	s_movk_i32 s10, 0x310
	s_mov_b64 s[2:3], 0
.LBB25_24:                              ; =>This Inner Loop Header: Depth=1
	v_add_u32_e32 v10, -8, v7
	scratch_load_dwordx4 v[10:13], v10, off
	v_mov_b32_e32 v91, s10
	ds_read_b128 v[92:95], v91
	v_add_u32_e32 v6, -1, v6
	s_add_i32 s10, s10, 16
	v_cmp_eq_u32_e32 vcc, 0, v6
	v_add_u32_e32 v7, 16, v7
	s_or_b64 s[2:3], vcc, s[2:3]
	s_waitcnt vmcnt(0) lgkmcnt(0)
	v_mul_f64 v[96:97], v[94:95], v[12:13]
	v_mul_f64 v[12:13], v[92:93], v[12:13]
	v_fma_f64 v[92:93], v[92:93], v[10:11], -v[96:97]
	v_fmac_f64_e32 v[12:13], v[94:95], v[10:11]
	v_add_f64 v[2:3], v[2:3], v[92:93]
	v_add_f64 v[4:5], v[4:5], v[12:13]
	s_andn2_b64 exec, exec, s[2:3]
	s_cbranch_execnz .LBB25_24
; %bb.25:
	s_or_b64 exec, exec, s[2:3]
.LBB25_26:
	s_or_b64 exec, exec, s[8:9]
	v_mov_b32_e32 v6, 0
	ds_read_b128 v[10:13], v6 offset:352
	s_waitcnt lgkmcnt(0)
	v_mul_f64 v[6:7], v[4:5], v[12:13]
	v_mul_f64 v[94:95], v[2:3], v[12:13]
	v_fma_f64 v[92:93], v[2:3], v[10:11], -v[6:7]
	v_fmac_f64_e32 v[94:95], v[4:5], v[10:11]
	scratch_store_dwordx4 off, v[92:95], off offset:352
.LBB25_27:
	s_or_b64 exec, exec, s[4:5]
	scratch_load_dwordx4 v[2:5], v71, off
	v_cmp_lt_u32_e64 s[2:3], 21, v0
	s_waitcnt vmcnt(0)
	ds_write_b128 v9, v[2:5]
	s_waitcnt lgkmcnt(0)
	; wave barrier
	s_waitcnt lgkmcnt(0)
	s_and_saveexec_b64 s[4:5], s[2:3]
	s_cbranch_execz .LBB25_35
; %bb.28:
	ds_read_b128 v[2:5], v9
	s_andn2_b64 vcc, exec, s[6:7]
	s_cbranch_vccnz .LBB25_30
; %bb.29:
	scratch_load_dwordx4 v[10:13], v8, off
	s_waitcnt vmcnt(0) lgkmcnt(0)
	v_mul_f64 v[6:7], v[4:5], v[12:13]
	v_mul_f64 v[12:13], v[2:3], v[12:13]
	v_fmac_f64_e32 v[12:13], v[4:5], v[10:11]
	v_fma_f64 v[2:3], v[2:3], v[10:11], -v[6:7]
	v_mov_b64_e32 v[4:5], v[12:13]
.LBB25_30:
	s_and_saveexec_b64 s[8:9], s[0:1]
	s_cbranch_execz .LBB25_34
; %bb.31:
	v_mov_b32_e32 v7, 0
	v_subrev_u32_e32 v6, 22, v0
	v_add_u32_e32 v7, 0x168, v7
	s_movk_i32 s10, 0x300
	s_mov_b64 s[0:1], 0
.LBB25_32:                              ; =>This Inner Loop Header: Depth=1
	v_add_u32_e32 v10, -8, v7
	scratch_load_dwordx4 v[10:13], v10, off
	v_mov_b32_e32 v91, s10
	ds_read_b128 v[92:95], v91
	v_add_u32_e32 v6, -1, v6
	s_add_i32 s10, s10, 16
	v_cmp_eq_u32_e32 vcc, 0, v6
	v_add_u32_e32 v7, 16, v7
	s_or_b64 s[0:1], vcc, s[0:1]
	s_waitcnt vmcnt(0) lgkmcnt(0)
	v_mul_f64 v[96:97], v[94:95], v[12:13]
	v_mul_f64 v[12:13], v[92:93], v[12:13]
	v_fma_f64 v[92:93], v[92:93], v[10:11], -v[96:97]
	v_fmac_f64_e32 v[12:13], v[94:95], v[10:11]
	v_add_f64 v[2:3], v[2:3], v[92:93]
	v_add_f64 v[4:5], v[4:5], v[12:13]
	s_andn2_b64 exec, exec, s[0:1]
	s_cbranch_execnz .LBB25_32
; %bb.33:
	s_or_b64 exec, exec, s[0:1]
.LBB25_34:
	s_or_b64 exec, exec, s[8:9]
	v_mov_b32_e32 v6, 0
	ds_read_b128 v[10:13], v6 offset:336
	s_waitcnt lgkmcnt(0)
	v_mul_f64 v[6:7], v[4:5], v[12:13]
	v_mul_f64 v[94:95], v[2:3], v[12:13]
	v_fma_f64 v[92:93], v[2:3], v[10:11], -v[6:7]
	v_fmac_f64_e32 v[94:95], v[4:5], v[10:11]
	scratch_store_dwordx4 off, v[92:95], off offset:336
.LBB25_35:
	;; [unrolled: 63-line block ×7, first 2 shown]
	s_or_b64 exec, exec, s[4:5]
	scratch_load_dwordx4 v[2:5], v78, off
	v_cmp_lt_u32_e64 s[2:3], 15, v0
	s_waitcnt vmcnt(0)
	ds_write_b128 v9, v[2:5]
	s_waitcnt lgkmcnt(0)
	; wave barrier
	s_waitcnt lgkmcnt(0)
	s_and_saveexec_b64 s[4:5], s[2:3]
	s_cbranch_execz .LBB25_83
; %bb.76:
	ds_read_b128 v[2:5], v9
	s_andn2_b64 vcc, exec, s[6:7]
	s_cbranch_vccnz .LBB25_78
; %bb.77:
	scratch_load_dwordx4 v[10:13], v8, off
	s_waitcnt vmcnt(0) lgkmcnt(0)
	v_mul_f64 v[6:7], v[4:5], v[12:13]
	v_mul_f64 v[12:13], v[2:3], v[12:13]
	v_fmac_f64_e32 v[12:13], v[4:5], v[10:11]
	v_fma_f64 v[2:3], v[2:3], v[10:11], -v[6:7]
	v_mov_b64_e32 v[4:5], v[12:13]
.LBB25_78:
	s_and_saveexec_b64 s[8:9], s[0:1]
	s_cbranch_execz .LBB25_82
; %bb.79:
	v_mov_b32_e32 v7, 0
	v_add_u32_e32 v6, -16, v0
	v_add_u32_e32 v7, 0x108, v7
	s_movk_i32 s10, 0x2a0
	s_mov_b64 s[0:1], 0
.LBB25_80:                              ; =>This Inner Loop Header: Depth=1
	v_add_u32_e32 v10, -8, v7
	scratch_load_dwordx4 v[10:13], v10, off
	v_mov_b32_e32 v91, s10
	ds_read_b128 v[92:95], v91
	v_add_u32_e32 v6, -1, v6
	s_add_i32 s10, s10, 16
	v_cmp_eq_u32_e32 vcc, 0, v6
	v_add_u32_e32 v7, 16, v7
	s_or_b64 s[0:1], vcc, s[0:1]
	s_waitcnt vmcnt(0) lgkmcnt(0)
	v_mul_f64 v[96:97], v[94:95], v[12:13]
	v_mul_f64 v[12:13], v[92:93], v[12:13]
	v_fma_f64 v[92:93], v[92:93], v[10:11], -v[96:97]
	v_fmac_f64_e32 v[12:13], v[94:95], v[10:11]
	v_add_f64 v[2:3], v[2:3], v[92:93]
	v_add_f64 v[4:5], v[4:5], v[12:13]
	s_andn2_b64 exec, exec, s[0:1]
	s_cbranch_execnz .LBB25_80
; %bb.81:
	s_or_b64 exec, exec, s[0:1]
.LBB25_82:
	s_or_b64 exec, exec, s[8:9]
	v_mov_b32_e32 v6, 0
	ds_read_b128 v[10:13], v6 offset:240
	s_waitcnt lgkmcnt(0)
	v_mul_f64 v[6:7], v[4:5], v[12:13]
	v_mul_f64 v[94:95], v[2:3], v[12:13]
	v_fma_f64 v[92:93], v[2:3], v[10:11], -v[6:7]
	v_fmac_f64_e32 v[94:95], v[4:5], v[10:11]
	scratch_store_dwordx4 off, v[92:95], off offset:240
.LBB25_83:
	s_or_b64 exec, exec, s[4:5]
	scratch_load_dwordx4 v[2:5], v76, off
	v_cmp_lt_u32_e64 s[0:1], 14, v0
	s_waitcnt vmcnt(0)
	ds_write_b128 v9, v[2:5]
	s_waitcnt lgkmcnt(0)
	; wave barrier
	s_waitcnt lgkmcnt(0)
	s_and_saveexec_b64 s[4:5], s[0:1]
	s_cbranch_execz .LBB25_91
; %bb.84:
	ds_read_b128 v[2:5], v9
	s_andn2_b64 vcc, exec, s[6:7]
	s_cbranch_vccnz .LBB25_86
; %bb.85:
	scratch_load_dwordx4 v[10:13], v8, off
	s_waitcnt vmcnt(0) lgkmcnt(0)
	v_mul_f64 v[6:7], v[4:5], v[12:13]
	v_mul_f64 v[12:13], v[2:3], v[12:13]
	v_fmac_f64_e32 v[12:13], v[4:5], v[10:11]
	v_fma_f64 v[2:3], v[2:3], v[10:11], -v[6:7]
	v_mov_b64_e32 v[4:5], v[12:13]
.LBB25_86:
	s_and_saveexec_b64 s[8:9], s[2:3]
	s_cbranch_execz .LBB25_90
; %bb.87:
	v_mov_b32_e32 v7, 0
	v_add_u32_e32 v6, -15, v0
	v_add_u32_e32 v7, 0xf8, v7
	s_movk_i32 s10, 0x290
	s_mov_b64 s[2:3], 0
.LBB25_88:                              ; =>This Inner Loop Header: Depth=1
	v_add_u32_e32 v10, -8, v7
	scratch_load_dwordx4 v[10:13], v10, off
	v_mov_b32_e32 v91, s10
	ds_read_b128 v[92:95], v91
	v_add_u32_e32 v6, -1, v6
	s_add_i32 s10, s10, 16
	v_cmp_eq_u32_e32 vcc, 0, v6
	v_add_u32_e32 v7, 16, v7
	s_or_b64 s[2:3], vcc, s[2:3]
	s_waitcnt vmcnt(0) lgkmcnt(0)
	v_mul_f64 v[96:97], v[94:95], v[12:13]
	v_mul_f64 v[12:13], v[92:93], v[12:13]
	v_fma_f64 v[92:93], v[92:93], v[10:11], -v[96:97]
	v_fmac_f64_e32 v[12:13], v[94:95], v[10:11]
	v_add_f64 v[2:3], v[2:3], v[92:93]
	v_add_f64 v[4:5], v[4:5], v[12:13]
	s_andn2_b64 exec, exec, s[2:3]
	s_cbranch_execnz .LBB25_88
; %bb.89:
	s_or_b64 exec, exec, s[2:3]
.LBB25_90:
	s_or_b64 exec, exec, s[8:9]
	v_mov_b32_e32 v6, 0
	ds_read_b128 v[10:13], v6 offset:224
	s_waitcnt lgkmcnt(0)
	v_mul_f64 v[6:7], v[4:5], v[12:13]
	v_mul_f64 v[94:95], v[2:3], v[12:13]
	v_fma_f64 v[92:93], v[2:3], v[10:11], -v[6:7]
	v_fmac_f64_e32 v[94:95], v[4:5], v[10:11]
	scratch_store_dwordx4 off, v[92:95], off offset:224
.LBB25_91:
	;; [unrolled: 63-line block ×3, first 2 shown]
	s_or_b64 exec, exec, s[4:5]
	scratch_load_dwordx4 v[2:5], v80, off
	v_cmp_lt_u32_e64 s[0:1], 12, v0
	s_waitcnt vmcnt(0)
	ds_write_b128 v9, v[2:5]
	s_waitcnt lgkmcnt(0)
	; wave barrier
	s_waitcnt lgkmcnt(0)
	s_and_saveexec_b64 s[4:5], s[0:1]
	s_cbranch_execz .LBB25_107
; %bb.100:
	ds_read_b128 v[2:5], v9
	s_andn2_b64 vcc, exec, s[6:7]
	s_cbranch_vccnz .LBB25_102
; %bb.101:
	scratch_load_dwordx4 v[10:13], v8, off
	s_waitcnt vmcnt(0) lgkmcnt(0)
	v_mul_f64 v[6:7], v[4:5], v[12:13]
	v_mul_f64 v[12:13], v[2:3], v[12:13]
	v_fmac_f64_e32 v[12:13], v[4:5], v[10:11]
	v_fma_f64 v[2:3], v[2:3], v[10:11], -v[6:7]
	v_mov_b64_e32 v[4:5], v[12:13]
.LBB25_102:
	s_and_saveexec_b64 s[8:9], s[2:3]
	s_cbranch_execz .LBB25_106
; %bb.103:
	v_mov_b32_e32 v7, 0
	v_add_u32_e32 v6, -13, v0
	v_add_u32_e32 v7, 0xd8, v7
	s_movk_i32 s10, 0x270
	s_mov_b64 s[2:3], 0
.LBB25_104:                             ; =>This Inner Loop Header: Depth=1
	v_add_u32_e32 v10, -8, v7
	scratch_load_dwordx4 v[10:13], v10, off
	v_mov_b32_e32 v91, s10
	ds_read_b128 v[92:95], v91
	v_add_u32_e32 v6, -1, v6
	s_add_i32 s10, s10, 16
	v_cmp_eq_u32_e32 vcc, 0, v6
	v_add_u32_e32 v7, 16, v7
	s_or_b64 s[2:3], vcc, s[2:3]
	s_waitcnt vmcnt(0) lgkmcnt(0)
	v_mul_f64 v[96:97], v[94:95], v[12:13]
	v_mul_f64 v[12:13], v[92:93], v[12:13]
	v_fma_f64 v[92:93], v[92:93], v[10:11], -v[96:97]
	v_fmac_f64_e32 v[12:13], v[94:95], v[10:11]
	v_add_f64 v[2:3], v[2:3], v[92:93]
	v_add_f64 v[4:5], v[4:5], v[12:13]
	s_andn2_b64 exec, exec, s[2:3]
	s_cbranch_execnz .LBB25_104
; %bb.105:
	s_or_b64 exec, exec, s[2:3]
.LBB25_106:
	s_or_b64 exec, exec, s[8:9]
	v_mov_b32_e32 v6, 0
	ds_read_b128 v[10:13], v6 offset:192
	s_waitcnt lgkmcnt(0)
	v_mul_f64 v[6:7], v[4:5], v[12:13]
	v_mul_f64 v[94:95], v[2:3], v[12:13]
	v_fma_f64 v[92:93], v[2:3], v[10:11], -v[6:7]
	v_fmac_f64_e32 v[94:95], v[4:5], v[10:11]
	scratch_store_dwordx4 off, v[92:95], off offset:192
.LBB25_107:
	s_or_b64 exec, exec, s[4:5]
	scratch_load_dwordx4 v[2:5], v87, off
	v_cmp_lt_u32_e64 s[2:3], 11, v0
	s_waitcnt vmcnt(0)
	ds_write_b128 v9, v[2:5]
	s_waitcnt lgkmcnt(0)
	; wave barrier
	s_waitcnt lgkmcnt(0)
	s_and_saveexec_b64 s[4:5], s[2:3]
	s_cbranch_execz .LBB25_115
; %bb.108:
	ds_read_b128 v[2:5], v9
	s_andn2_b64 vcc, exec, s[6:7]
	s_cbranch_vccnz .LBB25_110
; %bb.109:
	scratch_load_dwordx4 v[10:13], v8, off
	s_waitcnt vmcnt(0) lgkmcnt(0)
	v_mul_f64 v[6:7], v[4:5], v[12:13]
	v_mul_f64 v[12:13], v[2:3], v[12:13]
	v_fmac_f64_e32 v[12:13], v[4:5], v[10:11]
	v_fma_f64 v[2:3], v[2:3], v[10:11], -v[6:7]
	v_mov_b64_e32 v[4:5], v[12:13]
.LBB25_110:
	s_and_saveexec_b64 s[8:9], s[0:1]
	s_cbranch_execz .LBB25_114
; %bb.111:
	v_mov_b32_e32 v7, 0
	v_add_u32_e32 v6, -12, v0
	v_add_u32_e32 v7, 0xc8, v7
	s_movk_i32 s10, 0x260
	s_mov_b64 s[0:1], 0
.LBB25_112:                             ; =>This Inner Loop Header: Depth=1
	v_add_u32_e32 v10, -8, v7
	scratch_load_dwordx4 v[10:13], v10, off
	v_mov_b32_e32 v91, s10
	ds_read_b128 v[92:95], v91
	v_add_u32_e32 v6, -1, v6
	s_add_i32 s10, s10, 16
	v_cmp_eq_u32_e32 vcc, 0, v6
	v_add_u32_e32 v7, 16, v7
	s_or_b64 s[0:1], vcc, s[0:1]
	s_waitcnt vmcnt(0) lgkmcnt(0)
	v_mul_f64 v[96:97], v[94:95], v[12:13]
	v_mul_f64 v[12:13], v[92:93], v[12:13]
	v_fma_f64 v[92:93], v[92:93], v[10:11], -v[96:97]
	v_fmac_f64_e32 v[12:13], v[94:95], v[10:11]
	v_add_f64 v[2:3], v[2:3], v[92:93]
	v_add_f64 v[4:5], v[4:5], v[12:13]
	s_andn2_b64 exec, exec, s[0:1]
	s_cbranch_execnz .LBB25_112
; %bb.113:
	s_or_b64 exec, exec, s[0:1]
.LBB25_114:
	s_or_b64 exec, exec, s[8:9]
	v_mov_b32_e32 v6, 0
	ds_read_b128 v[10:13], v6 offset:176
	s_waitcnt lgkmcnt(0)
	v_mul_f64 v[6:7], v[4:5], v[12:13]
	v_mul_f64 v[94:95], v[2:3], v[12:13]
	v_fma_f64 v[92:93], v[2:3], v[10:11], -v[6:7]
	v_fmac_f64_e32 v[94:95], v[4:5], v[10:11]
	scratch_store_dwordx4 off, v[92:95], off offset:176
.LBB25_115:
	;; [unrolled: 63-line block ×12, first 2 shown]
	s_or_b64 exec, exec, s[2:3]
	scratch_load_dwordx4 v[2:5], off, off
	v_cmp_ne_u32_e32 vcc, 0, v0
	s_mov_b64 s[2:3], 0
	s_mov_b64 s[4:5], 0
                                        ; implicit-def: $vgpr6_vgpr7
                                        ; implicit-def: $vgpr10
	s_waitcnt vmcnt(0)
	ds_write_b128 v9, v[2:5]
	s_waitcnt lgkmcnt(0)
	; wave barrier
	s_waitcnt lgkmcnt(0)
	s_and_saveexec_b64 s[8:9], vcc
	s_cbranch_execz .LBB25_203
; %bb.196:
	ds_read_b128 v[2:5], v9
	s_andn2_b64 vcc, exec, s[6:7]
	s_cbranch_vccnz .LBB25_198
; %bb.197:
	scratch_load_dwordx4 v[10:13], v8, off
	s_waitcnt vmcnt(0) lgkmcnt(0)
	v_mul_f64 v[6:7], v[4:5], v[12:13]
	v_mul_f64 v[12:13], v[2:3], v[12:13]
	v_fmac_f64_e32 v[12:13], v[4:5], v[10:11]
	v_fma_f64 v[2:3], v[2:3], v[10:11], -v[6:7]
	v_mov_b64_e32 v[4:5], v[12:13]
.LBB25_198:
	s_and_saveexec_b64 s[4:5], s[0:1]
	s_cbranch_execz .LBB25_202
; %bb.199:
	v_mov_b32_e32 v7, 0
	v_add_u32_e32 v6, -1, v0
	v_add_u32_e32 v7, 24, v7
	s_movk_i32 s10, 0x1b0
	s_mov_b64 s[0:1], 0
.LBB25_200:                             ; =>This Inner Loop Header: Depth=1
	v_add_u32_e32 v10, -8, v7
	scratch_load_dwordx4 v[10:13], v10, off
	v_mov_b32_e32 v91, s10
	ds_read_b128 v[92:95], v91
	v_add_u32_e32 v6, -1, v6
	s_add_i32 s10, s10, 16
	v_cmp_eq_u32_e32 vcc, 0, v6
	v_add_u32_e32 v7, 16, v7
	s_or_b64 s[0:1], vcc, s[0:1]
	s_waitcnt vmcnt(0) lgkmcnt(0)
	v_mul_f64 v[96:97], v[94:95], v[12:13]
	v_mul_f64 v[12:13], v[92:93], v[12:13]
	v_fma_f64 v[92:93], v[92:93], v[10:11], -v[96:97]
	v_fmac_f64_e32 v[12:13], v[94:95], v[10:11]
	v_add_f64 v[2:3], v[2:3], v[92:93]
	v_add_f64 v[4:5], v[4:5], v[12:13]
	s_andn2_b64 exec, exec, s[0:1]
	s_cbranch_execnz .LBB25_200
; %bb.201:
	s_or_b64 exec, exec, s[0:1]
.LBB25_202:
	s_or_b64 exec, exec, s[4:5]
	v_mov_b32_e32 v6, 0
	ds_read_b128 v[92:95], v6
	v_mov_b32_e32 v6, 0
	v_or_b32_e32 v10, 8, v6
	s_mov_b64 s[4:5], exec
	s_waitcnt lgkmcnt(0)
	v_mul_f64 v[12:13], v[4:5], v[94:95]
	v_mul_f64 v[6:7], v[2:3], v[94:95]
	v_fma_f64 v[2:3], v[2:3], v[92:93], -v[12:13]
	v_fmac_f64_e32 v[6:7], v[4:5], v[92:93]
	scratch_store_dwordx2 off, v[2:3], off
.LBB25_203:
	s_or_b64 exec, exec, s[8:9]
	s_and_b64 vcc, exec, s[2:3]
	s_cbranch_vccnz .LBB25_205
	s_branch .LBB25_400
.LBB25_204:
	s_mov_b64 s[4:5], 0
                                        ; implicit-def: $vgpr6_vgpr7
                                        ; implicit-def: $vgpr10
	s_cbranch_execz .LBB25_400
.LBB25_205:
	scratch_load_dwordx4 v[2:5], v77, off
	v_cndmask_b32_e64 v6, 0, 1, s[6:7]
	v_cmp_eq_u32_e64 s[2:3], 0, v0
	v_cmp_ne_u32_e64 s[0:1], 1, v6
	s_waitcnt vmcnt(0)
	ds_write_b128 v9, v[2:5]
	s_waitcnt lgkmcnt(0)
	; wave barrier
	s_waitcnt lgkmcnt(0)
	s_and_saveexec_b64 s[6:7], s[2:3]
	s_cbranch_execz .LBB25_209
; %bb.206:
	ds_read_b128 v[2:5], v9
	s_and_b64 vcc, exec, s[0:1]
	s_cbranch_vccnz .LBB25_208
; %bb.207:
	scratch_load_dwordx4 v[10:13], v8, off
	s_waitcnt vmcnt(0) lgkmcnt(0)
	v_mul_f64 v[6:7], v[4:5], v[12:13]
	v_mul_f64 v[12:13], v[2:3], v[12:13]
	v_fmac_f64_e32 v[12:13], v[4:5], v[10:11]
	v_fma_f64 v[2:3], v[2:3], v[10:11], -v[6:7]
	v_mov_b64_e32 v[4:5], v[12:13]
.LBB25_208:
	v_mov_b32_e32 v6, 0
	ds_read_b128 v[10:13], v6 offset:16
	s_waitcnt lgkmcnt(0)
	v_mul_f64 v[6:7], v[4:5], v[12:13]
	v_mul_f64 v[94:95], v[2:3], v[12:13]
	v_fma_f64 v[92:93], v[2:3], v[10:11], -v[6:7]
	v_fmac_f64_e32 v[94:95], v[4:5], v[10:11]
	scratch_store_dwordx4 off, v[92:95], off offset:16
.LBB25_209:
	s_or_b64 exec, exec, s[6:7]
	scratch_load_dwordx4 v[2:5], v84, off
	v_cmp_gt_u32_e32 vcc, 2, v0
	s_waitcnt vmcnt(0)
	ds_write_b128 v9, v[2:5]
	s_waitcnt lgkmcnt(0)
	; wave barrier
	s_waitcnt lgkmcnt(0)
	s_and_saveexec_b64 s[6:7], vcc
	s_cbranch_execz .LBB25_215
; %bb.210:
	ds_read_b128 v[2:5], v9
	s_and_b64 vcc, exec, s[0:1]
	s_cbranch_vccnz .LBB25_212
; %bb.211:
	scratch_load_dwordx4 v[10:13], v8, off
	s_waitcnt vmcnt(0) lgkmcnt(0)
	v_mul_f64 v[6:7], v[4:5], v[12:13]
	v_mul_f64 v[12:13], v[2:3], v[12:13]
	v_fmac_f64_e32 v[12:13], v[4:5], v[10:11]
	v_fma_f64 v[2:3], v[2:3], v[10:11], -v[6:7]
	v_mov_b64_e32 v[4:5], v[12:13]
.LBB25_212:
	s_and_saveexec_b64 s[8:9], s[2:3]
	s_cbranch_execz .LBB25_214
; %bb.213:
	scratch_load_dwordx4 v[10:13], v8, off offset:16
	ds_read_b128 v[92:95], v9 offset:16
	s_waitcnt vmcnt(0) lgkmcnt(0)
	v_mul_f64 v[6:7], v[94:95], v[12:13]
	v_mul_f64 v[12:13], v[92:93], v[12:13]
	v_fma_f64 v[6:7], v[92:93], v[10:11], -v[6:7]
	v_fmac_f64_e32 v[12:13], v[94:95], v[10:11]
	v_add_f64 v[2:3], v[2:3], v[6:7]
	v_add_f64 v[4:5], v[4:5], v[12:13]
.LBB25_214:
	s_or_b64 exec, exec, s[8:9]
	v_mov_b32_e32 v6, 0
	ds_read_b128 v[10:13], v6 offset:32
	s_waitcnt lgkmcnt(0)
	v_mul_f64 v[6:7], v[4:5], v[12:13]
	v_mul_f64 v[94:95], v[2:3], v[12:13]
	v_fma_f64 v[92:93], v[2:3], v[10:11], -v[6:7]
	v_fmac_f64_e32 v[94:95], v[4:5], v[10:11]
	scratch_store_dwordx4 off, v[92:95], off offset:32
.LBB25_215:
	s_or_b64 exec, exec, s[6:7]
	scratch_load_dwordx4 v[2:5], v86, off
	v_cmp_gt_u32_e32 vcc, 3, v0
	s_waitcnt vmcnt(0)
	ds_write_b128 v9, v[2:5]
	s_waitcnt lgkmcnt(0)
	; wave barrier
	s_waitcnt lgkmcnt(0)
	s_and_saveexec_b64 s[6:7], vcc
	s_cbranch_execz .LBB25_223
; %bb.216:
	ds_read_b128 v[2:5], v9
	s_and_b64 vcc, exec, s[0:1]
	s_cbranch_vccnz .LBB25_218
; %bb.217:
	scratch_load_dwordx4 v[10:13], v8, off
	s_waitcnt vmcnt(0) lgkmcnt(0)
	v_mul_f64 v[6:7], v[4:5], v[12:13]
	v_mul_f64 v[12:13], v[2:3], v[12:13]
	v_fmac_f64_e32 v[12:13], v[4:5], v[10:11]
	v_fma_f64 v[2:3], v[2:3], v[10:11], -v[6:7]
	v_mov_b64_e32 v[4:5], v[12:13]
.LBB25_218:
	v_cmp_ne_u32_e32 vcc, 2, v0
	s_and_saveexec_b64 s[8:9], vcc
	s_cbranch_execz .LBB25_222
; %bb.219:
	scratch_load_dwordx4 v[10:13], v8, off offset:16
	ds_read_b128 v[92:95], v9 offset:16
	s_waitcnt vmcnt(0) lgkmcnt(0)
	v_mul_f64 v[6:7], v[94:95], v[12:13]
	v_mul_f64 v[12:13], v[92:93], v[12:13]
	v_fma_f64 v[6:7], v[92:93], v[10:11], -v[6:7]
	v_fmac_f64_e32 v[12:13], v[94:95], v[10:11]
	v_add_f64 v[2:3], v[2:3], v[6:7]
	v_add_f64 v[4:5], v[4:5], v[12:13]
	s_and_saveexec_b64 s[10:11], s[2:3]
	s_cbranch_execz .LBB25_221
; %bb.220:
	scratch_load_dwordx4 v[10:13], off, off offset:32
	v_mov_b32_e32 v6, 0
	ds_read_b128 v[92:95], v6 offset:448
	s_waitcnt vmcnt(0) lgkmcnt(0)
	v_mul_f64 v[6:7], v[92:93], v[12:13]
	v_mul_f64 v[12:13], v[94:95], v[12:13]
	v_fmac_f64_e32 v[6:7], v[94:95], v[10:11]
	v_fma_f64 v[10:11], v[92:93], v[10:11], -v[12:13]
	v_add_f64 v[4:5], v[4:5], v[6:7]
	v_add_f64 v[2:3], v[2:3], v[10:11]
.LBB25_221:
	s_or_b64 exec, exec, s[10:11]
.LBB25_222:
	s_or_b64 exec, exec, s[8:9]
	v_mov_b32_e32 v6, 0
	ds_read_b128 v[10:13], v6 offset:48
	s_waitcnt lgkmcnt(0)
	v_mul_f64 v[6:7], v[4:5], v[12:13]
	v_mul_f64 v[94:95], v[2:3], v[12:13]
	v_fma_f64 v[92:93], v[2:3], v[10:11], -v[6:7]
	v_fmac_f64_e32 v[94:95], v[4:5], v[10:11]
	scratch_store_dwordx4 off, v[92:95], off offset:48
.LBB25_223:
	s_or_b64 exec, exec, s[6:7]
	scratch_load_dwordx4 v[2:5], v83, off
	v_cmp_gt_u32_e32 vcc, 4, v0
	s_waitcnt vmcnt(0)
	ds_write_b128 v9, v[2:5]
	s_waitcnt lgkmcnt(0)
	; wave barrier
	s_waitcnt lgkmcnt(0)
	s_and_saveexec_b64 s[2:3], vcc
	s_cbranch_execz .LBB25_231
; %bb.224:
	ds_read_b128 v[2:5], v9
	s_and_b64 vcc, exec, s[0:1]
	s_cbranch_vccnz .LBB25_226
; %bb.225:
	scratch_load_dwordx4 v[10:13], v8, off
	s_waitcnt vmcnt(0) lgkmcnt(0)
	v_mul_f64 v[6:7], v[4:5], v[12:13]
	v_mul_f64 v[12:13], v[2:3], v[12:13]
	v_fmac_f64_e32 v[12:13], v[4:5], v[10:11]
	v_fma_f64 v[2:3], v[2:3], v[10:11], -v[6:7]
	v_mov_b64_e32 v[4:5], v[12:13]
.LBB25_226:
	v_cmp_ne_u32_e32 vcc, 3, v0
	s_and_saveexec_b64 s[6:7], vcc
	s_cbranch_execz .LBB25_230
; %bb.227:
	v_mov_b32_e32 v7, 0
	v_add_u32_e32 v6, 0x1b0, v46
	v_add3_u32 v7, v46, v7, 24
	s_mov_b64 s[8:9], 0
	v_mov_b32_e32 v10, v0
.LBB25_228:                             ; =>This Inner Loop Header: Depth=1
	v_add_u32_e32 v11, -8, v7
	scratch_load_dwordx4 v[92:95], v11, off
	ds_read_b128 v[96:99], v6
	v_add_u32_e32 v10, 1, v10
	v_cmp_lt_u32_e32 vcc, 2, v10
	v_add_u32_e32 v6, 16, v6
	v_add_u32_e32 v7, 16, v7
	s_or_b64 s[8:9], vcc, s[8:9]
	s_waitcnt vmcnt(0) lgkmcnt(0)
	v_mul_f64 v[12:13], v[98:99], v[94:95]
	v_mul_f64 v[94:95], v[96:97], v[94:95]
	v_fma_f64 v[12:13], v[96:97], v[92:93], -v[12:13]
	v_fmac_f64_e32 v[94:95], v[98:99], v[92:93]
	v_add_f64 v[2:3], v[2:3], v[12:13]
	v_add_f64 v[4:5], v[4:5], v[94:95]
	s_andn2_b64 exec, exec, s[8:9]
	s_cbranch_execnz .LBB25_228
; %bb.229:
	s_or_b64 exec, exec, s[8:9]
.LBB25_230:
	s_or_b64 exec, exec, s[6:7]
	v_mov_b32_e32 v6, 0
	ds_read_b128 v[10:13], v6 offset:64
	s_waitcnt lgkmcnt(0)
	v_mul_f64 v[6:7], v[4:5], v[12:13]
	v_mul_f64 v[94:95], v[2:3], v[12:13]
	v_fma_f64 v[92:93], v[2:3], v[10:11], -v[6:7]
	v_fmac_f64_e32 v[94:95], v[4:5], v[10:11]
	scratch_store_dwordx4 off, v[92:95], off offset:64
.LBB25_231:
	s_or_b64 exec, exec, s[2:3]
	scratch_load_dwordx4 v[2:5], v85, off
	v_cmp_gt_u32_e32 vcc, 5, v0
	s_waitcnt vmcnt(0)
	ds_write_b128 v9, v[2:5]
	s_waitcnt lgkmcnt(0)
	; wave barrier
	s_waitcnt lgkmcnt(0)
	s_and_saveexec_b64 s[2:3], vcc
	s_cbranch_execz .LBB25_239
; %bb.232:
	ds_read_b128 v[2:5], v9
	s_and_b64 vcc, exec, s[0:1]
	s_cbranch_vccnz .LBB25_234
; %bb.233:
	scratch_load_dwordx4 v[10:13], v8, off
	s_waitcnt vmcnt(0) lgkmcnt(0)
	v_mul_f64 v[6:7], v[4:5], v[12:13]
	v_mul_f64 v[12:13], v[2:3], v[12:13]
	v_fmac_f64_e32 v[12:13], v[4:5], v[10:11]
	v_fma_f64 v[2:3], v[2:3], v[10:11], -v[6:7]
	v_mov_b64_e32 v[4:5], v[12:13]
.LBB25_234:
	v_cmp_ne_u32_e32 vcc, 4, v0
	s_and_saveexec_b64 s[6:7], vcc
	s_cbranch_execz .LBB25_238
; %bb.235:
	v_mov_b32_e32 v7, 0
	v_add_u32_e32 v6, 0x1b0, v46
	v_add3_u32 v7, v46, v7, 24
	s_mov_b64 s[8:9], 0
	v_mov_b32_e32 v10, v0
.LBB25_236:                             ; =>This Inner Loop Header: Depth=1
	v_add_u32_e32 v11, -8, v7
	scratch_load_dwordx4 v[92:95], v11, off
	ds_read_b128 v[96:99], v6
	v_add_u32_e32 v10, 1, v10
	v_cmp_lt_u32_e32 vcc, 3, v10
	v_add_u32_e32 v6, 16, v6
	v_add_u32_e32 v7, 16, v7
	s_or_b64 s[8:9], vcc, s[8:9]
	s_waitcnt vmcnt(0) lgkmcnt(0)
	v_mul_f64 v[12:13], v[98:99], v[94:95]
	v_mul_f64 v[94:95], v[96:97], v[94:95]
	v_fma_f64 v[12:13], v[96:97], v[92:93], -v[12:13]
	v_fmac_f64_e32 v[94:95], v[98:99], v[92:93]
	v_add_f64 v[2:3], v[2:3], v[12:13]
	v_add_f64 v[4:5], v[4:5], v[94:95]
	s_andn2_b64 exec, exec, s[8:9]
	s_cbranch_execnz .LBB25_236
; %bb.237:
	s_or_b64 exec, exec, s[8:9]
.LBB25_238:
	s_or_b64 exec, exec, s[6:7]
	v_mov_b32_e32 v6, 0
	ds_read_b128 v[10:13], v6 offset:80
	s_waitcnt lgkmcnt(0)
	v_mul_f64 v[6:7], v[4:5], v[12:13]
	v_mul_f64 v[94:95], v[2:3], v[12:13]
	v_fma_f64 v[92:93], v[2:3], v[10:11], -v[6:7]
	v_fmac_f64_e32 v[94:95], v[4:5], v[10:11]
	scratch_store_dwordx4 off, v[92:95], off offset:80
.LBB25_239:
	s_or_b64 exec, exec, s[2:3]
	scratch_load_dwordx4 v[2:5], v82, off
	v_cmp_gt_u32_e32 vcc, 6, v0
	s_waitcnt vmcnt(0)
	ds_write_b128 v9, v[2:5]
	s_waitcnt lgkmcnt(0)
	; wave barrier
	s_waitcnt lgkmcnt(0)
	s_and_saveexec_b64 s[2:3], vcc
	s_cbranch_execz .LBB25_247
; %bb.240:
	ds_read_b128 v[2:5], v9
	s_and_b64 vcc, exec, s[0:1]
	s_cbranch_vccnz .LBB25_242
; %bb.241:
	scratch_load_dwordx4 v[10:13], v8, off
	s_waitcnt vmcnt(0) lgkmcnt(0)
	v_mul_f64 v[6:7], v[4:5], v[12:13]
	v_mul_f64 v[12:13], v[2:3], v[12:13]
	v_fmac_f64_e32 v[12:13], v[4:5], v[10:11]
	v_fma_f64 v[2:3], v[2:3], v[10:11], -v[6:7]
	v_mov_b64_e32 v[4:5], v[12:13]
.LBB25_242:
	v_cmp_ne_u32_e32 vcc, 5, v0
	s_and_saveexec_b64 s[6:7], vcc
	s_cbranch_execz .LBB25_246
; %bb.243:
	v_mov_b32_e32 v7, 0
	v_add_u32_e32 v6, 0x1b0, v46
	v_add3_u32 v7, v46, v7, 24
	s_mov_b64 s[8:9], 0
	v_mov_b32_e32 v10, v0
.LBB25_244:                             ; =>This Inner Loop Header: Depth=1
	v_add_u32_e32 v11, -8, v7
	scratch_load_dwordx4 v[92:95], v11, off
	ds_read_b128 v[96:99], v6
	v_add_u32_e32 v10, 1, v10
	v_cmp_lt_u32_e32 vcc, 4, v10
	v_add_u32_e32 v6, 16, v6
	v_add_u32_e32 v7, 16, v7
	s_or_b64 s[8:9], vcc, s[8:9]
	s_waitcnt vmcnt(0) lgkmcnt(0)
	v_mul_f64 v[12:13], v[98:99], v[94:95]
	v_mul_f64 v[94:95], v[96:97], v[94:95]
	v_fma_f64 v[12:13], v[96:97], v[92:93], -v[12:13]
	v_fmac_f64_e32 v[94:95], v[98:99], v[92:93]
	v_add_f64 v[2:3], v[2:3], v[12:13]
	v_add_f64 v[4:5], v[4:5], v[94:95]
	s_andn2_b64 exec, exec, s[8:9]
	s_cbranch_execnz .LBB25_244
; %bb.245:
	s_or_b64 exec, exec, s[8:9]
.LBB25_246:
	s_or_b64 exec, exec, s[6:7]
	v_mov_b32_e32 v6, 0
	ds_read_b128 v[10:13], v6 offset:96
	s_waitcnt lgkmcnt(0)
	v_mul_f64 v[6:7], v[4:5], v[12:13]
	v_mul_f64 v[94:95], v[2:3], v[12:13]
	v_fma_f64 v[92:93], v[2:3], v[10:11], -v[6:7]
	v_fmac_f64_e32 v[94:95], v[4:5], v[10:11]
	scratch_store_dwordx4 off, v[92:95], off offset:96
.LBB25_247:
	s_or_b64 exec, exec, s[2:3]
	scratch_load_dwordx4 v[2:5], v89, off
	v_cmp_gt_u32_e32 vcc, 7, v0
	s_waitcnt vmcnt(0)
	ds_write_b128 v9, v[2:5]
	s_waitcnt lgkmcnt(0)
	; wave barrier
	s_waitcnt lgkmcnt(0)
	s_and_saveexec_b64 s[2:3], vcc
	s_cbranch_execz .LBB25_255
; %bb.248:
	ds_read_b128 v[2:5], v9
	s_and_b64 vcc, exec, s[0:1]
	s_cbranch_vccnz .LBB25_250
; %bb.249:
	scratch_load_dwordx4 v[10:13], v8, off
	s_waitcnt vmcnt(0) lgkmcnt(0)
	v_mul_f64 v[6:7], v[4:5], v[12:13]
	v_mul_f64 v[12:13], v[2:3], v[12:13]
	v_fmac_f64_e32 v[12:13], v[4:5], v[10:11]
	v_fma_f64 v[2:3], v[2:3], v[10:11], -v[6:7]
	v_mov_b64_e32 v[4:5], v[12:13]
.LBB25_250:
	v_cmp_ne_u32_e32 vcc, 6, v0
	s_and_saveexec_b64 s[6:7], vcc
	s_cbranch_execz .LBB25_254
; %bb.251:
	v_mov_b32_e32 v7, 0
	v_add_u32_e32 v6, 0x1b0, v46
	v_add3_u32 v7, v46, v7, 24
	s_mov_b64 s[8:9], 0
	v_mov_b32_e32 v10, v0
.LBB25_252:                             ; =>This Inner Loop Header: Depth=1
	v_add_u32_e32 v11, -8, v7
	scratch_load_dwordx4 v[92:95], v11, off
	ds_read_b128 v[96:99], v6
	v_add_u32_e32 v10, 1, v10
	v_cmp_lt_u32_e32 vcc, 5, v10
	v_add_u32_e32 v6, 16, v6
	v_add_u32_e32 v7, 16, v7
	s_or_b64 s[8:9], vcc, s[8:9]
	s_waitcnt vmcnt(0) lgkmcnt(0)
	v_mul_f64 v[12:13], v[98:99], v[94:95]
	v_mul_f64 v[94:95], v[96:97], v[94:95]
	v_fma_f64 v[12:13], v[96:97], v[92:93], -v[12:13]
	v_fmac_f64_e32 v[94:95], v[98:99], v[92:93]
	v_add_f64 v[2:3], v[2:3], v[12:13]
	v_add_f64 v[4:5], v[4:5], v[94:95]
	s_andn2_b64 exec, exec, s[8:9]
	s_cbranch_execnz .LBB25_252
; %bb.253:
	s_or_b64 exec, exec, s[8:9]
.LBB25_254:
	s_or_b64 exec, exec, s[6:7]
	v_mov_b32_e32 v6, 0
	ds_read_b128 v[10:13], v6 offset:112
	s_waitcnt lgkmcnt(0)
	v_mul_f64 v[6:7], v[4:5], v[12:13]
	v_mul_f64 v[94:95], v[2:3], v[12:13]
	v_fma_f64 v[92:93], v[2:3], v[10:11], -v[6:7]
	v_fmac_f64_e32 v[94:95], v[4:5], v[10:11]
	scratch_store_dwordx4 off, v[92:95], off offset:112
.LBB25_255:
	s_or_b64 exec, exec, s[2:3]
	scratch_load_dwordx4 v[2:5], v81, off
	v_cmp_gt_u32_e32 vcc, 8, v0
	s_waitcnt vmcnt(0)
	ds_write_b128 v9, v[2:5]
	s_waitcnt lgkmcnt(0)
	; wave barrier
	s_waitcnt lgkmcnt(0)
	s_and_saveexec_b64 s[2:3], vcc
	s_cbranch_execz .LBB25_263
; %bb.256:
	ds_read_b128 v[2:5], v9
	s_and_b64 vcc, exec, s[0:1]
	s_cbranch_vccnz .LBB25_258
; %bb.257:
	scratch_load_dwordx4 v[10:13], v8, off
	s_waitcnt vmcnt(0) lgkmcnt(0)
	v_mul_f64 v[6:7], v[4:5], v[12:13]
	v_mul_f64 v[12:13], v[2:3], v[12:13]
	v_fmac_f64_e32 v[12:13], v[4:5], v[10:11]
	v_fma_f64 v[2:3], v[2:3], v[10:11], -v[6:7]
	v_mov_b64_e32 v[4:5], v[12:13]
.LBB25_258:
	v_cmp_ne_u32_e32 vcc, 7, v0
	s_and_saveexec_b64 s[6:7], vcc
	s_cbranch_execz .LBB25_262
; %bb.259:
	v_mov_b32_e32 v7, 0
	v_add_u32_e32 v6, 0x1b0, v46
	v_add3_u32 v7, v46, v7, 24
	s_mov_b64 s[8:9], 0
	v_mov_b32_e32 v10, v0
.LBB25_260:                             ; =>This Inner Loop Header: Depth=1
	v_add_u32_e32 v11, -8, v7
	scratch_load_dwordx4 v[92:95], v11, off
	ds_read_b128 v[96:99], v6
	v_add_u32_e32 v10, 1, v10
	v_cmp_lt_u32_e32 vcc, 6, v10
	v_add_u32_e32 v6, 16, v6
	v_add_u32_e32 v7, 16, v7
	s_or_b64 s[8:9], vcc, s[8:9]
	s_waitcnt vmcnt(0) lgkmcnt(0)
	v_mul_f64 v[12:13], v[98:99], v[94:95]
	v_mul_f64 v[94:95], v[96:97], v[94:95]
	v_fma_f64 v[12:13], v[96:97], v[92:93], -v[12:13]
	v_fmac_f64_e32 v[94:95], v[98:99], v[92:93]
	v_add_f64 v[2:3], v[2:3], v[12:13]
	v_add_f64 v[4:5], v[4:5], v[94:95]
	s_andn2_b64 exec, exec, s[8:9]
	s_cbranch_execnz .LBB25_260
; %bb.261:
	s_or_b64 exec, exec, s[8:9]
.LBB25_262:
	s_or_b64 exec, exec, s[6:7]
	v_mov_b32_e32 v6, 0
	ds_read_b128 v[10:13], v6 offset:128
	s_waitcnt lgkmcnt(0)
	v_mul_f64 v[6:7], v[4:5], v[12:13]
	v_mul_f64 v[94:95], v[2:3], v[12:13]
	v_fma_f64 v[92:93], v[2:3], v[10:11], -v[6:7]
	v_fmac_f64_e32 v[94:95], v[4:5], v[10:11]
	scratch_store_dwordx4 off, v[92:95], off offset:128
.LBB25_263:
	s_or_b64 exec, exec, s[2:3]
	scratch_load_dwordx4 v[2:5], v88, off
	v_cmp_gt_u32_e32 vcc, 9, v0
	s_waitcnt vmcnt(0)
	ds_write_b128 v9, v[2:5]
	s_waitcnt lgkmcnt(0)
	; wave barrier
	s_waitcnt lgkmcnt(0)
	s_and_saveexec_b64 s[2:3], vcc
	s_cbranch_execz .LBB25_271
; %bb.264:
	ds_read_b128 v[2:5], v9
	s_and_b64 vcc, exec, s[0:1]
	s_cbranch_vccnz .LBB25_266
; %bb.265:
	scratch_load_dwordx4 v[10:13], v8, off
	s_waitcnt vmcnt(0) lgkmcnt(0)
	v_mul_f64 v[6:7], v[4:5], v[12:13]
	v_mul_f64 v[12:13], v[2:3], v[12:13]
	v_fmac_f64_e32 v[12:13], v[4:5], v[10:11]
	v_fma_f64 v[2:3], v[2:3], v[10:11], -v[6:7]
	v_mov_b64_e32 v[4:5], v[12:13]
.LBB25_266:
	v_cmp_ne_u32_e32 vcc, 8, v0
	s_and_saveexec_b64 s[6:7], vcc
	s_cbranch_execz .LBB25_270
; %bb.267:
	v_mov_b32_e32 v7, 0
	v_add_u32_e32 v6, 0x1b0, v46
	v_add3_u32 v7, v46, v7, 24
	s_mov_b64 s[8:9], 0
	v_mov_b32_e32 v10, v0
.LBB25_268:                             ; =>This Inner Loop Header: Depth=1
	v_add_u32_e32 v11, -8, v7
	scratch_load_dwordx4 v[92:95], v11, off
	ds_read_b128 v[96:99], v6
	v_add_u32_e32 v10, 1, v10
	v_cmp_lt_u32_e32 vcc, 7, v10
	v_add_u32_e32 v6, 16, v6
	v_add_u32_e32 v7, 16, v7
	s_or_b64 s[8:9], vcc, s[8:9]
	s_waitcnt vmcnt(0) lgkmcnt(0)
	v_mul_f64 v[12:13], v[98:99], v[94:95]
	v_mul_f64 v[94:95], v[96:97], v[94:95]
	v_fma_f64 v[12:13], v[96:97], v[92:93], -v[12:13]
	v_fmac_f64_e32 v[94:95], v[98:99], v[92:93]
	v_add_f64 v[2:3], v[2:3], v[12:13]
	v_add_f64 v[4:5], v[4:5], v[94:95]
	s_andn2_b64 exec, exec, s[8:9]
	s_cbranch_execnz .LBB25_268
; %bb.269:
	s_or_b64 exec, exec, s[8:9]
.LBB25_270:
	s_or_b64 exec, exec, s[6:7]
	v_mov_b32_e32 v6, 0
	ds_read_b128 v[10:13], v6 offset:144
	s_waitcnt lgkmcnt(0)
	v_mul_f64 v[6:7], v[4:5], v[12:13]
	v_mul_f64 v[94:95], v[2:3], v[12:13]
	v_fma_f64 v[92:93], v[2:3], v[10:11], -v[6:7]
	v_fmac_f64_e32 v[94:95], v[4:5], v[10:11]
	scratch_store_dwordx4 off, v[92:95], off offset:144
.LBB25_271:
	s_or_b64 exec, exec, s[2:3]
	scratch_load_dwordx4 v[2:5], v90, off
	v_cmp_gt_u32_e32 vcc, 10, v0
	s_waitcnt vmcnt(0)
	ds_write_b128 v9, v[2:5]
	s_waitcnt lgkmcnt(0)
	; wave barrier
	s_waitcnt lgkmcnt(0)
	s_and_saveexec_b64 s[2:3], vcc
	s_cbranch_execz .LBB25_279
; %bb.272:
	ds_read_b128 v[2:5], v9
	s_and_b64 vcc, exec, s[0:1]
	s_cbranch_vccnz .LBB25_274
; %bb.273:
	scratch_load_dwordx4 v[10:13], v8, off
	s_waitcnt vmcnt(0) lgkmcnt(0)
	v_mul_f64 v[6:7], v[4:5], v[12:13]
	v_mul_f64 v[12:13], v[2:3], v[12:13]
	v_fmac_f64_e32 v[12:13], v[4:5], v[10:11]
	v_fma_f64 v[2:3], v[2:3], v[10:11], -v[6:7]
	v_mov_b64_e32 v[4:5], v[12:13]
.LBB25_274:
	v_cmp_ne_u32_e32 vcc, 9, v0
	s_and_saveexec_b64 s[6:7], vcc
	s_cbranch_execz .LBB25_278
; %bb.275:
	v_mov_b32_e32 v7, 0
	v_add_u32_e32 v6, 0x1b0, v46
	v_add3_u32 v7, v46, v7, 24
	s_mov_b64 s[8:9], 0
	v_mov_b32_e32 v10, v0
.LBB25_276:                             ; =>This Inner Loop Header: Depth=1
	v_add_u32_e32 v11, -8, v7
	scratch_load_dwordx4 v[92:95], v11, off
	ds_read_b128 v[96:99], v6
	v_add_u32_e32 v10, 1, v10
	v_cmp_lt_u32_e32 vcc, 8, v10
	v_add_u32_e32 v6, 16, v6
	v_add_u32_e32 v7, 16, v7
	s_or_b64 s[8:9], vcc, s[8:9]
	s_waitcnt vmcnt(0) lgkmcnt(0)
	v_mul_f64 v[12:13], v[98:99], v[94:95]
	v_mul_f64 v[94:95], v[96:97], v[94:95]
	v_fma_f64 v[12:13], v[96:97], v[92:93], -v[12:13]
	v_fmac_f64_e32 v[94:95], v[98:99], v[92:93]
	v_add_f64 v[2:3], v[2:3], v[12:13]
	v_add_f64 v[4:5], v[4:5], v[94:95]
	s_andn2_b64 exec, exec, s[8:9]
	s_cbranch_execnz .LBB25_276
; %bb.277:
	s_or_b64 exec, exec, s[8:9]
.LBB25_278:
	s_or_b64 exec, exec, s[6:7]
	v_mov_b32_e32 v6, 0
	ds_read_b128 v[10:13], v6 offset:160
	s_waitcnt lgkmcnt(0)
	v_mul_f64 v[6:7], v[4:5], v[12:13]
	v_mul_f64 v[94:95], v[2:3], v[12:13]
	v_fma_f64 v[92:93], v[2:3], v[10:11], -v[6:7]
	v_fmac_f64_e32 v[94:95], v[4:5], v[10:11]
	scratch_store_dwordx4 off, v[92:95], off offset:160
.LBB25_279:
	s_or_b64 exec, exec, s[2:3]
	scratch_load_dwordx4 v[2:5], v87, off
	v_cmp_gt_u32_e32 vcc, 11, v0
	s_waitcnt vmcnt(0)
	ds_write_b128 v9, v[2:5]
	s_waitcnt lgkmcnt(0)
	; wave barrier
	s_waitcnt lgkmcnt(0)
	s_and_saveexec_b64 s[2:3], vcc
	s_cbranch_execz .LBB25_287
; %bb.280:
	ds_read_b128 v[2:5], v9
	s_and_b64 vcc, exec, s[0:1]
	s_cbranch_vccnz .LBB25_282
; %bb.281:
	scratch_load_dwordx4 v[10:13], v8, off
	s_waitcnt vmcnt(0) lgkmcnt(0)
	v_mul_f64 v[6:7], v[4:5], v[12:13]
	v_mul_f64 v[12:13], v[2:3], v[12:13]
	v_fmac_f64_e32 v[12:13], v[4:5], v[10:11]
	v_fma_f64 v[2:3], v[2:3], v[10:11], -v[6:7]
	v_mov_b64_e32 v[4:5], v[12:13]
.LBB25_282:
	v_cmp_ne_u32_e32 vcc, 10, v0
	s_and_saveexec_b64 s[6:7], vcc
	s_cbranch_execz .LBB25_286
; %bb.283:
	v_mov_b32_e32 v7, 0
	v_add_u32_e32 v6, 0x1b0, v46
	v_add3_u32 v7, v46, v7, 24
	s_mov_b64 s[8:9], 0
	v_mov_b32_e32 v10, v0
.LBB25_284:                             ; =>This Inner Loop Header: Depth=1
	v_add_u32_e32 v11, -8, v7
	scratch_load_dwordx4 v[92:95], v11, off
	ds_read_b128 v[96:99], v6
	v_add_u32_e32 v10, 1, v10
	v_cmp_lt_u32_e32 vcc, 9, v10
	v_add_u32_e32 v6, 16, v6
	v_add_u32_e32 v7, 16, v7
	s_or_b64 s[8:9], vcc, s[8:9]
	s_waitcnt vmcnt(0) lgkmcnt(0)
	v_mul_f64 v[12:13], v[98:99], v[94:95]
	v_mul_f64 v[94:95], v[96:97], v[94:95]
	v_fma_f64 v[12:13], v[96:97], v[92:93], -v[12:13]
	v_fmac_f64_e32 v[94:95], v[98:99], v[92:93]
	v_add_f64 v[2:3], v[2:3], v[12:13]
	v_add_f64 v[4:5], v[4:5], v[94:95]
	s_andn2_b64 exec, exec, s[8:9]
	s_cbranch_execnz .LBB25_284
; %bb.285:
	s_or_b64 exec, exec, s[8:9]
.LBB25_286:
	s_or_b64 exec, exec, s[6:7]
	v_mov_b32_e32 v6, 0
	ds_read_b128 v[10:13], v6 offset:176
	s_waitcnt lgkmcnt(0)
	v_mul_f64 v[6:7], v[4:5], v[12:13]
	v_mul_f64 v[94:95], v[2:3], v[12:13]
	v_fma_f64 v[92:93], v[2:3], v[10:11], -v[6:7]
	v_fmac_f64_e32 v[94:95], v[4:5], v[10:11]
	scratch_store_dwordx4 off, v[92:95], off offset:176
.LBB25_287:
	s_or_b64 exec, exec, s[2:3]
	scratch_load_dwordx4 v[2:5], v80, off
	v_cmp_gt_u32_e32 vcc, 12, v0
	s_waitcnt vmcnt(0)
	ds_write_b128 v9, v[2:5]
	s_waitcnt lgkmcnt(0)
	; wave barrier
	s_waitcnt lgkmcnt(0)
	s_and_saveexec_b64 s[2:3], vcc
	s_cbranch_execz .LBB25_295
; %bb.288:
	ds_read_b128 v[2:5], v9
	s_and_b64 vcc, exec, s[0:1]
	s_cbranch_vccnz .LBB25_290
; %bb.289:
	scratch_load_dwordx4 v[10:13], v8, off
	s_waitcnt vmcnt(0) lgkmcnt(0)
	v_mul_f64 v[6:7], v[4:5], v[12:13]
	v_mul_f64 v[12:13], v[2:3], v[12:13]
	v_fmac_f64_e32 v[12:13], v[4:5], v[10:11]
	v_fma_f64 v[2:3], v[2:3], v[10:11], -v[6:7]
	v_mov_b64_e32 v[4:5], v[12:13]
.LBB25_290:
	v_cmp_ne_u32_e32 vcc, 11, v0
	s_and_saveexec_b64 s[6:7], vcc
	s_cbranch_execz .LBB25_294
; %bb.291:
	v_mov_b32_e32 v7, 0
	v_add_u32_e32 v6, 0x1b0, v46
	v_add3_u32 v7, v46, v7, 24
	s_mov_b64 s[8:9], 0
	v_mov_b32_e32 v10, v0
.LBB25_292:                             ; =>This Inner Loop Header: Depth=1
	v_add_u32_e32 v11, -8, v7
	scratch_load_dwordx4 v[92:95], v11, off
	ds_read_b128 v[96:99], v6
	v_add_u32_e32 v10, 1, v10
	v_cmp_lt_u32_e32 vcc, 10, v10
	v_add_u32_e32 v6, 16, v6
	v_add_u32_e32 v7, 16, v7
	s_or_b64 s[8:9], vcc, s[8:9]
	s_waitcnt vmcnt(0) lgkmcnt(0)
	v_mul_f64 v[12:13], v[98:99], v[94:95]
	v_mul_f64 v[94:95], v[96:97], v[94:95]
	v_fma_f64 v[12:13], v[96:97], v[92:93], -v[12:13]
	v_fmac_f64_e32 v[94:95], v[98:99], v[92:93]
	v_add_f64 v[2:3], v[2:3], v[12:13]
	v_add_f64 v[4:5], v[4:5], v[94:95]
	s_andn2_b64 exec, exec, s[8:9]
	s_cbranch_execnz .LBB25_292
; %bb.293:
	s_or_b64 exec, exec, s[8:9]
.LBB25_294:
	s_or_b64 exec, exec, s[6:7]
	v_mov_b32_e32 v6, 0
	ds_read_b128 v[10:13], v6 offset:192
	s_waitcnt lgkmcnt(0)
	v_mul_f64 v[6:7], v[4:5], v[12:13]
	v_mul_f64 v[94:95], v[2:3], v[12:13]
	v_fma_f64 v[92:93], v[2:3], v[10:11], -v[6:7]
	v_fmac_f64_e32 v[94:95], v[4:5], v[10:11]
	scratch_store_dwordx4 off, v[92:95], off offset:192
.LBB25_295:
	s_or_b64 exec, exec, s[2:3]
	scratch_load_dwordx4 v[2:5], v79, off
	v_cmp_gt_u32_e32 vcc, 13, v0
	s_waitcnt vmcnt(0)
	ds_write_b128 v9, v[2:5]
	s_waitcnt lgkmcnt(0)
	; wave barrier
	s_waitcnt lgkmcnt(0)
	s_and_saveexec_b64 s[2:3], vcc
	s_cbranch_execz .LBB25_303
; %bb.296:
	ds_read_b128 v[2:5], v9
	s_and_b64 vcc, exec, s[0:1]
	s_cbranch_vccnz .LBB25_298
; %bb.297:
	scratch_load_dwordx4 v[10:13], v8, off
	s_waitcnt vmcnt(0) lgkmcnt(0)
	v_mul_f64 v[6:7], v[4:5], v[12:13]
	v_mul_f64 v[12:13], v[2:3], v[12:13]
	v_fmac_f64_e32 v[12:13], v[4:5], v[10:11]
	v_fma_f64 v[2:3], v[2:3], v[10:11], -v[6:7]
	v_mov_b64_e32 v[4:5], v[12:13]
.LBB25_298:
	v_cmp_ne_u32_e32 vcc, 12, v0
	s_and_saveexec_b64 s[6:7], vcc
	s_cbranch_execz .LBB25_302
; %bb.299:
	v_mov_b32_e32 v7, 0
	v_add_u32_e32 v6, 0x1b0, v46
	v_add3_u32 v7, v46, v7, 24
	s_mov_b64 s[8:9], 0
	v_mov_b32_e32 v10, v0
.LBB25_300:                             ; =>This Inner Loop Header: Depth=1
	v_add_u32_e32 v11, -8, v7
	scratch_load_dwordx4 v[92:95], v11, off
	ds_read_b128 v[96:99], v6
	v_add_u32_e32 v10, 1, v10
	v_cmp_lt_u32_e32 vcc, 11, v10
	v_add_u32_e32 v6, 16, v6
	v_add_u32_e32 v7, 16, v7
	s_or_b64 s[8:9], vcc, s[8:9]
	s_waitcnt vmcnt(0) lgkmcnt(0)
	v_mul_f64 v[12:13], v[98:99], v[94:95]
	v_mul_f64 v[94:95], v[96:97], v[94:95]
	v_fma_f64 v[12:13], v[96:97], v[92:93], -v[12:13]
	v_fmac_f64_e32 v[94:95], v[98:99], v[92:93]
	v_add_f64 v[2:3], v[2:3], v[12:13]
	v_add_f64 v[4:5], v[4:5], v[94:95]
	s_andn2_b64 exec, exec, s[8:9]
	s_cbranch_execnz .LBB25_300
; %bb.301:
	s_or_b64 exec, exec, s[8:9]
.LBB25_302:
	s_or_b64 exec, exec, s[6:7]
	v_mov_b32_e32 v6, 0
	ds_read_b128 v[10:13], v6 offset:208
	s_waitcnt lgkmcnt(0)
	v_mul_f64 v[6:7], v[4:5], v[12:13]
	v_mul_f64 v[94:95], v[2:3], v[12:13]
	v_fma_f64 v[92:93], v[2:3], v[10:11], -v[6:7]
	v_fmac_f64_e32 v[94:95], v[4:5], v[10:11]
	scratch_store_dwordx4 off, v[92:95], off offset:208
.LBB25_303:
	s_or_b64 exec, exec, s[2:3]
	scratch_load_dwordx4 v[2:5], v76, off
	v_cmp_gt_u32_e32 vcc, 14, v0
	s_waitcnt vmcnt(0)
	ds_write_b128 v9, v[2:5]
	s_waitcnt lgkmcnt(0)
	; wave barrier
	s_waitcnt lgkmcnt(0)
	s_and_saveexec_b64 s[2:3], vcc
	s_cbranch_execz .LBB25_311
; %bb.304:
	ds_read_b128 v[2:5], v9
	s_and_b64 vcc, exec, s[0:1]
	s_cbranch_vccnz .LBB25_306
; %bb.305:
	scratch_load_dwordx4 v[10:13], v8, off
	s_waitcnt vmcnt(0) lgkmcnt(0)
	v_mul_f64 v[6:7], v[4:5], v[12:13]
	v_mul_f64 v[12:13], v[2:3], v[12:13]
	v_fmac_f64_e32 v[12:13], v[4:5], v[10:11]
	v_fma_f64 v[2:3], v[2:3], v[10:11], -v[6:7]
	v_mov_b64_e32 v[4:5], v[12:13]
.LBB25_306:
	v_cmp_ne_u32_e32 vcc, 13, v0
	s_and_saveexec_b64 s[6:7], vcc
	s_cbranch_execz .LBB25_310
; %bb.307:
	v_mov_b32_e32 v7, 0
	v_add_u32_e32 v6, 0x1b0, v46
	v_add3_u32 v7, v46, v7, 24
	s_mov_b64 s[8:9], 0
	v_mov_b32_e32 v10, v0
.LBB25_308:                             ; =>This Inner Loop Header: Depth=1
	v_add_u32_e32 v11, -8, v7
	scratch_load_dwordx4 v[92:95], v11, off
	ds_read_b128 v[96:99], v6
	v_add_u32_e32 v10, 1, v10
	v_cmp_lt_u32_e32 vcc, 12, v10
	v_add_u32_e32 v6, 16, v6
	v_add_u32_e32 v7, 16, v7
	s_or_b64 s[8:9], vcc, s[8:9]
	s_waitcnt vmcnt(0) lgkmcnt(0)
	v_mul_f64 v[12:13], v[98:99], v[94:95]
	v_mul_f64 v[94:95], v[96:97], v[94:95]
	v_fma_f64 v[12:13], v[96:97], v[92:93], -v[12:13]
	v_fmac_f64_e32 v[94:95], v[98:99], v[92:93]
	v_add_f64 v[2:3], v[2:3], v[12:13]
	v_add_f64 v[4:5], v[4:5], v[94:95]
	s_andn2_b64 exec, exec, s[8:9]
	s_cbranch_execnz .LBB25_308
; %bb.309:
	s_or_b64 exec, exec, s[8:9]
.LBB25_310:
	s_or_b64 exec, exec, s[6:7]
	v_mov_b32_e32 v6, 0
	ds_read_b128 v[10:13], v6 offset:224
	s_waitcnt lgkmcnt(0)
	v_mul_f64 v[6:7], v[4:5], v[12:13]
	v_mul_f64 v[94:95], v[2:3], v[12:13]
	v_fma_f64 v[92:93], v[2:3], v[10:11], -v[6:7]
	v_fmac_f64_e32 v[94:95], v[4:5], v[10:11]
	scratch_store_dwordx4 off, v[92:95], off offset:224
.LBB25_311:
	s_or_b64 exec, exec, s[2:3]
	scratch_load_dwordx4 v[2:5], v78, off
	v_cmp_gt_u32_e32 vcc, 15, v0
	s_waitcnt vmcnt(0)
	ds_write_b128 v9, v[2:5]
	s_waitcnt lgkmcnt(0)
	; wave barrier
	s_waitcnt lgkmcnt(0)
	s_and_saveexec_b64 s[2:3], vcc
	s_cbranch_execz .LBB25_319
; %bb.312:
	ds_read_b128 v[2:5], v9
	s_and_b64 vcc, exec, s[0:1]
	s_cbranch_vccnz .LBB25_314
; %bb.313:
	scratch_load_dwordx4 v[10:13], v8, off
	s_waitcnt vmcnt(0) lgkmcnt(0)
	v_mul_f64 v[6:7], v[4:5], v[12:13]
	v_mul_f64 v[12:13], v[2:3], v[12:13]
	v_fmac_f64_e32 v[12:13], v[4:5], v[10:11]
	v_fma_f64 v[2:3], v[2:3], v[10:11], -v[6:7]
	v_mov_b64_e32 v[4:5], v[12:13]
.LBB25_314:
	v_cmp_ne_u32_e32 vcc, 14, v0
	s_and_saveexec_b64 s[6:7], vcc
	s_cbranch_execz .LBB25_318
; %bb.315:
	v_mov_b32_e32 v7, 0
	v_add_u32_e32 v6, 0x1b0, v46
	v_add3_u32 v7, v46, v7, 24
	s_mov_b64 s[8:9], 0
	v_mov_b32_e32 v10, v0
.LBB25_316:                             ; =>This Inner Loop Header: Depth=1
	v_add_u32_e32 v11, -8, v7
	scratch_load_dwordx4 v[92:95], v11, off
	ds_read_b128 v[96:99], v6
	v_add_u32_e32 v10, 1, v10
	v_cmp_lt_u32_e32 vcc, 13, v10
	v_add_u32_e32 v6, 16, v6
	v_add_u32_e32 v7, 16, v7
	s_or_b64 s[8:9], vcc, s[8:9]
	s_waitcnt vmcnt(0) lgkmcnt(0)
	v_mul_f64 v[12:13], v[98:99], v[94:95]
	v_mul_f64 v[94:95], v[96:97], v[94:95]
	v_fma_f64 v[12:13], v[96:97], v[92:93], -v[12:13]
	v_fmac_f64_e32 v[94:95], v[98:99], v[92:93]
	v_add_f64 v[2:3], v[2:3], v[12:13]
	v_add_f64 v[4:5], v[4:5], v[94:95]
	s_andn2_b64 exec, exec, s[8:9]
	s_cbranch_execnz .LBB25_316
; %bb.317:
	s_or_b64 exec, exec, s[8:9]
.LBB25_318:
	s_or_b64 exec, exec, s[6:7]
	v_mov_b32_e32 v6, 0
	ds_read_b128 v[10:13], v6 offset:240
	s_waitcnt lgkmcnt(0)
	v_mul_f64 v[6:7], v[4:5], v[12:13]
	v_mul_f64 v[94:95], v[2:3], v[12:13]
	v_fma_f64 v[92:93], v[2:3], v[10:11], -v[6:7]
	v_fmac_f64_e32 v[94:95], v[4:5], v[10:11]
	scratch_store_dwordx4 off, v[92:95], off offset:240
.LBB25_319:
	s_or_b64 exec, exec, s[2:3]
	scratch_load_dwordx4 v[2:5], v74, off
	v_cmp_gt_u32_e32 vcc, 16, v0
	s_waitcnt vmcnt(0)
	ds_write_b128 v9, v[2:5]
	s_waitcnt lgkmcnt(0)
	; wave barrier
	s_waitcnt lgkmcnt(0)
	s_and_saveexec_b64 s[2:3], vcc
	s_cbranch_execz .LBB25_327
; %bb.320:
	ds_read_b128 v[2:5], v9
	s_and_b64 vcc, exec, s[0:1]
	s_cbranch_vccnz .LBB25_322
; %bb.321:
	scratch_load_dwordx4 v[10:13], v8, off
	s_waitcnt vmcnt(0) lgkmcnt(0)
	v_mul_f64 v[6:7], v[4:5], v[12:13]
	v_mul_f64 v[12:13], v[2:3], v[12:13]
	v_fmac_f64_e32 v[12:13], v[4:5], v[10:11]
	v_fma_f64 v[2:3], v[2:3], v[10:11], -v[6:7]
	v_mov_b64_e32 v[4:5], v[12:13]
.LBB25_322:
	v_cmp_ne_u32_e32 vcc, 15, v0
	s_and_saveexec_b64 s[6:7], vcc
	s_cbranch_execz .LBB25_326
; %bb.323:
	v_mov_b32_e32 v7, 0
	v_add_u32_e32 v6, 0x1b0, v46
	v_add3_u32 v7, v46, v7, 24
	s_mov_b64 s[8:9], 0
	v_mov_b32_e32 v10, v0
.LBB25_324:                             ; =>This Inner Loop Header: Depth=1
	v_add_u32_e32 v11, -8, v7
	scratch_load_dwordx4 v[92:95], v11, off
	ds_read_b128 v[96:99], v6
	v_add_u32_e32 v10, 1, v10
	v_cmp_lt_u32_e32 vcc, 14, v10
	v_add_u32_e32 v6, 16, v6
	v_add_u32_e32 v7, 16, v7
	s_or_b64 s[8:9], vcc, s[8:9]
	s_waitcnt vmcnt(0) lgkmcnt(0)
	v_mul_f64 v[12:13], v[98:99], v[94:95]
	v_mul_f64 v[94:95], v[96:97], v[94:95]
	v_fma_f64 v[12:13], v[96:97], v[92:93], -v[12:13]
	v_fmac_f64_e32 v[94:95], v[98:99], v[92:93]
	v_add_f64 v[2:3], v[2:3], v[12:13]
	v_add_f64 v[4:5], v[4:5], v[94:95]
	s_andn2_b64 exec, exec, s[8:9]
	s_cbranch_execnz .LBB25_324
; %bb.325:
	s_or_b64 exec, exec, s[8:9]
.LBB25_326:
	s_or_b64 exec, exec, s[6:7]
	v_mov_b32_e32 v6, 0
	ds_read_b128 v[10:13], v6 offset:256
	s_waitcnt lgkmcnt(0)
	v_mul_f64 v[6:7], v[4:5], v[12:13]
	v_mul_f64 v[94:95], v[2:3], v[12:13]
	v_fma_f64 v[92:93], v[2:3], v[10:11], -v[6:7]
	v_fmac_f64_e32 v[94:95], v[4:5], v[10:11]
	scratch_store_dwordx4 off, v[92:95], off offset:256
.LBB25_327:
	s_or_b64 exec, exec, s[2:3]
	scratch_load_dwordx4 v[2:5], v75, off
	v_cmp_gt_u32_e32 vcc, 17, v0
	s_waitcnt vmcnt(0)
	ds_write_b128 v9, v[2:5]
	s_waitcnt lgkmcnt(0)
	; wave barrier
	s_waitcnt lgkmcnt(0)
	s_and_saveexec_b64 s[2:3], vcc
	s_cbranch_execz .LBB25_335
; %bb.328:
	ds_read_b128 v[2:5], v9
	s_and_b64 vcc, exec, s[0:1]
	s_cbranch_vccnz .LBB25_330
; %bb.329:
	scratch_load_dwordx4 v[10:13], v8, off
	s_waitcnt vmcnt(0) lgkmcnt(0)
	v_mul_f64 v[6:7], v[4:5], v[12:13]
	v_mul_f64 v[12:13], v[2:3], v[12:13]
	v_fmac_f64_e32 v[12:13], v[4:5], v[10:11]
	v_fma_f64 v[2:3], v[2:3], v[10:11], -v[6:7]
	v_mov_b64_e32 v[4:5], v[12:13]
.LBB25_330:
	v_cmp_ne_u32_e32 vcc, 16, v0
	s_and_saveexec_b64 s[6:7], vcc
	s_cbranch_execz .LBB25_334
; %bb.331:
	v_mov_b32_e32 v7, 0
	v_add_u32_e32 v6, 0x1b0, v46
	v_add3_u32 v7, v46, v7, 24
	s_mov_b64 s[8:9], 0
	v_mov_b32_e32 v10, v0
.LBB25_332:                             ; =>This Inner Loop Header: Depth=1
	v_add_u32_e32 v11, -8, v7
	scratch_load_dwordx4 v[92:95], v11, off
	ds_read_b128 v[96:99], v6
	v_add_u32_e32 v10, 1, v10
	v_cmp_lt_u32_e32 vcc, 15, v10
	v_add_u32_e32 v6, 16, v6
	v_add_u32_e32 v7, 16, v7
	s_or_b64 s[8:9], vcc, s[8:9]
	s_waitcnt vmcnt(0) lgkmcnt(0)
	v_mul_f64 v[12:13], v[98:99], v[94:95]
	v_mul_f64 v[94:95], v[96:97], v[94:95]
	v_fma_f64 v[12:13], v[96:97], v[92:93], -v[12:13]
	v_fmac_f64_e32 v[94:95], v[98:99], v[92:93]
	v_add_f64 v[2:3], v[2:3], v[12:13]
	v_add_f64 v[4:5], v[4:5], v[94:95]
	s_andn2_b64 exec, exec, s[8:9]
	s_cbranch_execnz .LBB25_332
; %bb.333:
	s_or_b64 exec, exec, s[8:9]
.LBB25_334:
	s_or_b64 exec, exec, s[6:7]
	v_mov_b32_e32 v6, 0
	ds_read_b128 v[10:13], v6 offset:272
	s_waitcnt lgkmcnt(0)
	v_mul_f64 v[6:7], v[4:5], v[12:13]
	v_mul_f64 v[94:95], v[2:3], v[12:13]
	v_fma_f64 v[92:93], v[2:3], v[10:11], -v[6:7]
	v_fmac_f64_e32 v[94:95], v[4:5], v[10:11]
	scratch_store_dwordx4 off, v[92:95], off offset:272
.LBB25_335:
	s_or_b64 exec, exec, s[2:3]
	scratch_load_dwordx4 v[2:5], v72, off
	v_cmp_gt_u32_e32 vcc, 18, v0
	s_waitcnt vmcnt(0)
	ds_write_b128 v9, v[2:5]
	s_waitcnt lgkmcnt(0)
	; wave barrier
	s_waitcnt lgkmcnt(0)
	s_and_saveexec_b64 s[2:3], vcc
	s_cbranch_execz .LBB25_343
; %bb.336:
	ds_read_b128 v[2:5], v9
	s_and_b64 vcc, exec, s[0:1]
	s_cbranch_vccnz .LBB25_338
; %bb.337:
	scratch_load_dwordx4 v[10:13], v8, off
	s_waitcnt vmcnt(0) lgkmcnt(0)
	v_mul_f64 v[6:7], v[4:5], v[12:13]
	v_mul_f64 v[12:13], v[2:3], v[12:13]
	v_fmac_f64_e32 v[12:13], v[4:5], v[10:11]
	v_fma_f64 v[2:3], v[2:3], v[10:11], -v[6:7]
	v_mov_b64_e32 v[4:5], v[12:13]
.LBB25_338:
	v_cmp_ne_u32_e32 vcc, 17, v0
	s_and_saveexec_b64 s[6:7], vcc
	s_cbranch_execz .LBB25_342
; %bb.339:
	v_mov_b32_e32 v7, 0
	v_add_u32_e32 v6, 0x1b0, v46
	v_add3_u32 v7, v46, v7, 24
	s_mov_b64 s[8:9], 0
	v_mov_b32_e32 v10, v0
.LBB25_340:                             ; =>This Inner Loop Header: Depth=1
	v_add_u32_e32 v11, -8, v7
	scratch_load_dwordx4 v[92:95], v11, off
	ds_read_b128 v[96:99], v6
	v_add_u32_e32 v10, 1, v10
	v_cmp_lt_u32_e32 vcc, 16, v10
	v_add_u32_e32 v6, 16, v6
	v_add_u32_e32 v7, 16, v7
	s_or_b64 s[8:9], vcc, s[8:9]
	s_waitcnt vmcnt(0) lgkmcnt(0)
	v_mul_f64 v[12:13], v[98:99], v[94:95]
	v_mul_f64 v[94:95], v[96:97], v[94:95]
	v_fma_f64 v[12:13], v[96:97], v[92:93], -v[12:13]
	v_fmac_f64_e32 v[94:95], v[98:99], v[92:93]
	v_add_f64 v[2:3], v[2:3], v[12:13]
	v_add_f64 v[4:5], v[4:5], v[94:95]
	s_andn2_b64 exec, exec, s[8:9]
	s_cbranch_execnz .LBB25_340
; %bb.341:
	s_or_b64 exec, exec, s[8:9]
.LBB25_342:
	s_or_b64 exec, exec, s[6:7]
	v_mov_b32_e32 v6, 0
	ds_read_b128 v[10:13], v6 offset:288
	s_waitcnt lgkmcnt(0)
	v_mul_f64 v[6:7], v[4:5], v[12:13]
	v_mul_f64 v[94:95], v[2:3], v[12:13]
	v_fma_f64 v[92:93], v[2:3], v[10:11], -v[6:7]
	v_fmac_f64_e32 v[94:95], v[4:5], v[10:11]
	scratch_store_dwordx4 off, v[92:95], off offset:288
.LBB25_343:
	s_or_b64 exec, exec, s[2:3]
	scratch_load_dwordx4 v[2:5], v73, off
	v_cmp_gt_u32_e32 vcc, 19, v0
	s_waitcnt vmcnt(0)
	ds_write_b128 v9, v[2:5]
	s_waitcnt lgkmcnt(0)
	; wave barrier
	s_waitcnt lgkmcnt(0)
	s_and_saveexec_b64 s[2:3], vcc
	s_cbranch_execz .LBB25_351
; %bb.344:
	ds_read_b128 v[2:5], v9
	s_and_b64 vcc, exec, s[0:1]
	s_cbranch_vccnz .LBB25_346
; %bb.345:
	scratch_load_dwordx4 v[10:13], v8, off
	s_waitcnt vmcnt(0) lgkmcnt(0)
	v_mul_f64 v[6:7], v[4:5], v[12:13]
	v_mul_f64 v[12:13], v[2:3], v[12:13]
	v_fmac_f64_e32 v[12:13], v[4:5], v[10:11]
	v_fma_f64 v[2:3], v[2:3], v[10:11], -v[6:7]
	v_mov_b64_e32 v[4:5], v[12:13]
.LBB25_346:
	v_cmp_ne_u32_e32 vcc, 18, v0
	s_and_saveexec_b64 s[6:7], vcc
	s_cbranch_execz .LBB25_350
; %bb.347:
	v_mov_b32_e32 v7, 0
	v_add_u32_e32 v6, 0x1b0, v46
	v_add3_u32 v7, v46, v7, 24
	s_mov_b64 s[8:9], 0
	v_mov_b32_e32 v10, v0
.LBB25_348:                             ; =>This Inner Loop Header: Depth=1
	v_add_u32_e32 v11, -8, v7
	scratch_load_dwordx4 v[92:95], v11, off
	ds_read_b128 v[96:99], v6
	v_add_u32_e32 v10, 1, v10
	v_cmp_lt_u32_e32 vcc, 17, v10
	v_add_u32_e32 v6, 16, v6
	v_add_u32_e32 v7, 16, v7
	s_or_b64 s[8:9], vcc, s[8:9]
	s_waitcnt vmcnt(0) lgkmcnt(0)
	v_mul_f64 v[12:13], v[98:99], v[94:95]
	v_mul_f64 v[94:95], v[96:97], v[94:95]
	v_fma_f64 v[12:13], v[96:97], v[92:93], -v[12:13]
	v_fmac_f64_e32 v[94:95], v[98:99], v[92:93]
	v_add_f64 v[2:3], v[2:3], v[12:13]
	v_add_f64 v[4:5], v[4:5], v[94:95]
	s_andn2_b64 exec, exec, s[8:9]
	s_cbranch_execnz .LBB25_348
; %bb.349:
	s_or_b64 exec, exec, s[8:9]
.LBB25_350:
	s_or_b64 exec, exec, s[6:7]
	v_mov_b32_e32 v6, 0
	ds_read_b128 v[10:13], v6 offset:304
	s_waitcnt lgkmcnt(0)
	v_mul_f64 v[6:7], v[4:5], v[12:13]
	v_mul_f64 v[94:95], v[2:3], v[12:13]
	v_fma_f64 v[92:93], v[2:3], v[10:11], -v[6:7]
	v_fmac_f64_e32 v[94:95], v[4:5], v[10:11]
	scratch_store_dwordx4 off, v[92:95], off offset:304
.LBB25_351:
	s_or_b64 exec, exec, s[2:3]
	scratch_load_dwordx4 v[2:5], v70, off
	v_cmp_gt_u32_e32 vcc, 20, v0
	s_waitcnt vmcnt(0)
	ds_write_b128 v9, v[2:5]
	s_waitcnt lgkmcnt(0)
	; wave barrier
	s_waitcnt lgkmcnt(0)
	s_and_saveexec_b64 s[2:3], vcc
	s_cbranch_execz .LBB25_359
; %bb.352:
	ds_read_b128 v[2:5], v9
	s_and_b64 vcc, exec, s[0:1]
	s_cbranch_vccnz .LBB25_354
; %bb.353:
	scratch_load_dwordx4 v[10:13], v8, off
	s_waitcnt vmcnt(0) lgkmcnt(0)
	v_mul_f64 v[6:7], v[4:5], v[12:13]
	v_mul_f64 v[12:13], v[2:3], v[12:13]
	v_fmac_f64_e32 v[12:13], v[4:5], v[10:11]
	v_fma_f64 v[2:3], v[2:3], v[10:11], -v[6:7]
	v_mov_b64_e32 v[4:5], v[12:13]
.LBB25_354:
	v_cmp_ne_u32_e32 vcc, 19, v0
	s_and_saveexec_b64 s[6:7], vcc
	s_cbranch_execz .LBB25_358
; %bb.355:
	v_mov_b32_e32 v7, 0
	v_add_u32_e32 v6, 0x1b0, v46
	v_add3_u32 v7, v46, v7, 24
	s_mov_b64 s[8:9], 0
	v_mov_b32_e32 v10, v0
.LBB25_356:                             ; =>This Inner Loop Header: Depth=1
	v_add_u32_e32 v11, -8, v7
	scratch_load_dwordx4 v[92:95], v11, off
	ds_read_b128 v[96:99], v6
	v_add_u32_e32 v10, 1, v10
	v_cmp_lt_u32_e32 vcc, 18, v10
	v_add_u32_e32 v6, 16, v6
	v_add_u32_e32 v7, 16, v7
	s_or_b64 s[8:9], vcc, s[8:9]
	s_waitcnt vmcnt(0) lgkmcnt(0)
	v_mul_f64 v[12:13], v[98:99], v[94:95]
	v_mul_f64 v[94:95], v[96:97], v[94:95]
	v_fma_f64 v[12:13], v[96:97], v[92:93], -v[12:13]
	v_fmac_f64_e32 v[94:95], v[98:99], v[92:93]
	v_add_f64 v[2:3], v[2:3], v[12:13]
	v_add_f64 v[4:5], v[4:5], v[94:95]
	s_andn2_b64 exec, exec, s[8:9]
	s_cbranch_execnz .LBB25_356
; %bb.357:
	s_or_b64 exec, exec, s[8:9]
.LBB25_358:
	s_or_b64 exec, exec, s[6:7]
	v_mov_b32_e32 v6, 0
	ds_read_b128 v[10:13], v6 offset:320
	s_waitcnt lgkmcnt(0)
	v_mul_f64 v[6:7], v[4:5], v[12:13]
	v_mul_f64 v[94:95], v[2:3], v[12:13]
	v_fma_f64 v[92:93], v[2:3], v[10:11], -v[6:7]
	v_fmac_f64_e32 v[94:95], v[4:5], v[10:11]
	scratch_store_dwordx4 off, v[92:95], off offset:320
.LBB25_359:
	s_or_b64 exec, exec, s[2:3]
	scratch_load_dwordx4 v[2:5], v71, off
	v_cmp_gt_u32_e32 vcc, 21, v0
	s_waitcnt vmcnt(0)
	ds_write_b128 v9, v[2:5]
	s_waitcnt lgkmcnt(0)
	; wave barrier
	s_waitcnt lgkmcnt(0)
	s_and_saveexec_b64 s[2:3], vcc
	s_cbranch_execz .LBB25_367
; %bb.360:
	ds_read_b128 v[2:5], v9
	s_and_b64 vcc, exec, s[0:1]
	s_cbranch_vccnz .LBB25_362
; %bb.361:
	scratch_load_dwordx4 v[10:13], v8, off
	s_waitcnt vmcnt(0) lgkmcnt(0)
	v_mul_f64 v[6:7], v[4:5], v[12:13]
	v_mul_f64 v[12:13], v[2:3], v[12:13]
	v_fmac_f64_e32 v[12:13], v[4:5], v[10:11]
	v_fma_f64 v[2:3], v[2:3], v[10:11], -v[6:7]
	v_mov_b64_e32 v[4:5], v[12:13]
.LBB25_362:
	v_cmp_ne_u32_e32 vcc, 20, v0
	s_and_saveexec_b64 s[6:7], vcc
	s_cbranch_execz .LBB25_366
; %bb.363:
	v_mov_b32_e32 v7, 0
	v_add_u32_e32 v6, 0x1b0, v46
	v_add3_u32 v7, v46, v7, 24
	s_mov_b64 s[8:9], 0
	v_mov_b32_e32 v10, v0
.LBB25_364:                             ; =>This Inner Loop Header: Depth=1
	v_add_u32_e32 v11, -8, v7
	scratch_load_dwordx4 v[92:95], v11, off
	ds_read_b128 v[96:99], v6
	v_add_u32_e32 v10, 1, v10
	v_cmp_lt_u32_e32 vcc, 19, v10
	v_add_u32_e32 v6, 16, v6
	v_add_u32_e32 v7, 16, v7
	s_or_b64 s[8:9], vcc, s[8:9]
	s_waitcnt vmcnt(0) lgkmcnt(0)
	v_mul_f64 v[12:13], v[98:99], v[94:95]
	v_mul_f64 v[94:95], v[96:97], v[94:95]
	v_fma_f64 v[12:13], v[96:97], v[92:93], -v[12:13]
	v_fmac_f64_e32 v[94:95], v[98:99], v[92:93]
	v_add_f64 v[2:3], v[2:3], v[12:13]
	v_add_f64 v[4:5], v[4:5], v[94:95]
	s_andn2_b64 exec, exec, s[8:9]
	s_cbranch_execnz .LBB25_364
; %bb.365:
	s_or_b64 exec, exec, s[8:9]
.LBB25_366:
	s_or_b64 exec, exec, s[6:7]
	v_mov_b32_e32 v6, 0
	ds_read_b128 v[10:13], v6 offset:336
	s_waitcnt lgkmcnt(0)
	v_mul_f64 v[6:7], v[4:5], v[12:13]
	v_mul_f64 v[94:95], v[2:3], v[12:13]
	v_fma_f64 v[92:93], v[2:3], v[10:11], -v[6:7]
	v_fmac_f64_e32 v[94:95], v[4:5], v[10:11]
	scratch_store_dwordx4 off, v[92:95], off offset:336
.LBB25_367:
	s_or_b64 exec, exec, s[2:3]
	scratch_load_dwordx4 v[2:5], v69, off
	v_cmp_gt_u32_e32 vcc, 22, v0
	s_waitcnt vmcnt(0)
	ds_write_b128 v9, v[2:5]
	s_waitcnt lgkmcnt(0)
	; wave barrier
	s_waitcnt lgkmcnt(0)
	s_and_saveexec_b64 s[2:3], vcc
	s_cbranch_execz .LBB25_375
; %bb.368:
	ds_read_b128 v[2:5], v9
	s_and_b64 vcc, exec, s[0:1]
	s_cbranch_vccnz .LBB25_370
; %bb.369:
	scratch_load_dwordx4 v[10:13], v8, off
	s_waitcnt vmcnt(0) lgkmcnt(0)
	v_mul_f64 v[6:7], v[4:5], v[12:13]
	v_mul_f64 v[12:13], v[2:3], v[12:13]
	v_fmac_f64_e32 v[12:13], v[4:5], v[10:11]
	v_fma_f64 v[2:3], v[2:3], v[10:11], -v[6:7]
	v_mov_b64_e32 v[4:5], v[12:13]
.LBB25_370:
	v_cmp_ne_u32_e32 vcc, 21, v0
	s_and_saveexec_b64 s[6:7], vcc
	s_cbranch_execz .LBB25_374
; %bb.371:
	v_mov_b32_e32 v7, 0
	v_add_u32_e32 v6, 0x1b0, v46
	v_add3_u32 v7, v46, v7, 24
	s_mov_b64 s[8:9], 0
	v_mov_b32_e32 v10, v0
.LBB25_372:                             ; =>This Inner Loop Header: Depth=1
	v_add_u32_e32 v11, -8, v7
	scratch_load_dwordx4 v[92:95], v11, off
	ds_read_b128 v[96:99], v6
	v_add_u32_e32 v10, 1, v10
	v_cmp_lt_u32_e32 vcc, 20, v10
	v_add_u32_e32 v6, 16, v6
	v_add_u32_e32 v7, 16, v7
	s_or_b64 s[8:9], vcc, s[8:9]
	s_waitcnt vmcnt(0) lgkmcnt(0)
	v_mul_f64 v[12:13], v[98:99], v[94:95]
	v_mul_f64 v[94:95], v[96:97], v[94:95]
	v_fma_f64 v[12:13], v[96:97], v[92:93], -v[12:13]
	v_fmac_f64_e32 v[94:95], v[98:99], v[92:93]
	v_add_f64 v[2:3], v[2:3], v[12:13]
	v_add_f64 v[4:5], v[4:5], v[94:95]
	s_andn2_b64 exec, exec, s[8:9]
	s_cbranch_execnz .LBB25_372
; %bb.373:
	s_or_b64 exec, exec, s[8:9]
.LBB25_374:
	s_or_b64 exec, exec, s[6:7]
	v_mov_b32_e32 v6, 0
	ds_read_b128 v[10:13], v6 offset:352
	s_waitcnt lgkmcnt(0)
	v_mul_f64 v[6:7], v[4:5], v[12:13]
	v_mul_f64 v[94:95], v[2:3], v[12:13]
	v_fma_f64 v[92:93], v[2:3], v[10:11], -v[6:7]
	v_fmac_f64_e32 v[94:95], v[4:5], v[10:11]
	scratch_store_dwordx4 off, v[92:95], off offset:352
.LBB25_375:
	s_or_b64 exec, exec, s[2:3]
	scratch_load_dwordx4 v[2:5], v68, off
	v_cmp_gt_u32_e32 vcc, 23, v0
	s_waitcnt vmcnt(0)
	ds_write_b128 v9, v[2:5]
	s_waitcnt lgkmcnt(0)
	; wave barrier
	s_waitcnt lgkmcnt(0)
	s_and_saveexec_b64 s[2:3], vcc
	s_cbranch_execz .LBB25_383
; %bb.376:
	ds_read_b128 v[2:5], v9
	s_and_b64 vcc, exec, s[0:1]
	s_cbranch_vccnz .LBB25_378
; %bb.377:
	scratch_load_dwordx4 v[10:13], v8, off
	s_waitcnt vmcnt(0) lgkmcnt(0)
	v_mul_f64 v[6:7], v[4:5], v[12:13]
	v_mul_f64 v[12:13], v[2:3], v[12:13]
	v_fmac_f64_e32 v[12:13], v[4:5], v[10:11]
	v_fma_f64 v[2:3], v[2:3], v[10:11], -v[6:7]
	v_mov_b64_e32 v[4:5], v[12:13]
.LBB25_378:
	v_cmp_ne_u32_e32 vcc, 22, v0
	s_and_saveexec_b64 s[6:7], vcc
	s_cbranch_execz .LBB25_382
; %bb.379:
	v_mov_b32_e32 v7, 0
	v_add_u32_e32 v6, 0x1b0, v46
	v_add3_u32 v7, v46, v7, 24
	s_mov_b64 s[8:9], 0
	v_mov_b32_e32 v10, v0
.LBB25_380:                             ; =>This Inner Loop Header: Depth=1
	v_add_u32_e32 v11, -8, v7
	scratch_load_dwordx4 v[92:95], v11, off
	ds_read_b128 v[96:99], v6
	v_add_u32_e32 v10, 1, v10
	v_cmp_lt_u32_e32 vcc, 21, v10
	v_add_u32_e32 v6, 16, v6
	v_add_u32_e32 v7, 16, v7
	s_or_b64 s[8:9], vcc, s[8:9]
	s_waitcnt vmcnt(0) lgkmcnt(0)
	v_mul_f64 v[12:13], v[98:99], v[94:95]
	v_mul_f64 v[94:95], v[96:97], v[94:95]
	v_fma_f64 v[12:13], v[96:97], v[92:93], -v[12:13]
	v_fmac_f64_e32 v[94:95], v[98:99], v[92:93]
	v_add_f64 v[2:3], v[2:3], v[12:13]
	v_add_f64 v[4:5], v[4:5], v[94:95]
	s_andn2_b64 exec, exec, s[8:9]
	s_cbranch_execnz .LBB25_380
; %bb.381:
	s_or_b64 exec, exec, s[8:9]
.LBB25_382:
	s_or_b64 exec, exec, s[6:7]
	v_mov_b32_e32 v6, 0
	ds_read_b128 v[10:13], v6 offset:368
	s_waitcnt lgkmcnt(0)
	v_mul_f64 v[6:7], v[4:5], v[12:13]
	v_mul_f64 v[94:95], v[2:3], v[12:13]
	v_fma_f64 v[92:93], v[2:3], v[10:11], -v[6:7]
	v_fmac_f64_e32 v[94:95], v[4:5], v[10:11]
	scratch_store_dwordx4 off, v[92:95], off offset:368
.LBB25_383:
	s_or_b64 exec, exec, s[2:3]
	scratch_load_dwordx4 v[2:5], v47, off
	v_cmp_gt_u32_e64 s[2:3], 24, v0
	s_waitcnt vmcnt(0)
	ds_write_b128 v9, v[2:5]
	s_waitcnt lgkmcnt(0)
	; wave barrier
	s_waitcnt lgkmcnt(0)
	s_and_saveexec_b64 s[6:7], s[2:3]
	s_cbranch_execz .LBB25_391
; %bb.384:
	ds_read_b128 v[2:5], v9
	s_and_b64 vcc, exec, s[0:1]
	s_cbranch_vccnz .LBB25_386
; %bb.385:
	scratch_load_dwordx4 v[10:13], v8, off
	s_waitcnt vmcnt(0) lgkmcnt(0)
	v_mul_f64 v[6:7], v[4:5], v[12:13]
	v_mul_f64 v[12:13], v[2:3], v[12:13]
	v_fmac_f64_e32 v[12:13], v[4:5], v[10:11]
	v_fma_f64 v[2:3], v[2:3], v[10:11], -v[6:7]
	v_mov_b64_e32 v[4:5], v[12:13]
.LBB25_386:
	v_cmp_ne_u32_e32 vcc, 23, v0
	s_and_saveexec_b64 s[8:9], vcc
	s_cbranch_execz .LBB25_390
; %bb.387:
	v_mov_b32_e32 v7, 0
	v_add_u32_e32 v6, 0x1b0, v46
	v_add3_u32 v7, v46, v7, 24
	s_mov_b64 s[10:11], 0
	v_mov_b32_e32 v10, v0
.LBB25_388:                             ; =>This Inner Loop Header: Depth=1
	v_add_u32_e32 v11, -8, v7
	scratch_load_dwordx4 v[92:95], v11, off
	ds_read_b128 v[96:99], v6
	v_add_u32_e32 v10, 1, v10
	v_cmp_lt_u32_e32 vcc, 22, v10
	v_add_u32_e32 v6, 16, v6
	v_add_u32_e32 v7, 16, v7
	s_or_b64 s[10:11], vcc, s[10:11]
	s_waitcnt vmcnt(0) lgkmcnt(0)
	v_mul_f64 v[12:13], v[98:99], v[94:95]
	v_mul_f64 v[94:95], v[96:97], v[94:95]
	v_fma_f64 v[12:13], v[96:97], v[92:93], -v[12:13]
	v_fmac_f64_e32 v[94:95], v[98:99], v[92:93]
	v_add_f64 v[2:3], v[2:3], v[12:13]
	v_add_f64 v[4:5], v[4:5], v[94:95]
	s_andn2_b64 exec, exec, s[10:11]
	s_cbranch_execnz .LBB25_388
; %bb.389:
	s_or_b64 exec, exec, s[10:11]
.LBB25_390:
	s_or_b64 exec, exec, s[8:9]
	v_mov_b32_e32 v6, 0
	ds_read_b128 v[10:13], v6 offset:384
	s_waitcnt lgkmcnt(0)
	v_mul_f64 v[6:7], v[4:5], v[12:13]
	v_mul_f64 v[94:95], v[2:3], v[12:13]
	v_fma_f64 v[92:93], v[2:3], v[10:11], -v[6:7]
	v_fmac_f64_e32 v[94:95], v[4:5], v[10:11]
	scratch_store_dwordx4 off, v[92:95], off offset:384
.LBB25_391:
	s_or_b64 exec, exec, s[6:7]
	scratch_load_dwordx4 v[2:5], v1, off
	v_cmp_ne_u32_e32 vcc, 25, v0
                                        ; implicit-def: $vgpr6_vgpr7
                                        ; implicit-def: $vgpr10
	s_waitcnt vmcnt(0)
	ds_write_b128 v9, v[2:5]
	s_waitcnt lgkmcnt(0)
	; wave barrier
	s_waitcnt lgkmcnt(0)
	s_and_saveexec_b64 s[6:7], vcc
	s_cbranch_execz .LBB25_399
; %bb.392:
	ds_read_b128 v[2:5], v9
	s_and_b64 vcc, exec, s[0:1]
	s_cbranch_vccnz .LBB25_394
; %bb.393:
	scratch_load_dwordx4 v[6:9], v8, off
	s_waitcnt vmcnt(0) lgkmcnt(0)
	v_mul_f64 v[10:11], v[4:5], v[8:9]
	v_mul_f64 v[8:9], v[2:3], v[8:9]
	v_fmac_f64_e32 v[8:9], v[4:5], v[6:7]
	v_fma_f64 v[2:3], v[2:3], v[6:7], -v[10:11]
	v_mov_b64_e32 v[4:5], v[8:9]
.LBB25_394:
	s_and_saveexec_b64 s[0:1], s[2:3]
	s_cbranch_execz .LBB25_398
; %bb.395:
	v_mov_b32_e32 v7, 0
	v_add_u32_e32 v6, 0x1b0, v46
	v_add3_u32 v7, v46, v7, 24
	s_mov_b64 s[2:3], 0
.LBB25_396:                             ; =>This Inner Loop Header: Depth=1
	v_add_u32_e32 v8, -8, v7
	scratch_load_dwordx4 v[8:11], v8, off
	ds_read_b128 v[92:95], v6
	v_add_u32_e32 v0, 1, v0
	v_cmp_lt_u32_e32 vcc, 23, v0
	v_add_u32_e32 v6, 16, v6
	v_add_u32_e32 v7, 16, v7
	s_or_b64 s[2:3], vcc, s[2:3]
	s_waitcnt vmcnt(0) lgkmcnt(0)
	v_mul_f64 v[12:13], v[94:95], v[10:11]
	v_mul_f64 v[10:11], v[92:93], v[10:11]
	v_fma_f64 v[12:13], v[92:93], v[8:9], -v[12:13]
	v_fmac_f64_e32 v[10:11], v[94:95], v[8:9]
	v_add_f64 v[2:3], v[2:3], v[12:13]
	v_add_f64 v[4:5], v[4:5], v[10:11]
	s_andn2_b64 exec, exec, s[2:3]
	s_cbranch_execnz .LBB25_396
; %bb.397:
	s_or_b64 exec, exec, s[2:3]
.LBB25_398:
	s_or_b64 exec, exec, s[0:1]
	v_mov_b32_e32 v0, 0
	ds_read_b128 v[92:95], v0 offset:400
	v_mov_b32_e32 v0, 0
	v_add_u32_e32 v10, 0x198, v0
	s_or_b64 s[4:5], s[4:5], exec
	s_waitcnt lgkmcnt(0)
	v_mul_f64 v[8:9], v[4:5], v[94:95]
	v_mul_f64 v[6:7], v[2:3], v[94:95]
	v_fma_f64 v[2:3], v[2:3], v[92:93], -v[8:9]
	v_fmac_f64_e32 v[6:7], v[4:5], v[92:93]
	scratch_store_dwordx2 off, v[2:3], off offset:400
.LBB25_399:
	s_or_b64 exec, exec, s[6:7]
.LBB25_400:
	s_and_saveexec_b64 s[0:1], s[4:5]
	s_cbranch_execz .LBB25_402
; %bb.401:
	scratch_store_dwordx2 v10, v[6:7], off
.LBB25_402:
	s_or_b64 exec, exec, s[0:1]
	scratch_load_dwordx4 v[2:5], off, off
	scratch_load_dwordx4 v[6:9], v77, off
	scratch_load_dwordx4 v[10:13], v84, off
	;; [unrolled: 1-line block ×11, first 2 shown]
                                        ; kill: killed $vgpr86
                                        ; kill: killed $vgpr90
                                        ; kill: killed $vgpr85
                                        ; kill: killed $vgpr89
                                        ; kill: killed $vgpr84
                                        ; kill: killed $vgpr88
                                        ; kill: killed $vgpr83
                                        ; kill: killed $vgpr87
                                        ; kill: killed $vgpr82
                                        ; kill: killed $vgpr77
                                        ; kill: killed $vgpr81
	scratch_load_dwordx4 v[82:85], v80, off
	s_nop 0
	scratch_load_dwordx4 v[86:89], v79, off
	s_waitcnt vmcnt(13)
	global_store_dwordx4 v[14:15], v[2:5], off
	scratch_load_dwordx4 v[2:5], v76, off
	s_nop 0
	scratch_load_dwordx4 v[128:131], v78, off
	s_waitcnt vmcnt(15)
	global_store_dwordx4 v[16:17], v[6:9], off
	;; [unrolled: 5-line block ×5, first 2 shown]
	scratch_load_dwordx4 v[70:73], v69, off
	scratch_load_dwordx4 v[90:93], v68, off
	s_waitcnt vmcnt(23)
	global_store_dwordx4 v[24:25], v[100:103], off
	scratch_load_dwordx4 v[22:25], v47, off
	s_nop 0
	scratch_load_dwordx4 v[94:97], v1, off
	s_waitcnt vmcnt(25)
	global_store_dwordx4 v[26:27], v[104:107], off
	s_waitcnt vmcnt(25)
	global_store_dwordx4 v[28:29], v[108:111], off
	s_waitcnt vmcnt(25)
	global_store_dwordx4 v[30:31], v[112:115], off
	s_waitcnt vmcnt(25)
	global_store_dwordx4 v[32:33], v[116:119], off
	s_waitcnt vmcnt(25)
	global_store_dwordx4 v[34:35], v[120:123], off
	s_waitcnt vmcnt(25)
	global_store_dwordx4 v[36:37], v[124:127], off
	s_waitcnt vmcnt(25)
	global_store_dwordx4 v[38:39], v[82:85], off
	s_waitcnt vmcnt(25)
	global_store_dwordx4 v[40:41], v[86:89], off
	s_waitcnt vmcnt(24)
	global_store_dwordx4 v[42:43], v[2:5], off
	s_waitcnt vmcnt(24)
	global_store_dwordx4 v[44:45], v[128:131], off
	s_waitcnt vmcnt(23)
	global_store_dwordx4 v[50:51], v[6:9], off
	s_waitcnt vmcnt(23)
	global_store_dwordx4 v[52:53], v[14:17], off
	s_waitcnt vmcnt(22)
	global_store_dwordx4 v[54:55], v[10:13], off
	s_waitcnt vmcnt(22)
	global_store_dwordx4 v[56:57], v[74:77], off
	s_waitcnt vmcnt(21)
	global_store_dwordx4 v[58:59], v[18:21], off
	s_waitcnt vmcnt(21)
	global_store_dwordx4 v[60:61], v[78:81], off
	s_waitcnt vmcnt(20)
	global_store_dwordx4 v[62:63], v[70:73], off
	s_waitcnt vmcnt(20)
	global_store_dwordx4 v[64:65], v[90:93], off
	s_waitcnt vmcnt(19)
	global_store_dwordx4 v[66:67], v[22:25], off
	s_waitcnt vmcnt(19)
	global_store_dwordx4 v[48:49], v[94:97], off
.LBB25_403:
	s_endpgm
	.section	.rodata,"a",@progbits
	.p2align	6, 0x0
	.amdhsa_kernel _ZN9rocsolver6v33100L18trti2_kernel_smallILi26E19rocblas_complex_numIdEPS3_EEv13rocblas_fill_17rocblas_diagonal_T1_iil
		.amdhsa_group_segment_fixed_size 832
		.amdhsa_private_segment_fixed_size 432
		.amdhsa_kernarg_size 32
		.amdhsa_user_sgpr_count 2
		.amdhsa_user_sgpr_dispatch_ptr 0
		.amdhsa_user_sgpr_queue_ptr 0
		.amdhsa_user_sgpr_kernarg_segment_ptr 1
		.amdhsa_user_sgpr_dispatch_id 0
		.amdhsa_user_sgpr_kernarg_preload_length 0
		.amdhsa_user_sgpr_kernarg_preload_offset 0
		.amdhsa_user_sgpr_private_segment_size 0
		.amdhsa_uses_dynamic_stack 0
		.amdhsa_enable_private_segment 1
		.amdhsa_system_sgpr_workgroup_id_x 1
		.amdhsa_system_sgpr_workgroup_id_y 0
		.amdhsa_system_sgpr_workgroup_id_z 0
		.amdhsa_system_sgpr_workgroup_info 0
		.amdhsa_system_vgpr_workitem_id 0
		.amdhsa_next_free_vgpr 132
		.amdhsa_next_free_sgpr 12
		.amdhsa_accum_offset 132
		.amdhsa_reserve_vcc 1
		.amdhsa_float_round_mode_32 0
		.amdhsa_float_round_mode_16_64 0
		.amdhsa_float_denorm_mode_32 3
		.amdhsa_float_denorm_mode_16_64 3
		.amdhsa_dx10_clamp 1
		.amdhsa_ieee_mode 1
		.amdhsa_fp16_overflow 0
		.amdhsa_tg_split 0
		.amdhsa_exception_fp_ieee_invalid_op 0
		.amdhsa_exception_fp_denorm_src 0
		.amdhsa_exception_fp_ieee_div_zero 0
		.amdhsa_exception_fp_ieee_overflow 0
		.amdhsa_exception_fp_ieee_underflow 0
		.amdhsa_exception_fp_ieee_inexact 0
		.amdhsa_exception_int_div_zero 0
	.end_amdhsa_kernel
	.section	.text._ZN9rocsolver6v33100L18trti2_kernel_smallILi26E19rocblas_complex_numIdEPS3_EEv13rocblas_fill_17rocblas_diagonal_T1_iil,"axG",@progbits,_ZN9rocsolver6v33100L18trti2_kernel_smallILi26E19rocblas_complex_numIdEPS3_EEv13rocblas_fill_17rocblas_diagonal_T1_iil,comdat
.Lfunc_end25:
	.size	_ZN9rocsolver6v33100L18trti2_kernel_smallILi26E19rocblas_complex_numIdEPS3_EEv13rocblas_fill_17rocblas_diagonal_T1_iil, .Lfunc_end25-_ZN9rocsolver6v33100L18trti2_kernel_smallILi26E19rocblas_complex_numIdEPS3_EEv13rocblas_fill_17rocblas_diagonal_T1_iil
                                        ; -- End function
	.section	.AMDGPU.csdata,"",@progbits
; Kernel info:
; codeLenInByte = 16988
; NumSgprs: 18
; NumVgprs: 132
; NumAgprs: 0
; TotalNumVgprs: 132
; ScratchSize: 432
; MemoryBound: 0
; FloatMode: 240
; IeeeMode: 1
; LDSByteSize: 832 bytes/workgroup (compile time only)
; SGPRBlocks: 2
; VGPRBlocks: 16
; NumSGPRsForWavesPerEU: 18
; NumVGPRsForWavesPerEU: 132
; AccumOffset: 132
; Occupancy: 3
; WaveLimiterHint : 0
; COMPUTE_PGM_RSRC2:SCRATCH_EN: 1
; COMPUTE_PGM_RSRC2:USER_SGPR: 2
; COMPUTE_PGM_RSRC2:TRAP_HANDLER: 0
; COMPUTE_PGM_RSRC2:TGID_X_EN: 1
; COMPUTE_PGM_RSRC2:TGID_Y_EN: 0
; COMPUTE_PGM_RSRC2:TGID_Z_EN: 0
; COMPUTE_PGM_RSRC2:TIDIG_COMP_CNT: 0
; COMPUTE_PGM_RSRC3_GFX90A:ACCUM_OFFSET: 32
; COMPUTE_PGM_RSRC3_GFX90A:TG_SPLIT: 0
	.section	.text._ZN9rocsolver6v33100L18trti2_kernel_smallILi27E19rocblas_complex_numIdEPS3_EEv13rocblas_fill_17rocblas_diagonal_T1_iil,"axG",@progbits,_ZN9rocsolver6v33100L18trti2_kernel_smallILi27E19rocblas_complex_numIdEPS3_EEv13rocblas_fill_17rocblas_diagonal_T1_iil,comdat
	.globl	_ZN9rocsolver6v33100L18trti2_kernel_smallILi27E19rocblas_complex_numIdEPS3_EEv13rocblas_fill_17rocblas_diagonal_T1_iil ; -- Begin function _ZN9rocsolver6v33100L18trti2_kernel_smallILi27E19rocblas_complex_numIdEPS3_EEv13rocblas_fill_17rocblas_diagonal_T1_iil
	.p2align	8
	.type	_ZN9rocsolver6v33100L18trti2_kernel_smallILi27E19rocblas_complex_numIdEPS3_EEv13rocblas_fill_17rocblas_diagonal_T1_iil,@function
_ZN9rocsolver6v33100L18trti2_kernel_smallILi27E19rocblas_complex_numIdEPS3_EEv13rocblas_fill_17rocblas_diagonal_T1_iil: ; @_ZN9rocsolver6v33100L18trti2_kernel_smallILi27E19rocblas_complex_numIdEPS3_EEv13rocblas_fill_17rocblas_diagonal_T1_iil
; %bb.0:
	v_cmp_gt_u32_e32 vcc, 27, v0
	s_and_saveexec_b64 s[4:5], vcc
	s_cbranch_execz .LBB26_419
; %bb.1:
	s_load_dwordx8 s[4:11], s[0:1], 0x0
	s_ashr_i32 s3, s2, 31
	v_lshlrev_b32_e32 v60, 4, v0
	v_mov_b32_e32 v61, 0
	v_mov_b32_e32 v1, 0
	s_waitcnt lgkmcnt(0)
	s_ashr_i32 s1, s8, 31
	s_mov_b32 s0, s8
	s_mul_i32 s8, s2, s11
	s_mul_hi_u32 s11, s2, s10
	s_add_i32 s8, s11, s8
	s_mul_i32 s3, s3, s10
	s_add_i32 s3, s8, s3
	s_mul_i32 s2, s2, s10
	s_lshl_b64 s[2:3], s[2:3], 4
	s_add_u32 s2, s6, s2
	s_addc_u32 s3, s7, s3
	s_lshl_b64 s[0:1], s[0:1], 4
	s_add_u32 s0, s2, s0
	s_addc_u32 s1, s3, s1
	v_lshl_add_u64 v[16:17], s[0:1], 0, v[60:61]
	s_ashr_i32 s3, s9, 31
	s_mov_b32 s2, s9
	v_lshl_add_u64 v[14:15], s[2:3], 4, v[16:17]
	s_add_i32 s2, s9, s9
	v_add_u32_e32 v20, s2, v0
	v_add_u32_e32 v22, s9, v20
	;; [unrolled: 1-line block ×6, first 2 shown]
	v_ashrrev_i32_e32 v21, 31, v20
	v_ashrrev_i32_e32 v23, 31, v22
	v_ashrrev_i32_e32 v25, 31, v24
	v_ashrrev_i32_e32 v27, 31, v26
	v_ashrrev_i32_e32 v29, 31, v28
	v_ashrrev_i32_e32 v31, 31, v30
	v_lshl_add_u64 v[18:19], v[20:21], 4, s[0:1]
	v_lshl_add_u64 v[20:21], v[22:23], 4, s[0:1]
	;; [unrolled: 1-line block ×6, first 2 shown]
	v_add_u32_e32 v30, s9, v30
	v_add_u32_e32 v32, s9, v30
	v_ashrrev_i32_e32 v33, 31, v32
	v_add_u32_e32 v36, s9, v32
	v_ashrrev_i32_e32 v31, 31, v30
	v_lshl_add_u64 v[32:33], v[32:33], 4, s[0:1]
	v_ashrrev_i32_e32 v37, 31, v36
	global_load_dwordx4 v[2:5], v60, s[0:1]
	global_load_dwordx4 v[6:9], v[14:15], off
	global_load_dwordx4 v[10:13], v[18:19], off
	;; [unrolled: 1-line block ×6, first 2 shown]
	v_lshl_add_u64 v[30:31], v[30:31], 4, s[0:1]
	global_load_dwordx4 v[70:73], v[28:29], off
	global_load_dwordx4 v[74:77], v[30:31], off
	v_lshl_add_u64 v[34:35], v[36:37], 4, s[0:1]
	global_load_dwordx4 v[78:81], v[32:33], off
	global_load_dwordx4 v[82:85], v[34:35], off
	v_add_u32_e32 v36, s9, v36
	v_add_u32_e32 v38, s9, v36
	;; [unrolled: 1-line block ×7, first 2 shown]
	v_ashrrev_i32_e32 v37, 31, v36
	v_ashrrev_i32_e32 v41, 31, v40
	;; [unrolled: 1-line block ×4, first 2 shown]
	v_add_u32_e32 v50, s9, v48
	v_lshl_add_u64 v[36:37], v[36:37], 4, s[0:1]
	v_ashrrev_i32_e32 v39, 31, v38
	v_lshl_add_u64 v[40:41], v[40:41], 4, s[0:1]
	v_ashrrev_i32_e32 v43, 31, v42
	;; [unrolled: 2-line block ×4, first 2 shown]
	v_add_u32_e32 v118, s9, v50
	v_lshl_add_u64 v[38:39], v[38:39], 4, s[0:1]
	global_load_dwordx4 v[86:89], v[36:37], off
	global_load_dwordx4 v[90:93], v[38:39], off
	v_lshl_add_u64 v[42:43], v[42:43], 4, s[0:1]
	global_load_dwordx4 v[94:97], v[40:41], off
	global_load_dwordx4 v[98:101], v[42:43], off
	;; [unrolled: 3-line block ×4, first 2 shown]
	v_ashrrev_i32_e32 v119, 31, v118
	s_cmpk_lg_i32 s5, 0x84
	s_cselect_b64 s[6:7], -1, 0
	s_cmpk_eq_i32 s5, 0x84
	s_waitcnt vmcnt(18)
	scratch_store_dwordx4 off, v[2:5], off
	s_waitcnt vmcnt(18)
	scratch_store_dwordx4 off, v[6:9], off offset:16
	s_waitcnt vmcnt(18)
	scratch_store_dwordx4 off, v[10:13], off offset:32
	;; [unrolled: 2-line block ×10, first 2 shown]
	v_add_u32_e32 v10, s9, v118
	v_ashrrev_i32_e32 v11, 31, v10
	v_lshl_add_u64 v[54:55], v[10:11], 4, s[0:1]
	v_add_u32_e32 v10, s9, v10
	v_add_u32_e32 v62, s9, v10
	;; [unrolled: 1-line block ×5, first 2 shown]
	v_ashrrev_i32_e32 v63, 31, v62
	v_ashrrev_i32_e32 v65, 31, v64
	;; [unrolled: 1-line block ×5, first 2 shown]
	v_lshl_add_u64 v[58:59], v[62:63], 4, s[0:1]
	v_lshl_add_u64 v[62:63], v[64:65], 4, s[0:1]
	;; [unrolled: 1-line block ×4, first 2 shown]
	v_add_u32_e32 v68, s9, v68
	v_lshl_add_u64 v[52:53], v[118:119], 4, s[0:1]
	v_lshl_add_u64 v[56:57], v[10:11], 4, s[0:1]
	v_ashrrev_i32_e32 v69, 31, v68
	global_load_dwordx4 v[2:5], v[52:53], off
	global_load_dwordx4 v[6:9], v[54:55], off
	;; [unrolled: 1-line block ×6, first 2 shown]
	v_lshl_add_u64 v[68:69], v[68:69], 4, s[0:1]
	global_load_dwordx4 v[82:85], v[66:67], off
	global_load_dwordx4 v[118:121], v[68:69], off
	s_waitcnt vmcnt(26)
	scratch_store_dwordx4 off, v[86:89], off offset:176
	s_waitcnt vmcnt(26)
	scratch_store_dwordx4 off, v[90:93], off offset:192
	;; [unrolled: 2-line block ×16, first 2 shown]
	s_cbranch_scc1 .LBB26_7
; %bb.2:
	scratch_load_dwordx4 v[2:5], v60, off
                                        ; implicit-def: $vgpr10_vgpr11
	s_waitcnt vmcnt(0)
	v_xor_b32_e32 v7, 0x80000000, v3
	v_cmp_gt_f64_e32 vcc, 0, v[2:3]
	v_xor_b32_e32 v8, 0x80000000, v5
	v_mov_b32_e32 v6, v2
	v_cndmask_b32_e32 v7, v3, v7, vcc
	v_cmp_gt_f64_e32 vcc, 0, v[4:5]
	s_nop 1
	v_cndmask_b32_e32 v9, v5, v8, vcc
	v_mov_b32_e32 v8, v4
	v_cmp_ngt_f64_e32 vcc, v[6:7], v[8:9]
                                        ; implicit-def: $vgpr6_vgpr7
	s_and_saveexec_b64 s[0:1], vcc
	s_xor_b64 s[0:1], exec, s[0:1]
	s_cbranch_execz .LBB26_4
; %bb.3:
	v_div_scale_f64 v[6:7], s[2:3], v[4:5], v[4:5], v[2:3]
	v_rcp_f64_e32 v[8:9], v[6:7]
	v_div_scale_f64 v[10:11], vcc, v[2:3], v[4:5], v[2:3]
	v_fma_f64 v[12:13], -v[6:7], v[8:9], 1.0
	v_fmac_f64_e32 v[8:9], v[8:9], v[12:13]
	v_fma_f64 v[12:13], -v[6:7], v[8:9], 1.0
	v_fmac_f64_e32 v[8:9], v[8:9], v[12:13]
	v_mul_f64 v[12:13], v[10:11], v[8:9]
	v_fma_f64 v[6:7], -v[6:7], v[12:13], v[10:11]
	v_div_fmas_f64 v[6:7], v[6:7], v[8:9], v[12:13]
	v_div_fixup_f64 v[6:7], v[6:7], v[4:5], v[2:3]
	v_fmac_f64_e32 v[4:5], v[2:3], v[6:7]
	v_div_scale_f64 v[2:3], s[2:3], v[4:5], v[4:5], 1.0
	v_rcp_f64_e32 v[8:9], v[2:3]
	s_nop 0
	v_fma_f64 v[10:11], -v[2:3], v[8:9], 1.0
	v_fmac_f64_e32 v[8:9], v[8:9], v[10:11]
	v_fma_f64 v[10:11], -v[2:3], v[8:9], 1.0
	v_fmac_f64_e32 v[8:9], v[8:9], v[10:11]
	v_div_scale_f64 v[10:11], vcc, 1.0, v[4:5], 1.0
	v_mul_f64 v[12:13], v[10:11], v[8:9]
	v_fma_f64 v[2:3], -v[2:3], v[12:13], v[10:11]
	s_nop 1
	v_div_fmas_f64 v[2:3], v[2:3], v[8:9], v[12:13]
	v_div_fixup_f64 v[8:9], v[2:3], v[4:5], 1.0
	v_mul_f64 v[6:7], v[6:7], v[8:9]
	v_xor_b32_e32 v9, 0x80000000, v9
	v_xor_b32_e32 v11, 0x80000000, v7
	v_mov_b32_e32 v10, v6
                                        ; implicit-def: $vgpr2_vgpr3
.LBB26_4:
	s_or_saveexec_b64 s[0:1], s[0:1]
	v_add_u32_e32 v12, 0, v60
	s_xor_b64 exec, exec, s[0:1]
	s_cbranch_execz .LBB26_6
; %bb.5:
	v_div_scale_f64 v[6:7], s[2:3], v[2:3], v[2:3], v[4:5]
	v_rcp_f64_e32 v[8:9], v[6:7]
	v_div_scale_f64 v[10:11], vcc, v[4:5], v[2:3], v[4:5]
	v_fma_f64 v[70:71], -v[6:7], v[8:9], 1.0
	v_fmac_f64_e32 v[8:9], v[8:9], v[70:71]
	v_fma_f64 v[70:71], -v[6:7], v[8:9], 1.0
	v_fmac_f64_e32 v[8:9], v[8:9], v[70:71]
	v_mul_f64 v[70:71], v[10:11], v[8:9]
	v_fma_f64 v[6:7], -v[6:7], v[70:71], v[10:11]
	v_div_fmas_f64 v[6:7], v[6:7], v[8:9], v[70:71]
	v_div_fixup_f64 v[8:9], v[6:7], v[2:3], v[4:5]
	v_fmac_f64_e32 v[2:3], v[4:5], v[8:9]
	v_div_scale_f64 v[4:5], s[2:3], v[2:3], v[2:3], 1.0
	v_rcp_f64_e32 v[6:7], v[4:5]
	s_nop 0
	v_fma_f64 v[10:11], -v[4:5], v[6:7], 1.0
	v_fmac_f64_e32 v[6:7], v[6:7], v[10:11]
	v_fma_f64 v[10:11], -v[4:5], v[6:7], 1.0
	v_fmac_f64_e32 v[6:7], v[6:7], v[10:11]
	v_div_scale_f64 v[10:11], vcc, 1.0, v[2:3], 1.0
	v_mul_f64 v[70:71], v[10:11], v[6:7]
	v_fma_f64 v[4:5], -v[4:5], v[70:71], v[10:11]
	s_nop 1
	v_div_fmas_f64 v[4:5], v[4:5], v[6:7], v[70:71]
	v_div_fixup_f64 v[6:7], v[4:5], v[2:3], 1.0
	v_xor_b32_e32 v11, 0x80000000, v7
	v_mov_b32_e32 v10, v6
	v_mul_f64 v[8:9], v[8:9], -v[6:7]
.LBB26_6:
	s_or_b64 exec, exec, s[0:1]
	scratch_store_dwordx4 v12, v[6:9], off
	s_nop 1
	v_xor_b32_e32 v9, 0x80000000, v9
	s_branch .LBB26_8
.LBB26_7:
	v_mov_b64_e32 v[8:9], 0
	v_mov_b64_e32 v[10:11], -1.0
.LBB26_8:
	v_add_u32_e32 v86, 16, v1
	v_add_u32_e32 v81, 32, v1
	;; [unrolled: 1-line block ×26, first 2 shown]
	v_mov_b32_e32 v12, v8
	v_mov_b32_e32 v13, v9
	s_cmpk_eq_i32 s4, 0x79
	v_add_u32_e32 v9, 0x1b0, v60
	v_add_u32_e32 v8, 0, v60
	ds_write_b128 v60, v[10:13]
	s_cbranch_scc1 .LBB26_212
; %bb.9:
	scratch_load_dwordx4 v[2:5], v61, off
	v_cmp_eq_u32_e64 s[0:1], 26, v0
	s_waitcnt vmcnt(0)
	ds_write_b128 v9, v[2:5]
	s_waitcnt lgkmcnt(0)
	; wave barrier
	s_waitcnt lgkmcnt(0)
	s_and_saveexec_b64 s[2:3], s[0:1]
	s_cbranch_execz .LBB26_13
; %bb.10:
	ds_read_b128 v[2:5], v9
	s_andn2_b64 vcc, exec, s[6:7]
	s_cbranch_vccnz .LBB26_12
; %bb.11:
	scratch_load_dwordx4 v[10:13], v8, off
	s_waitcnt vmcnt(0) lgkmcnt(0)
	v_mul_f64 v[6:7], v[4:5], v[12:13]
	v_mul_f64 v[12:13], v[2:3], v[12:13]
	v_fmac_f64_e32 v[12:13], v[4:5], v[10:11]
	v_fma_f64 v[2:3], v[2:3], v[10:11], -v[6:7]
	v_mov_b64_e32 v[4:5], v[12:13]
.LBB26_12:
	v_mov_b32_e32 v6, 0
	ds_read_b128 v[10:13], v6 offset:400
	s_waitcnt lgkmcnt(0)
	v_mul_f64 v[6:7], v[4:5], v[12:13]
	v_mul_f64 v[96:97], v[2:3], v[12:13]
	v_fma_f64 v[94:95], v[2:3], v[10:11], -v[6:7]
	v_fmac_f64_e32 v[96:97], v[4:5], v[10:11]
	scratch_store_dwordx4 off, v[94:97], off offset:400
.LBB26_13:
	s_or_b64 exec, exec, s[2:3]
	scratch_load_dwordx4 v[2:5], v71, off
	v_cmp_lt_u32_e64 s[2:3], 24, v0
	s_waitcnt vmcnt(0)
	ds_write_b128 v9, v[2:5]
	s_waitcnt lgkmcnt(0)
	; wave barrier
	s_waitcnt lgkmcnt(0)
	s_and_saveexec_b64 s[4:5], s[2:3]
	s_cbranch_execz .LBB26_19
; %bb.14:
	ds_read_b128 v[2:5], v9
	s_andn2_b64 vcc, exec, s[6:7]
	s_cbranch_vccnz .LBB26_16
; %bb.15:
	scratch_load_dwordx4 v[10:13], v8, off
	s_waitcnt vmcnt(0) lgkmcnt(0)
	v_mul_f64 v[6:7], v[4:5], v[12:13]
	v_mul_f64 v[12:13], v[2:3], v[12:13]
	v_fmac_f64_e32 v[12:13], v[4:5], v[10:11]
	v_fma_f64 v[2:3], v[2:3], v[10:11], -v[6:7]
	v_mov_b64_e32 v[4:5], v[12:13]
.LBB26_16:
	s_and_saveexec_b64 s[8:9], s[0:1]
	s_cbranch_execz .LBB26_18
; %bb.17:
	scratch_load_dwordx4 v[10:13], off, off offset:400
	v_mov_b32_e32 v6, 0
	ds_read_b128 v[94:97], v6 offset:832
	s_waitcnt vmcnt(0) lgkmcnt(0)
	v_mul_f64 v[6:7], v[94:95], v[12:13]
	v_mul_f64 v[12:13], v[96:97], v[12:13]
	v_fmac_f64_e32 v[6:7], v[96:97], v[10:11]
	v_fma_f64 v[10:11], v[94:95], v[10:11], -v[12:13]
	v_add_f64 v[4:5], v[4:5], v[6:7]
	v_add_f64 v[2:3], v[2:3], v[10:11]
.LBB26_18:
	s_or_b64 exec, exec, s[8:9]
	v_mov_b32_e32 v6, 0
	ds_read_b128 v[10:13], v6 offset:384
	s_waitcnt lgkmcnt(0)
	v_mul_f64 v[6:7], v[4:5], v[12:13]
	v_mul_f64 v[96:97], v[2:3], v[12:13]
	v_fma_f64 v[94:95], v[2:3], v[10:11], -v[6:7]
	v_fmac_f64_e32 v[96:97], v[4:5], v[10:11]
	scratch_store_dwordx4 off, v[94:97], off offset:384
.LBB26_19:
	s_or_b64 exec, exec, s[4:5]
	scratch_load_dwordx4 v[2:5], v70, off
	v_cmp_lt_u32_e64 s[0:1], 23, v0
	s_waitcnt vmcnt(0)
	ds_write_b128 v9, v[2:5]
	s_waitcnt lgkmcnt(0)
	; wave barrier
	s_waitcnt lgkmcnt(0)
	s_and_saveexec_b64 s[4:5], s[0:1]
	s_cbranch_execz .LBB26_27
; %bb.20:
	ds_read_b128 v[2:5], v9
	s_andn2_b64 vcc, exec, s[6:7]
	s_cbranch_vccnz .LBB26_22
; %bb.21:
	scratch_load_dwordx4 v[10:13], v8, off
	s_waitcnt vmcnt(0) lgkmcnt(0)
	v_mul_f64 v[6:7], v[4:5], v[12:13]
	v_mul_f64 v[12:13], v[2:3], v[12:13]
	v_fmac_f64_e32 v[12:13], v[4:5], v[10:11]
	v_fma_f64 v[2:3], v[2:3], v[10:11], -v[6:7]
	v_mov_b64_e32 v[4:5], v[12:13]
.LBB26_22:
	s_and_saveexec_b64 s[8:9], s[2:3]
	s_cbranch_execz .LBB26_26
; %bb.23:
	v_mov_b32_e32 v7, 0
	v_subrev_u32_e32 v6, 24, v0
	v_add_u32_e32 v7, 0x188, v7
	s_movk_i32 s10, 0x330
	s_mov_b64 s[2:3], 0
.LBB26_24:                              ; =>This Inner Loop Header: Depth=1
	v_add_u32_e32 v10, -8, v7
	scratch_load_dwordx4 v[10:13], v10, off
	v_mov_b32_e32 v94, s10
	ds_read_b128 v[94:97], v94
	v_add_u32_e32 v6, -1, v6
	s_add_i32 s10, s10, 16
	v_cmp_eq_u32_e32 vcc, 0, v6
	v_add_u32_e32 v7, 16, v7
	s_or_b64 s[2:3], vcc, s[2:3]
	s_waitcnt vmcnt(0) lgkmcnt(0)
	v_mul_f64 v[98:99], v[96:97], v[12:13]
	v_mul_f64 v[12:13], v[94:95], v[12:13]
	v_fma_f64 v[94:95], v[94:95], v[10:11], -v[98:99]
	v_fmac_f64_e32 v[12:13], v[96:97], v[10:11]
	v_add_f64 v[2:3], v[2:3], v[94:95]
	v_add_f64 v[4:5], v[4:5], v[12:13]
	s_andn2_b64 exec, exec, s[2:3]
	s_cbranch_execnz .LBB26_24
; %bb.25:
	s_or_b64 exec, exec, s[2:3]
.LBB26_26:
	s_or_b64 exec, exec, s[8:9]
	v_mov_b32_e32 v6, 0
	ds_read_b128 v[10:13], v6 offset:368
	s_waitcnt lgkmcnt(0)
	v_mul_f64 v[6:7], v[4:5], v[12:13]
	v_mul_f64 v[96:97], v[2:3], v[12:13]
	v_fma_f64 v[94:95], v[2:3], v[10:11], -v[6:7]
	v_fmac_f64_e32 v[96:97], v[4:5], v[10:11]
	scratch_store_dwordx4 off, v[94:97], off offset:368
.LBB26_27:
	s_or_b64 exec, exec, s[4:5]
	scratch_load_dwordx4 v[2:5], v73, off
	v_cmp_lt_u32_e64 s[2:3], 22, v0
	s_waitcnt vmcnt(0)
	ds_write_b128 v9, v[2:5]
	s_waitcnt lgkmcnt(0)
	; wave barrier
	s_waitcnt lgkmcnt(0)
	s_and_saveexec_b64 s[4:5], s[2:3]
	s_cbranch_execz .LBB26_35
; %bb.28:
	ds_read_b128 v[2:5], v9
	s_andn2_b64 vcc, exec, s[6:7]
	s_cbranch_vccnz .LBB26_30
; %bb.29:
	scratch_load_dwordx4 v[10:13], v8, off
	s_waitcnt vmcnt(0) lgkmcnt(0)
	v_mul_f64 v[6:7], v[4:5], v[12:13]
	v_mul_f64 v[12:13], v[2:3], v[12:13]
	v_fmac_f64_e32 v[12:13], v[4:5], v[10:11]
	v_fma_f64 v[2:3], v[2:3], v[10:11], -v[6:7]
	v_mov_b64_e32 v[4:5], v[12:13]
.LBB26_30:
	s_and_saveexec_b64 s[8:9], s[0:1]
	s_cbranch_execz .LBB26_34
; %bb.31:
	v_mov_b32_e32 v7, 0
	v_subrev_u32_e32 v6, 23, v0
	v_add_u32_e32 v7, 0x178, v7
	s_movk_i32 s10, 0x320
	s_mov_b64 s[0:1], 0
.LBB26_32:                              ; =>This Inner Loop Header: Depth=1
	v_add_u32_e32 v10, -8, v7
	scratch_load_dwordx4 v[10:13], v10, off
	v_mov_b32_e32 v94, s10
	ds_read_b128 v[94:97], v94
	v_add_u32_e32 v6, -1, v6
	s_add_i32 s10, s10, 16
	v_cmp_eq_u32_e32 vcc, 0, v6
	v_add_u32_e32 v7, 16, v7
	s_or_b64 s[0:1], vcc, s[0:1]
	s_waitcnt vmcnt(0) lgkmcnt(0)
	v_mul_f64 v[98:99], v[96:97], v[12:13]
	v_mul_f64 v[12:13], v[94:95], v[12:13]
	v_fma_f64 v[94:95], v[94:95], v[10:11], -v[98:99]
	v_fmac_f64_e32 v[12:13], v[96:97], v[10:11]
	v_add_f64 v[2:3], v[2:3], v[94:95]
	v_add_f64 v[4:5], v[4:5], v[12:13]
	s_andn2_b64 exec, exec, s[0:1]
	s_cbranch_execnz .LBB26_32
; %bb.33:
	s_or_b64 exec, exec, s[0:1]
.LBB26_34:
	s_or_b64 exec, exec, s[8:9]
	v_mov_b32_e32 v6, 0
	ds_read_b128 v[10:13], v6 offset:352
	s_waitcnt lgkmcnt(0)
	v_mul_f64 v[6:7], v[4:5], v[12:13]
	v_mul_f64 v[96:97], v[2:3], v[12:13]
	v_fma_f64 v[94:95], v[2:3], v[10:11], -v[6:7]
	v_fmac_f64_e32 v[96:97], v[4:5], v[10:11]
	scratch_store_dwordx4 off, v[94:97], off offset:352
.LBB26_35:
	;; [unrolled: 63-line block ×8, first 2 shown]
	s_or_b64 exec, exec, s[4:5]
	scratch_load_dwordx4 v[2:5], v79, off
	v_cmp_lt_u32_e64 s[0:1], 15, v0
	s_waitcnt vmcnt(0)
	ds_write_b128 v9, v[2:5]
	s_waitcnt lgkmcnt(0)
	; wave barrier
	s_waitcnt lgkmcnt(0)
	s_and_saveexec_b64 s[4:5], s[0:1]
	s_cbranch_execz .LBB26_91
; %bb.84:
	ds_read_b128 v[2:5], v9
	s_andn2_b64 vcc, exec, s[6:7]
	s_cbranch_vccnz .LBB26_86
; %bb.85:
	scratch_load_dwordx4 v[10:13], v8, off
	s_waitcnt vmcnt(0) lgkmcnt(0)
	v_mul_f64 v[6:7], v[4:5], v[12:13]
	v_mul_f64 v[12:13], v[2:3], v[12:13]
	v_fmac_f64_e32 v[12:13], v[4:5], v[10:11]
	v_fma_f64 v[2:3], v[2:3], v[10:11], -v[6:7]
	v_mov_b64_e32 v[4:5], v[12:13]
.LBB26_86:
	s_and_saveexec_b64 s[8:9], s[2:3]
	s_cbranch_execz .LBB26_90
; %bb.87:
	v_mov_b32_e32 v7, 0
	v_add_u32_e32 v6, -16, v0
	v_add_u32_e32 v7, 0x108, v7
	s_movk_i32 s10, 0x2b0
	s_mov_b64 s[2:3], 0
.LBB26_88:                              ; =>This Inner Loop Header: Depth=1
	v_add_u32_e32 v10, -8, v7
	scratch_load_dwordx4 v[10:13], v10, off
	v_mov_b32_e32 v94, s10
	ds_read_b128 v[94:97], v94
	v_add_u32_e32 v6, -1, v6
	s_add_i32 s10, s10, 16
	v_cmp_eq_u32_e32 vcc, 0, v6
	v_add_u32_e32 v7, 16, v7
	s_or_b64 s[2:3], vcc, s[2:3]
	s_waitcnt vmcnt(0) lgkmcnt(0)
	v_mul_f64 v[98:99], v[96:97], v[12:13]
	v_mul_f64 v[12:13], v[94:95], v[12:13]
	v_fma_f64 v[94:95], v[94:95], v[10:11], -v[98:99]
	v_fmac_f64_e32 v[12:13], v[96:97], v[10:11]
	v_add_f64 v[2:3], v[2:3], v[94:95]
	v_add_f64 v[4:5], v[4:5], v[12:13]
	s_andn2_b64 exec, exec, s[2:3]
	s_cbranch_execnz .LBB26_88
; %bb.89:
	s_or_b64 exec, exec, s[2:3]
.LBB26_90:
	s_or_b64 exec, exec, s[8:9]
	v_mov_b32_e32 v6, 0
	ds_read_b128 v[10:13], v6 offset:240
	s_waitcnt lgkmcnt(0)
	v_mul_f64 v[6:7], v[4:5], v[12:13]
	v_mul_f64 v[96:97], v[2:3], v[12:13]
	v_fma_f64 v[94:95], v[2:3], v[10:11], -v[6:7]
	v_fmac_f64_e32 v[96:97], v[4:5], v[10:11]
	scratch_store_dwordx4 off, v[94:97], off offset:240
.LBB26_91:
	s_or_b64 exec, exec, s[4:5]
	scratch_load_dwordx4 v[2:5], v82, off
	v_cmp_lt_u32_e64 s[2:3], 14, v0
	s_waitcnt vmcnt(0)
	ds_write_b128 v9, v[2:5]
	s_waitcnt lgkmcnt(0)
	; wave barrier
	s_waitcnt lgkmcnt(0)
	s_and_saveexec_b64 s[4:5], s[2:3]
	s_cbranch_execz .LBB26_99
; %bb.92:
	ds_read_b128 v[2:5], v9
	s_andn2_b64 vcc, exec, s[6:7]
	s_cbranch_vccnz .LBB26_94
; %bb.93:
	scratch_load_dwordx4 v[10:13], v8, off
	s_waitcnt vmcnt(0) lgkmcnt(0)
	v_mul_f64 v[6:7], v[4:5], v[12:13]
	v_mul_f64 v[12:13], v[2:3], v[12:13]
	v_fmac_f64_e32 v[12:13], v[4:5], v[10:11]
	v_fma_f64 v[2:3], v[2:3], v[10:11], -v[6:7]
	v_mov_b64_e32 v[4:5], v[12:13]
.LBB26_94:
	s_and_saveexec_b64 s[8:9], s[0:1]
	s_cbranch_execz .LBB26_98
; %bb.95:
	v_mov_b32_e32 v7, 0
	v_add_u32_e32 v6, -15, v0
	v_add_u32_e32 v7, 0xf8, v7
	s_movk_i32 s10, 0x2a0
	s_mov_b64 s[0:1], 0
.LBB26_96:                              ; =>This Inner Loop Header: Depth=1
	v_add_u32_e32 v10, -8, v7
	scratch_load_dwordx4 v[10:13], v10, off
	v_mov_b32_e32 v94, s10
	ds_read_b128 v[94:97], v94
	v_add_u32_e32 v6, -1, v6
	s_add_i32 s10, s10, 16
	v_cmp_eq_u32_e32 vcc, 0, v6
	v_add_u32_e32 v7, 16, v7
	s_or_b64 s[0:1], vcc, s[0:1]
	s_waitcnt vmcnt(0) lgkmcnt(0)
	v_mul_f64 v[98:99], v[96:97], v[12:13]
	v_mul_f64 v[12:13], v[94:95], v[12:13]
	v_fma_f64 v[94:95], v[94:95], v[10:11], -v[98:99]
	v_fmac_f64_e32 v[12:13], v[96:97], v[10:11]
	v_add_f64 v[2:3], v[2:3], v[94:95]
	v_add_f64 v[4:5], v[4:5], v[12:13]
	s_andn2_b64 exec, exec, s[0:1]
	s_cbranch_execnz .LBB26_96
; %bb.97:
	s_or_b64 exec, exec, s[0:1]
.LBB26_98:
	s_or_b64 exec, exec, s[8:9]
	v_mov_b32_e32 v6, 0
	ds_read_b128 v[10:13], v6 offset:224
	s_waitcnt lgkmcnt(0)
	v_mul_f64 v[6:7], v[4:5], v[12:13]
	v_mul_f64 v[96:97], v[2:3], v[12:13]
	v_fma_f64 v[94:95], v[2:3], v[10:11], -v[6:7]
	v_fmac_f64_e32 v[96:97], v[4:5], v[10:11]
	scratch_store_dwordx4 off, v[94:97], off offset:224
.LBB26_99:
	s_or_b64 exec, exec, s[4:5]
	scratch_load_dwordx4 v[2:5], v83, off
	v_cmp_lt_u32_e64 s[0:1], 13, v0
	s_waitcnt vmcnt(0)
	ds_write_b128 v9, v[2:5]
	s_waitcnt lgkmcnt(0)
	; wave barrier
	s_waitcnt lgkmcnt(0)
	s_and_saveexec_b64 s[4:5], s[0:1]
	s_cbranch_execz .LBB26_107
; %bb.100:
	ds_read_b128 v[2:5], v9
	s_andn2_b64 vcc, exec, s[6:7]
	s_cbranch_vccnz .LBB26_102
; %bb.101:
	scratch_load_dwordx4 v[10:13], v8, off
	s_waitcnt vmcnt(0) lgkmcnt(0)
	v_mul_f64 v[6:7], v[4:5], v[12:13]
	v_mul_f64 v[12:13], v[2:3], v[12:13]
	v_fmac_f64_e32 v[12:13], v[4:5], v[10:11]
	v_fma_f64 v[2:3], v[2:3], v[10:11], -v[6:7]
	v_mov_b64_e32 v[4:5], v[12:13]
.LBB26_102:
	s_and_saveexec_b64 s[8:9], s[2:3]
	s_cbranch_execz .LBB26_106
; %bb.103:
	v_mov_b32_e32 v7, 0
	v_add_u32_e32 v6, -14, v0
	v_add_u32_e32 v7, 0xe8, v7
	s_movk_i32 s10, 0x290
	s_mov_b64 s[2:3], 0
.LBB26_104:                             ; =>This Inner Loop Header: Depth=1
	v_add_u32_e32 v10, -8, v7
	scratch_load_dwordx4 v[10:13], v10, off
	v_mov_b32_e32 v94, s10
	ds_read_b128 v[94:97], v94
	v_add_u32_e32 v6, -1, v6
	s_add_i32 s10, s10, 16
	v_cmp_eq_u32_e32 vcc, 0, v6
	v_add_u32_e32 v7, 16, v7
	s_or_b64 s[2:3], vcc, s[2:3]
	s_waitcnt vmcnt(0) lgkmcnt(0)
	v_mul_f64 v[98:99], v[96:97], v[12:13]
	v_mul_f64 v[12:13], v[94:95], v[12:13]
	v_fma_f64 v[94:95], v[94:95], v[10:11], -v[98:99]
	v_fmac_f64_e32 v[12:13], v[96:97], v[10:11]
	v_add_f64 v[2:3], v[2:3], v[94:95]
	v_add_f64 v[4:5], v[4:5], v[12:13]
	s_andn2_b64 exec, exec, s[2:3]
	s_cbranch_execnz .LBB26_104
; %bb.105:
	s_or_b64 exec, exec, s[2:3]
.LBB26_106:
	s_or_b64 exec, exec, s[8:9]
	v_mov_b32_e32 v6, 0
	ds_read_b128 v[10:13], v6 offset:208
	s_waitcnt lgkmcnt(0)
	v_mul_f64 v[6:7], v[4:5], v[12:13]
	v_mul_f64 v[96:97], v[2:3], v[12:13]
	v_fma_f64 v[94:95], v[2:3], v[10:11], -v[6:7]
	v_fmac_f64_e32 v[96:97], v[4:5], v[10:11]
	scratch_store_dwordx4 off, v[94:97], off offset:208
.LBB26_107:
	s_or_b64 exec, exec, s[4:5]
	scratch_load_dwordx4 v[2:5], v87, off
	v_cmp_lt_u32_e64 s[2:3], 12, v0
	s_waitcnt vmcnt(0)
	ds_write_b128 v9, v[2:5]
	s_waitcnt lgkmcnt(0)
	; wave barrier
	s_waitcnt lgkmcnt(0)
	s_and_saveexec_b64 s[4:5], s[2:3]
	s_cbranch_execz .LBB26_115
; %bb.108:
	ds_read_b128 v[2:5], v9
	s_andn2_b64 vcc, exec, s[6:7]
	s_cbranch_vccnz .LBB26_110
; %bb.109:
	scratch_load_dwordx4 v[10:13], v8, off
	s_waitcnt vmcnt(0) lgkmcnt(0)
	v_mul_f64 v[6:7], v[4:5], v[12:13]
	v_mul_f64 v[12:13], v[2:3], v[12:13]
	v_fmac_f64_e32 v[12:13], v[4:5], v[10:11]
	v_fma_f64 v[2:3], v[2:3], v[10:11], -v[6:7]
	v_mov_b64_e32 v[4:5], v[12:13]
.LBB26_110:
	s_and_saveexec_b64 s[8:9], s[0:1]
	s_cbranch_execz .LBB26_114
; %bb.111:
	v_mov_b32_e32 v7, 0
	v_add_u32_e32 v6, -13, v0
	v_add_u32_e32 v7, 0xd8, v7
	s_movk_i32 s10, 0x280
	s_mov_b64 s[0:1], 0
.LBB26_112:                             ; =>This Inner Loop Header: Depth=1
	v_add_u32_e32 v10, -8, v7
	scratch_load_dwordx4 v[10:13], v10, off
	v_mov_b32_e32 v94, s10
	ds_read_b128 v[94:97], v94
	v_add_u32_e32 v6, -1, v6
	s_add_i32 s10, s10, 16
	v_cmp_eq_u32_e32 vcc, 0, v6
	v_add_u32_e32 v7, 16, v7
	s_or_b64 s[0:1], vcc, s[0:1]
	s_waitcnt vmcnt(0) lgkmcnt(0)
	v_mul_f64 v[98:99], v[96:97], v[12:13]
	v_mul_f64 v[12:13], v[94:95], v[12:13]
	v_fma_f64 v[94:95], v[94:95], v[10:11], -v[98:99]
	v_fmac_f64_e32 v[12:13], v[96:97], v[10:11]
	v_add_f64 v[2:3], v[2:3], v[94:95]
	v_add_f64 v[4:5], v[4:5], v[12:13]
	s_andn2_b64 exec, exec, s[0:1]
	s_cbranch_execnz .LBB26_112
; %bb.113:
	s_or_b64 exec, exec, s[0:1]
.LBB26_114:
	s_or_b64 exec, exec, s[8:9]
	v_mov_b32_e32 v6, 0
	ds_read_b128 v[10:13], v6 offset:192
	s_waitcnt lgkmcnt(0)
	v_mul_f64 v[6:7], v[4:5], v[12:13]
	v_mul_f64 v[96:97], v[2:3], v[12:13]
	v_fma_f64 v[94:95], v[2:3], v[10:11], -v[6:7]
	v_fmac_f64_e32 v[96:97], v[4:5], v[10:11]
	scratch_store_dwordx4 off, v[94:97], off offset:192
.LBB26_115:
	s_or_b64 exec, exec, s[4:5]
	scratch_load_dwordx4 v[2:5], v93, off
	v_cmp_lt_u32_e64 s[0:1], 11, v0
	s_waitcnt vmcnt(0)
	ds_write_b128 v9, v[2:5]
	s_waitcnt lgkmcnt(0)
	; wave barrier
	s_waitcnt lgkmcnt(0)
	s_and_saveexec_b64 s[4:5], s[0:1]
	s_cbranch_execz .LBB26_123
; %bb.116:
	ds_read_b128 v[2:5], v9
	s_andn2_b64 vcc, exec, s[6:7]
	s_cbranch_vccnz .LBB26_118
; %bb.117:
	scratch_load_dwordx4 v[10:13], v8, off
	s_waitcnt vmcnt(0) lgkmcnt(0)
	v_mul_f64 v[6:7], v[4:5], v[12:13]
	v_mul_f64 v[12:13], v[2:3], v[12:13]
	v_fmac_f64_e32 v[12:13], v[4:5], v[10:11]
	v_fma_f64 v[2:3], v[2:3], v[10:11], -v[6:7]
	v_mov_b64_e32 v[4:5], v[12:13]
.LBB26_118:
	s_and_saveexec_b64 s[8:9], s[2:3]
	s_cbranch_execz .LBB26_122
; %bb.119:
	v_mov_b32_e32 v7, 0
	v_add_u32_e32 v6, -12, v0
	v_add_u32_e32 v7, 0xc8, v7
	s_movk_i32 s10, 0x270
	s_mov_b64 s[2:3], 0
.LBB26_120:                             ; =>This Inner Loop Header: Depth=1
	v_add_u32_e32 v10, -8, v7
	scratch_load_dwordx4 v[10:13], v10, off
	v_mov_b32_e32 v94, s10
	ds_read_b128 v[94:97], v94
	v_add_u32_e32 v6, -1, v6
	s_add_i32 s10, s10, 16
	v_cmp_eq_u32_e32 vcc, 0, v6
	v_add_u32_e32 v7, 16, v7
	s_or_b64 s[2:3], vcc, s[2:3]
	s_waitcnt vmcnt(0) lgkmcnt(0)
	v_mul_f64 v[98:99], v[96:97], v[12:13]
	v_mul_f64 v[12:13], v[94:95], v[12:13]
	v_fma_f64 v[94:95], v[94:95], v[10:11], -v[98:99]
	v_fmac_f64_e32 v[12:13], v[96:97], v[10:11]
	v_add_f64 v[2:3], v[2:3], v[94:95]
	v_add_f64 v[4:5], v[4:5], v[12:13]
	s_andn2_b64 exec, exec, s[2:3]
	s_cbranch_execnz .LBB26_120
; %bb.121:
	s_or_b64 exec, exec, s[2:3]
.LBB26_122:
	s_or_b64 exec, exec, s[8:9]
	v_mov_b32_e32 v6, 0
	ds_read_b128 v[10:13], v6 offset:176
	s_waitcnt lgkmcnt(0)
	v_mul_f64 v[6:7], v[4:5], v[12:13]
	v_mul_f64 v[96:97], v[2:3], v[12:13]
	v_fma_f64 v[94:95], v[2:3], v[10:11], -v[6:7]
	v_fmac_f64_e32 v[96:97], v[4:5], v[10:11]
	scratch_store_dwordx4 off, v[94:97], off offset:176
.LBB26_123:
	s_or_b64 exec, exec, s[4:5]
	scratch_load_dwordx4 v[2:5], v90, off
	v_cmp_lt_u32_e64 s[2:3], 10, v0
	s_waitcnt vmcnt(0)
	ds_write_b128 v9, v[2:5]
	s_waitcnt lgkmcnt(0)
	; wave barrier
	s_waitcnt lgkmcnt(0)
	s_and_saveexec_b64 s[4:5], s[2:3]
	s_cbranch_execz .LBB26_131
; %bb.124:
	ds_read_b128 v[2:5], v9
	s_andn2_b64 vcc, exec, s[6:7]
	s_cbranch_vccnz .LBB26_126
; %bb.125:
	scratch_load_dwordx4 v[10:13], v8, off
	s_waitcnt vmcnt(0) lgkmcnt(0)
	v_mul_f64 v[6:7], v[4:5], v[12:13]
	v_mul_f64 v[12:13], v[2:3], v[12:13]
	v_fmac_f64_e32 v[12:13], v[4:5], v[10:11]
	v_fma_f64 v[2:3], v[2:3], v[10:11], -v[6:7]
	v_mov_b64_e32 v[4:5], v[12:13]
.LBB26_126:
	s_and_saveexec_b64 s[8:9], s[0:1]
	s_cbranch_execz .LBB26_130
; %bb.127:
	v_mov_b32_e32 v7, 0
	v_add_u32_e32 v6, -11, v0
	v_add_u32_e32 v7, 0xb8, v7
	s_movk_i32 s10, 0x260
	s_mov_b64 s[0:1], 0
.LBB26_128:                             ; =>This Inner Loop Header: Depth=1
	v_add_u32_e32 v10, -8, v7
	scratch_load_dwordx4 v[10:13], v10, off
	v_mov_b32_e32 v94, s10
	ds_read_b128 v[94:97], v94
	v_add_u32_e32 v6, -1, v6
	s_add_i32 s10, s10, 16
	v_cmp_eq_u32_e32 vcc, 0, v6
	v_add_u32_e32 v7, 16, v7
	s_or_b64 s[0:1], vcc, s[0:1]
	s_waitcnt vmcnt(0) lgkmcnt(0)
	v_mul_f64 v[98:99], v[96:97], v[12:13]
	v_mul_f64 v[12:13], v[94:95], v[12:13]
	v_fma_f64 v[94:95], v[94:95], v[10:11], -v[98:99]
	v_fmac_f64_e32 v[12:13], v[96:97], v[10:11]
	v_add_f64 v[2:3], v[2:3], v[94:95]
	v_add_f64 v[4:5], v[4:5], v[12:13]
	s_andn2_b64 exec, exec, s[0:1]
	s_cbranch_execnz .LBB26_128
; %bb.129:
	s_or_b64 exec, exec, s[0:1]
.LBB26_130:
	s_or_b64 exec, exec, s[8:9]
	v_mov_b32_e32 v6, 0
	ds_read_b128 v[10:13], v6 offset:160
	s_waitcnt lgkmcnt(0)
	v_mul_f64 v[6:7], v[4:5], v[12:13]
	v_mul_f64 v[96:97], v[2:3], v[12:13]
	v_fma_f64 v[94:95], v[2:3], v[10:11], -v[6:7]
	v_fmac_f64_e32 v[96:97], v[4:5], v[10:11]
	scratch_store_dwordx4 off, v[94:97], off offset:160
.LBB26_131:
	s_or_b64 exec, exec, s[4:5]
	scratch_load_dwordx4 v[2:5], v88, off
	v_cmp_lt_u32_e64 s[0:1], 9, v0
	s_waitcnt vmcnt(0)
	ds_write_b128 v9, v[2:5]
	s_waitcnt lgkmcnt(0)
	; wave barrier
	s_waitcnt lgkmcnt(0)
	s_and_saveexec_b64 s[4:5], s[0:1]
	s_cbranch_execz .LBB26_139
; %bb.132:
	ds_read_b128 v[2:5], v9
	s_andn2_b64 vcc, exec, s[6:7]
	s_cbranch_vccnz .LBB26_134
; %bb.133:
	scratch_load_dwordx4 v[10:13], v8, off
	s_waitcnt vmcnt(0) lgkmcnt(0)
	v_mul_f64 v[6:7], v[4:5], v[12:13]
	v_mul_f64 v[12:13], v[2:3], v[12:13]
	v_fmac_f64_e32 v[12:13], v[4:5], v[10:11]
	v_fma_f64 v[2:3], v[2:3], v[10:11], -v[6:7]
	v_mov_b64_e32 v[4:5], v[12:13]
.LBB26_134:
	s_and_saveexec_b64 s[8:9], s[2:3]
	s_cbranch_execz .LBB26_138
; %bb.135:
	v_mov_b32_e32 v7, 0
	v_add_u32_e32 v6, -10, v0
	v_add_u32_e32 v7, 0xa8, v7
	s_movk_i32 s10, 0x250
	s_mov_b64 s[2:3], 0
.LBB26_136:                             ; =>This Inner Loop Header: Depth=1
	v_add_u32_e32 v10, -8, v7
	scratch_load_dwordx4 v[10:13], v10, off
	v_mov_b32_e32 v94, s10
	ds_read_b128 v[94:97], v94
	v_add_u32_e32 v6, -1, v6
	s_add_i32 s10, s10, 16
	v_cmp_eq_u32_e32 vcc, 0, v6
	v_add_u32_e32 v7, 16, v7
	s_or_b64 s[2:3], vcc, s[2:3]
	s_waitcnt vmcnt(0) lgkmcnt(0)
	v_mul_f64 v[98:99], v[96:97], v[12:13]
	v_mul_f64 v[12:13], v[94:95], v[12:13]
	v_fma_f64 v[94:95], v[94:95], v[10:11], -v[98:99]
	v_fmac_f64_e32 v[12:13], v[96:97], v[10:11]
	v_add_f64 v[2:3], v[2:3], v[94:95]
	v_add_f64 v[4:5], v[4:5], v[12:13]
	s_andn2_b64 exec, exec, s[2:3]
	s_cbranch_execnz .LBB26_136
; %bb.137:
	s_or_b64 exec, exec, s[2:3]
.LBB26_138:
	s_or_b64 exec, exec, s[8:9]
	v_mov_b32_e32 v6, 0
	ds_read_b128 v[10:13], v6 offset:144
	s_waitcnt lgkmcnt(0)
	v_mul_f64 v[6:7], v[4:5], v[12:13]
	v_mul_f64 v[96:97], v[2:3], v[12:13]
	v_fma_f64 v[94:95], v[2:3], v[10:11], -v[6:7]
	v_fmac_f64_e32 v[96:97], v[4:5], v[10:11]
	scratch_store_dwordx4 off, v[94:97], off offset:144
.LBB26_139:
	s_or_b64 exec, exec, s[4:5]
	scratch_load_dwordx4 v[2:5], v91, off
	v_cmp_lt_u32_e64 s[2:3], 8, v0
	s_waitcnt vmcnt(0)
	ds_write_b128 v9, v[2:5]
	s_waitcnt lgkmcnt(0)
	; wave barrier
	s_waitcnt lgkmcnt(0)
	s_and_saveexec_b64 s[4:5], s[2:3]
	s_cbranch_execz .LBB26_147
; %bb.140:
	ds_read_b128 v[2:5], v9
	s_andn2_b64 vcc, exec, s[6:7]
	s_cbranch_vccnz .LBB26_142
; %bb.141:
	scratch_load_dwordx4 v[10:13], v8, off
	s_waitcnt vmcnt(0) lgkmcnt(0)
	v_mul_f64 v[6:7], v[4:5], v[12:13]
	v_mul_f64 v[12:13], v[2:3], v[12:13]
	v_fmac_f64_e32 v[12:13], v[4:5], v[10:11]
	v_fma_f64 v[2:3], v[2:3], v[10:11], -v[6:7]
	v_mov_b64_e32 v[4:5], v[12:13]
.LBB26_142:
	s_and_saveexec_b64 s[8:9], s[0:1]
	s_cbranch_execz .LBB26_146
; %bb.143:
	v_mov_b32_e32 v7, 0
	v_add_u32_e32 v6, -9, v0
	v_add_u32_e32 v7, 0x98, v7
	s_movk_i32 s10, 0x240
	s_mov_b64 s[0:1], 0
.LBB26_144:                             ; =>This Inner Loop Header: Depth=1
	v_add_u32_e32 v10, -8, v7
	scratch_load_dwordx4 v[10:13], v10, off
	v_mov_b32_e32 v94, s10
	ds_read_b128 v[94:97], v94
	v_add_u32_e32 v6, -1, v6
	s_add_i32 s10, s10, 16
	v_cmp_eq_u32_e32 vcc, 0, v6
	v_add_u32_e32 v7, 16, v7
	s_or_b64 s[0:1], vcc, s[0:1]
	s_waitcnt vmcnt(0) lgkmcnt(0)
	v_mul_f64 v[98:99], v[96:97], v[12:13]
	v_mul_f64 v[12:13], v[94:95], v[12:13]
	v_fma_f64 v[94:95], v[94:95], v[10:11], -v[98:99]
	v_fmac_f64_e32 v[12:13], v[96:97], v[10:11]
	v_add_f64 v[2:3], v[2:3], v[94:95]
	v_add_f64 v[4:5], v[4:5], v[12:13]
	s_andn2_b64 exec, exec, s[0:1]
	s_cbranch_execnz .LBB26_144
; %bb.145:
	s_or_b64 exec, exec, s[0:1]
.LBB26_146:
	s_or_b64 exec, exec, s[8:9]
	v_mov_b32_e32 v6, 0
	ds_read_b128 v[10:13], v6 offset:128
	s_waitcnt lgkmcnt(0)
	v_mul_f64 v[6:7], v[4:5], v[12:13]
	v_mul_f64 v[96:97], v[2:3], v[12:13]
	v_fma_f64 v[94:95], v[2:3], v[10:11], -v[6:7]
	v_fmac_f64_e32 v[96:97], v[4:5], v[10:11]
	scratch_store_dwordx4 off, v[94:97], off offset:128
.LBB26_147:
	s_or_b64 exec, exec, s[4:5]
	scratch_load_dwordx4 v[2:5], v89, off
	v_cmp_lt_u32_e64 s[0:1], 7, v0
	s_waitcnt vmcnt(0)
	ds_write_b128 v9, v[2:5]
	s_waitcnt lgkmcnt(0)
	; wave barrier
	s_waitcnt lgkmcnt(0)
	s_and_saveexec_b64 s[4:5], s[0:1]
	s_cbranch_execz .LBB26_155
; %bb.148:
	ds_read_b128 v[2:5], v9
	s_andn2_b64 vcc, exec, s[6:7]
	s_cbranch_vccnz .LBB26_150
; %bb.149:
	scratch_load_dwordx4 v[10:13], v8, off
	s_waitcnt vmcnt(0) lgkmcnt(0)
	v_mul_f64 v[6:7], v[4:5], v[12:13]
	v_mul_f64 v[12:13], v[2:3], v[12:13]
	v_fmac_f64_e32 v[12:13], v[4:5], v[10:11]
	v_fma_f64 v[2:3], v[2:3], v[10:11], -v[6:7]
	v_mov_b64_e32 v[4:5], v[12:13]
.LBB26_150:
	s_and_saveexec_b64 s[8:9], s[2:3]
	s_cbranch_execz .LBB26_154
; %bb.151:
	v_mov_b32_e32 v7, 0
	v_add_u32_e32 v6, -8, v0
	v_add_u32_e32 v7, 0x88, v7
	s_movk_i32 s10, 0x230
	s_mov_b64 s[2:3], 0
.LBB26_152:                             ; =>This Inner Loop Header: Depth=1
	v_add_u32_e32 v10, -8, v7
	scratch_load_dwordx4 v[10:13], v10, off
	v_mov_b32_e32 v94, s10
	ds_read_b128 v[94:97], v94
	v_add_u32_e32 v6, -1, v6
	s_add_i32 s10, s10, 16
	v_cmp_eq_u32_e32 vcc, 0, v6
	v_add_u32_e32 v7, 16, v7
	s_or_b64 s[2:3], vcc, s[2:3]
	s_waitcnt vmcnt(0) lgkmcnt(0)
	v_mul_f64 v[98:99], v[96:97], v[12:13]
	v_mul_f64 v[12:13], v[94:95], v[12:13]
	v_fma_f64 v[94:95], v[94:95], v[10:11], -v[98:99]
	v_fmac_f64_e32 v[12:13], v[96:97], v[10:11]
	v_add_f64 v[2:3], v[2:3], v[94:95]
	v_add_f64 v[4:5], v[4:5], v[12:13]
	s_andn2_b64 exec, exec, s[2:3]
	s_cbranch_execnz .LBB26_152
; %bb.153:
	s_or_b64 exec, exec, s[2:3]
.LBB26_154:
	s_or_b64 exec, exec, s[8:9]
	v_mov_b32_e32 v6, 0
	ds_read_b128 v[10:13], v6 offset:112
	s_waitcnt lgkmcnt(0)
	v_mul_f64 v[6:7], v[4:5], v[12:13]
	v_mul_f64 v[96:97], v[2:3], v[12:13]
	v_fma_f64 v[94:95], v[2:3], v[10:11], -v[6:7]
	v_fmac_f64_e32 v[96:97], v[4:5], v[10:11]
	scratch_store_dwordx4 off, v[94:97], off offset:112
.LBB26_155:
	s_or_b64 exec, exec, s[4:5]
	scratch_load_dwordx4 v[2:5], v92, off
	v_cmp_lt_u32_e64 s[2:3], 6, v0
	s_waitcnt vmcnt(0)
	ds_write_b128 v9, v[2:5]
	s_waitcnt lgkmcnt(0)
	; wave barrier
	s_waitcnt lgkmcnt(0)
	s_and_saveexec_b64 s[4:5], s[2:3]
	s_cbranch_execz .LBB26_163
; %bb.156:
	ds_read_b128 v[2:5], v9
	s_andn2_b64 vcc, exec, s[6:7]
	s_cbranch_vccnz .LBB26_158
; %bb.157:
	scratch_load_dwordx4 v[10:13], v8, off
	s_waitcnt vmcnt(0) lgkmcnt(0)
	v_mul_f64 v[6:7], v[4:5], v[12:13]
	v_mul_f64 v[12:13], v[2:3], v[12:13]
	v_fmac_f64_e32 v[12:13], v[4:5], v[10:11]
	v_fma_f64 v[2:3], v[2:3], v[10:11], -v[6:7]
	v_mov_b64_e32 v[4:5], v[12:13]
.LBB26_158:
	s_and_saveexec_b64 s[8:9], s[0:1]
	s_cbranch_execz .LBB26_162
; %bb.159:
	v_mov_b32_e32 v7, 0
	v_add_u32_e32 v6, -7, v0
	v_add_u32_e32 v7, 0x78, v7
	s_movk_i32 s10, 0x220
	s_mov_b64 s[0:1], 0
.LBB26_160:                             ; =>This Inner Loop Header: Depth=1
	v_add_u32_e32 v10, -8, v7
	scratch_load_dwordx4 v[10:13], v10, off
	v_mov_b32_e32 v94, s10
	ds_read_b128 v[94:97], v94
	v_add_u32_e32 v6, -1, v6
	s_add_i32 s10, s10, 16
	v_cmp_eq_u32_e32 vcc, 0, v6
	v_add_u32_e32 v7, 16, v7
	s_or_b64 s[0:1], vcc, s[0:1]
	s_waitcnt vmcnt(0) lgkmcnt(0)
	v_mul_f64 v[98:99], v[96:97], v[12:13]
	v_mul_f64 v[12:13], v[94:95], v[12:13]
	v_fma_f64 v[94:95], v[94:95], v[10:11], -v[98:99]
	v_fmac_f64_e32 v[12:13], v[96:97], v[10:11]
	v_add_f64 v[2:3], v[2:3], v[94:95]
	v_add_f64 v[4:5], v[4:5], v[12:13]
	s_andn2_b64 exec, exec, s[0:1]
	s_cbranch_execnz .LBB26_160
; %bb.161:
	s_or_b64 exec, exec, s[0:1]
.LBB26_162:
	s_or_b64 exec, exec, s[8:9]
	v_mov_b32_e32 v6, 0
	ds_read_b128 v[10:13], v6 offset:96
	s_waitcnt lgkmcnt(0)
	v_mul_f64 v[6:7], v[4:5], v[12:13]
	v_mul_f64 v[96:97], v[2:3], v[12:13]
	v_fma_f64 v[94:95], v[2:3], v[10:11], -v[6:7]
	v_fmac_f64_e32 v[96:97], v[4:5], v[10:11]
	scratch_store_dwordx4 off, v[94:97], off offset:96
.LBB26_163:
	s_or_b64 exec, exec, s[4:5]
	scratch_load_dwordx4 v[2:5], v84, off
	v_cmp_lt_u32_e64 s[0:1], 5, v0
	s_waitcnt vmcnt(0)
	ds_write_b128 v9, v[2:5]
	s_waitcnt lgkmcnt(0)
	; wave barrier
	s_waitcnt lgkmcnt(0)
	s_and_saveexec_b64 s[4:5], s[0:1]
	s_cbranch_execz .LBB26_171
; %bb.164:
	ds_read_b128 v[2:5], v9
	s_andn2_b64 vcc, exec, s[6:7]
	s_cbranch_vccnz .LBB26_166
; %bb.165:
	scratch_load_dwordx4 v[10:13], v8, off
	s_waitcnt vmcnt(0) lgkmcnt(0)
	v_mul_f64 v[6:7], v[4:5], v[12:13]
	v_mul_f64 v[12:13], v[2:3], v[12:13]
	v_fmac_f64_e32 v[12:13], v[4:5], v[10:11]
	v_fma_f64 v[2:3], v[2:3], v[10:11], -v[6:7]
	v_mov_b64_e32 v[4:5], v[12:13]
.LBB26_166:
	s_and_saveexec_b64 s[8:9], s[2:3]
	s_cbranch_execz .LBB26_170
; %bb.167:
	v_mov_b32_e32 v7, 0
	v_add_u32_e32 v6, -6, v0
	v_add_u32_e32 v7, 0x68, v7
	s_movk_i32 s10, 0x210
	s_mov_b64 s[2:3], 0
.LBB26_168:                             ; =>This Inner Loop Header: Depth=1
	v_add_u32_e32 v10, -8, v7
	scratch_load_dwordx4 v[10:13], v10, off
	v_mov_b32_e32 v94, s10
	ds_read_b128 v[94:97], v94
	v_add_u32_e32 v6, -1, v6
	s_add_i32 s10, s10, 16
	v_cmp_eq_u32_e32 vcc, 0, v6
	v_add_u32_e32 v7, 16, v7
	s_or_b64 s[2:3], vcc, s[2:3]
	s_waitcnt vmcnt(0) lgkmcnt(0)
	v_mul_f64 v[98:99], v[96:97], v[12:13]
	v_mul_f64 v[12:13], v[94:95], v[12:13]
	v_fma_f64 v[94:95], v[94:95], v[10:11], -v[98:99]
	v_fmac_f64_e32 v[12:13], v[96:97], v[10:11]
	v_add_f64 v[2:3], v[2:3], v[94:95]
	v_add_f64 v[4:5], v[4:5], v[12:13]
	s_andn2_b64 exec, exec, s[2:3]
	s_cbranch_execnz .LBB26_168
; %bb.169:
	s_or_b64 exec, exec, s[2:3]
.LBB26_170:
	s_or_b64 exec, exec, s[8:9]
	v_mov_b32_e32 v6, 0
	ds_read_b128 v[10:13], v6 offset:80
	s_waitcnt lgkmcnt(0)
	v_mul_f64 v[6:7], v[4:5], v[12:13]
	v_mul_f64 v[96:97], v[2:3], v[12:13]
	v_fma_f64 v[94:95], v[2:3], v[10:11], -v[6:7]
	v_fmac_f64_e32 v[96:97], v[4:5], v[10:11]
	scratch_store_dwordx4 off, v[94:97], off offset:80
.LBB26_171:
	s_or_b64 exec, exec, s[4:5]
	scratch_load_dwordx4 v[2:5], v80, off
	v_cmp_lt_u32_e64 s[2:3], 4, v0
	s_waitcnt vmcnt(0)
	ds_write_b128 v9, v[2:5]
	s_waitcnt lgkmcnt(0)
	; wave barrier
	s_waitcnt lgkmcnt(0)
	s_and_saveexec_b64 s[4:5], s[2:3]
	s_cbranch_execz .LBB26_179
; %bb.172:
	ds_read_b128 v[2:5], v9
	s_andn2_b64 vcc, exec, s[6:7]
	s_cbranch_vccnz .LBB26_174
; %bb.173:
	scratch_load_dwordx4 v[10:13], v8, off
	s_waitcnt vmcnt(0) lgkmcnt(0)
	v_mul_f64 v[6:7], v[4:5], v[12:13]
	v_mul_f64 v[12:13], v[2:3], v[12:13]
	v_fmac_f64_e32 v[12:13], v[4:5], v[10:11]
	v_fma_f64 v[2:3], v[2:3], v[10:11], -v[6:7]
	v_mov_b64_e32 v[4:5], v[12:13]
.LBB26_174:
	s_and_saveexec_b64 s[8:9], s[0:1]
	s_cbranch_execz .LBB26_178
; %bb.175:
	v_mov_b32_e32 v7, 0
	v_add_u32_e32 v6, -5, v0
	v_add_u32_e32 v7, 0x58, v7
	s_movk_i32 s10, 0x200
	s_mov_b64 s[0:1], 0
.LBB26_176:                             ; =>This Inner Loop Header: Depth=1
	v_add_u32_e32 v10, -8, v7
	scratch_load_dwordx4 v[10:13], v10, off
	v_mov_b32_e32 v94, s10
	ds_read_b128 v[94:97], v94
	v_add_u32_e32 v6, -1, v6
	s_add_i32 s10, s10, 16
	v_cmp_eq_u32_e32 vcc, 0, v6
	v_add_u32_e32 v7, 16, v7
	s_or_b64 s[0:1], vcc, s[0:1]
	s_waitcnt vmcnt(0) lgkmcnt(0)
	v_mul_f64 v[98:99], v[96:97], v[12:13]
	v_mul_f64 v[12:13], v[94:95], v[12:13]
	v_fma_f64 v[94:95], v[94:95], v[10:11], -v[98:99]
	v_fmac_f64_e32 v[12:13], v[96:97], v[10:11]
	v_add_f64 v[2:3], v[2:3], v[94:95]
	v_add_f64 v[4:5], v[4:5], v[12:13]
	s_andn2_b64 exec, exec, s[0:1]
	s_cbranch_execnz .LBB26_176
; %bb.177:
	s_or_b64 exec, exec, s[0:1]
.LBB26_178:
	s_or_b64 exec, exec, s[8:9]
	v_mov_b32_e32 v6, 0
	ds_read_b128 v[10:13], v6 offset:64
	s_waitcnt lgkmcnt(0)
	v_mul_f64 v[6:7], v[4:5], v[12:13]
	v_mul_f64 v[96:97], v[2:3], v[12:13]
	v_fma_f64 v[94:95], v[2:3], v[10:11], -v[6:7]
	v_fmac_f64_e32 v[96:97], v[4:5], v[10:11]
	scratch_store_dwordx4 off, v[94:97], off offset:64
.LBB26_179:
	s_or_b64 exec, exec, s[4:5]
	scratch_load_dwordx4 v[2:5], v85, off
	v_cmp_lt_u32_e64 s[0:1], 3, v0
	s_waitcnt vmcnt(0)
	ds_write_b128 v9, v[2:5]
	s_waitcnt lgkmcnt(0)
	; wave barrier
	s_waitcnt lgkmcnt(0)
	s_and_saveexec_b64 s[4:5], s[0:1]
	s_cbranch_execz .LBB26_187
; %bb.180:
	ds_read_b128 v[2:5], v9
	s_andn2_b64 vcc, exec, s[6:7]
	s_cbranch_vccnz .LBB26_182
; %bb.181:
	scratch_load_dwordx4 v[10:13], v8, off
	s_waitcnt vmcnt(0) lgkmcnt(0)
	v_mul_f64 v[6:7], v[4:5], v[12:13]
	v_mul_f64 v[12:13], v[2:3], v[12:13]
	v_fmac_f64_e32 v[12:13], v[4:5], v[10:11]
	v_fma_f64 v[2:3], v[2:3], v[10:11], -v[6:7]
	v_mov_b64_e32 v[4:5], v[12:13]
.LBB26_182:
	s_and_saveexec_b64 s[8:9], s[2:3]
	s_cbranch_execz .LBB26_186
; %bb.183:
	v_mov_b32_e32 v7, 0
	v_add_u32_e32 v6, -4, v0
	v_add_u32_e32 v7, 0x48, v7
	s_movk_i32 s10, 0x1f0
	s_mov_b64 s[2:3], 0
.LBB26_184:                             ; =>This Inner Loop Header: Depth=1
	v_add_u32_e32 v10, -8, v7
	scratch_load_dwordx4 v[10:13], v10, off
	v_mov_b32_e32 v94, s10
	ds_read_b128 v[94:97], v94
	v_add_u32_e32 v6, -1, v6
	s_add_i32 s10, s10, 16
	v_cmp_eq_u32_e32 vcc, 0, v6
	v_add_u32_e32 v7, 16, v7
	s_or_b64 s[2:3], vcc, s[2:3]
	s_waitcnt vmcnt(0) lgkmcnt(0)
	v_mul_f64 v[98:99], v[96:97], v[12:13]
	v_mul_f64 v[12:13], v[94:95], v[12:13]
	v_fma_f64 v[94:95], v[94:95], v[10:11], -v[98:99]
	v_fmac_f64_e32 v[12:13], v[96:97], v[10:11]
	v_add_f64 v[2:3], v[2:3], v[94:95]
	v_add_f64 v[4:5], v[4:5], v[12:13]
	s_andn2_b64 exec, exec, s[2:3]
	s_cbranch_execnz .LBB26_184
; %bb.185:
	s_or_b64 exec, exec, s[2:3]
.LBB26_186:
	s_or_b64 exec, exec, s[8:9]
	v_mov_b32_e32 v6, 0
	ds_read_b128 v[10:13], v6 offset:48
	s_waitcnt lgkmcnt(0)
	v_mul_f64 v[6:7], v[4:5], v[12:13]
	v_mul_f64 v[96:97], v[2:3], v[12:13]
	v_fma_f64 v[94:95], v[2:3], v[10:11], -v[6:7]
	v_fmac_f64_e32 v[96:97], v[4:5], v[10:11]
	scratch_store_dwordx4 off, v[94:97], off offset:48
.LBB26_187:
	s_or_b64 exec, exec, s[4:5]
	scratch_load_dwordx4 v[2:5], v81, off
	v_cmp_lt_u32_e64 s[2:3], 2, v0
	s_waitcnt vmcnt(0)
	ds_write_b128 v9, v[2:5]
	s_waitcnt lgkmcnt(0)
	; wave barrier
	s_waitcnt lgkmcnt(0)
	s_and_saveexec_b64 s[4:5], s[2:3]
	s_cbranch_execz .LBB26_195
; %bb.188:
	ds_read_b128 v[2:5], v9
	s_andn2_b64 vcc, exec, s[6:7]
	s_cbranch_vccnz .LBB26_190
; %bb.189:
	scratch_load_dwordx4 v[10:13], v8, off
	s_waitcnt vmcnt(0) lgkmcnt(0)
	v_mul_f64 v[6:7], v[4:5], v[12:13]
	v_mul_f64 v[12:13], v[2:3], v[12:13]
	v_fmac_f64_e32 v[12:13], v[4:5], v[10:11]
	v_fma_f64 v[2:3], v[2:3], v[10:11], -v[6:7]
	v_mov_b64_e32 v[4:5], v[12:13]
.LBB26_190:
	s_and_saveexec_b64 s[8:9], s[0:1]
	s_cbranch_execz .LBB26_194
; %bb.191:
	v_mov_b32_e32 v7, 0
	v_add_u32_e32 v6, -3, v0
	v_add_u32_e32 v7, 56, v7
	s_movk_i32 s10, 0x1e0
	s_mov_b64 s[0:1], 0
.LBB26_192:                             ; =>This Inner Loop Header: Depth=1
	v_add_u32_e32 v10, -8, v7
	scratch_load_dwordx4 v[10:13], v10, off
	v_mov_b32_e32 v94, s10
	ds_read_b128 v[94:97], v94
	v_add_u32_e32 v6, -1, v6
	s_add_i32 s10, s10, 16
	v_cmp_eq_u32_e32 vcc, 0, v6
	v_add_u32_e32 v7, 16, v7
	s_or_b64 s[0:1], vcc, s[0:1]
	s_waitcnt vmcnt(0) lgkmcnt(0)
	v_mul_f64 v[98:99], v[96:97], v[12:13]
	v_mul_f64 v[12:13], v[94:95], v[12:13]
	v_fma_f64 v[94:95], v[94:95], v[10:11], -v[98:99]
	v_fmac_f64_e32 v[12:13], v[96:97], v[10:11]
	v_add_f64 v[2:3], v[2:3], v[94:95]
	v_add_f64 v[4:5], v[4:5], v[12:13]
	s_andn2_b64 exec, exec, s[0:1]
	s_cbranch_execnz .LBB26_192
; %bb.193:
	s_or_b64 exec, exec, s[0:1]
.LBB26_194:
	s_or_b64 exec, exec, s[8:9]
	v_mov_b32_e32 v6, 0
	ds_read_b128 v[10:13], v6 offset:32
	s_waitcnt lgkmcnt(0)
	v_mul_f64 v[6:7], v[4:5], v[12:13]
	v_mul_f64 v[96:97], v[2:3], v[12:13]
	v_fma_f64 v[94:95], v[2:3], v[10:11], -v[6:7]
	v_fmac_f64_e32 v[96:97], v[4:5], v[10:11]
	scratch_store_dwordx4 off, v[94:97], off offset:32
.LBB26_195:
	s_or_b64 exec, exec, s[4:5]
	scratch_load_dwordx4 v[2:5], v86, off
	v_cmp_lt_u32_e64 s[0:1], 1, v0
	s_waitcnt vmcnt(0)
	ds_write_b128 v9, v[2:5]
	s_waitcnt lgkmcnt(0)
	; wave barrier
	s_waitcnt lgkmcnt(0)
	s_and_saveexec_b64 s[4:5], s[0:1]
	s_cbranch_execz .LBB26_203
; %bb.196:
	ds_read_b128 v[2:5], v9
	s_andn2_b64 vcc, exec, s[6:7]
	s_cbranch_vccnz .LBB26_198
; %bb.197:
	scratch_load_dwordx4 v[10:13], v8, off
	s_waitcnt vmcnt(0) lgkmcnt(0)
	v_mul_f64 v[6:7], v[4:5], v[12:13]
	v_mul_f64 v[12:13], v[2:3], v[12:13]
	v_fmac_f64_e32 v[12:13], v[4:5], v[10:11]
	v_fma_f64 v[2:3], v[2:3], v[10:11], -v[6:7]
	v_mov_b64_e32 v[4:5], v[12:13]
.LBB26_198:
	s_and_saveexec_b64 s[8:9], s[2:3]
	s_cbranch_execz .LBB26_202
; %bb.199:
	v_mov_b32_e32 v7, 0
	v_add_u32_e32 v6, -2, v0
	v_add_u32_e32 v7, 40, v7
	s_movk_i32 s10, 0x1d0
	s_mov_b64 s[2:3], 0
.LBB26_200:                             ; =>This Inner Loop Header: Depth=1
	v_add_u32_e32 v10, -8, v7
	scratch_load_dwordx4 v[10:13], v10, off
	v_mov_b32_e32 v94, s10
	ds_read_b128 v[94:97], v94
	v_add_u32_e32 v6, -1, v6
	s_add_i32 s10, s10, 16
	v_cmp_eq_u32_e32 vcc, 0, v6
	v_add_u32_e32 v7, 16, v7
	s_or_b64 s[2:3], vcc, s[2:3]
	s_waitcnt vmcnt(0) lgkmcnt(0)
	v_mul_f64 v[98:99], v[96:97], v[12:13]
	v_mul_f64 v[12:13], v[94:95], v[12:13]
	v_fma_f64 v[94:95], v[94:95], v[10:11], -v[98:99]
	v_fmac_f64_e32 v[12:13], v[96:97], v[10:11]
	v_add_f64 v[2:3], v[2:3], v[94:95]
	v_add_f64 v[4:5], v[4:5], v[12:13]
	s_andn2_b64 exec, exec, s[2:3]
	s_cbranch_execnz .LBB26_200
; %bb.201:
	s_or_b64 exec, exec, s[2:3]
.LBB26_202:
	s_or_b64 exec, exec, s[8:9]
	v_mov_b32_e32 v6, 0
	ds_read_b128 v[10:13], v6 offset:16
	s_waitcnt lgkmcnt(0)
	v_mul_f64 v[6:7], v[4:5], v[12:13]
	v_mul_f64 v[96:97], v[2:3], v[12:13]
	v_fma_f64 v[94:95], v[2:3], v[10:11], -v[6:7]
	v_fmac_f64_e32 v[96:97], v[4:5], v[10:11]
	scratch_store_dwordx4 off, v[94:97], off offset:16
.LBB26_203:
	s_or_b64 exec, exec, s[4:5]
	scratch_load_dwordx4 v[2:5], off, off
	v_cmp_ne_u32_e32 vcc, 0, v0
	s_mov_b64 s[2:3], 0
	s_mov_b64 s[4:5], 0
                                        ; implicit-def: $vgpr6_vgpr7
                                        ; implicit-def: $vgpr10
	s_waitcnt vmcnt(0)
	ds_write_b128 v9, v[2:5]
	s_waitcnt lgkmcnt(0)
	; wave barrier
	s_waitcnt lgkmcnt(0)
	s_and_saveexec_b64 s[8:9], vcc
	s_cbranch_execz .LBB26_211
; %bb.204:
	ds_read_b128 v[2:5], v9
	s_andn2_b64 vcc, exec, s[6:7]
	s_cbranch_vccnz .LBB26_206
; %bb.205:
	scratch_load_dwordx4 v[10:13], v8, off
	s_waitcnt vmcnt(0) lgkmcnt(0)
	v_mul_f64 v[6:7], v[4:5], v[12:13]
	v_mul_f64 v[12:13], v[2:3], v[12:13]
	v_fmac_f64_e32 v[12:13], v[4:5], v[10:11]
	v_fma_f64 v[2:3], v[2:3], v[10:11], -v[6:7]
	v_mov_b64_e32 v[4:5], v[12:13]
.LBB26_206:
	s_and_saveexec_b64 s[4:5], s[0:1]
	s_cbranch_execz .LBB26_210
; %bb.207:
	v_mov_b32_e32 v7, 0
	v_add_u32_e32 v6, -1, v0
	v_add_u32_e32 v7, 24, v7
	s_movk_i32 s10, 0x1c0
	s_mov_b64 s[0:1], 0
.LBB26_208:                             ; =>This Inner Loop Header: Depth=1
	v_add_u32_e32 v10, -8, v7
	scratch_load_dwordx4 v[10:13], v10, off
	v_mov_b32_e32 v94, s10
	ds_read_b128 v[94:97], v94
	v_add_u32_e32 v6, -1, v6
	s_add_i32 s10, s10, 16
	v_cmp_eq_u32_e32 vcc, 0, v6
	v_add_u32_e32 v7, 16, v7
	s_or_b64 s[0:1], vcc, s[0:1]
	s_waitcnt vmcnt(0) lgkmcnt(0)
	v_mul_f64 v[98:99], v[96:97], v[12:13]
	v_mul_f64 v[12:13], v[94:95], v[12:13]
	v_fma_f64 v[94:95], v[94:95], v[10:11], -v[98:99]
	v_fmac_f64_e32 v[12:13], v[96:97], v[10:11]
	v_add_f64 v[2:3], v[2:3], v[94:95]
	v_add_f64 v[4:5], v[4:5], v[12:13]
	s_andn2_b64 exec, exec, s[0:1]
	s_cbranch_execnz .LBB26_208
; %bb.209:
	s_or_b64 exec, exec, s[0:1]
.LBB26_210:
	s_or_b64 exec, exec, s[4:5]
	v_mov_b32_e32 v6, 0
	ds_read_b128 v[94:97], v6
	v_mov_b32_e32 v6, 0
	v_or_b32_e32 v10, 8, v6
	s_mov_b64 s[4:5], exec
	s_waitcnt lgkmcnt(0)
	v_mul_f64 v[12:13], v[4:5], v[96:97]
	v_mul_f64 v[6:7], v[2:3], v[96:97]
	v_fma_f64 v[2:3], v[2:3], v[94:95], -v[12:13]
	v_fmac_f64_e32 v[6:7], v[4:5], v[94:95]
	scratch_store_dwordx2 off, v[2:3], off
.LBB26_211:
	s_or_b64 exec, exec, s[8:9]
	s_and_b64 vcc, exec, s[2:3]
	s_cbranch_vccnz .LBB26_213
	s_branch .LBB26_416
.LBB26_212:
	s_mov_b64 s[4:5], 0
                                        ; implicit-def: $vgpr6_vgpr7
                                        ; implicit-def: $vgpr10
	s_cbranch_execz .LBB26_416
.LBB26_213:
	scratch_load_dwordx4 v[2:5], v86, off
	v_cndmask_b32_e64 v6, 0, 1, s[6:7]
	v_cmp_eq_u32_e64 s[2:3], 0, v0
	v_cmp_ne_u32_e64 s[0:1], 1, v6
	s_waitcnt vmcnt(0)
	ds_write_b128 v9, v[2:5]
	s_waitcnt lgkmcnt(0)
	; wave barrier
	s_waitcnt lgkmcnt(0)
	s_and_saveexec_b64 s[6:7], s[2:3]
	s_cbranch_execz .LBB26_217
; %bb.214:
	ds_read_b128 v[2:5], v9
	s_and_b64 vcc, exec, s[0:1]
	s_cbranch_vccnz .LBB26_216
; %bb.215:
	scratch_load_dwordx4 v[10:13], v8, off
	s_waitcnt vmcnt(0) lgkmcnt(0)
	v_mul_f64 v[6:7], v[4:5], v[12:13]
	v_mul_f64 v[12:13], v[2:3], v[12:13]
	v_fmac_f64_e32 v[12:13], v[4:5], v[10:11]
	v_fma_f64 v[2:3], v[2:3], v[10:11], -v[6:7]
	v_mov_b64_e32 v[4:5], v[12:13]
.LBB26_216:
	v_mov_b32_e32 v6, 0
	ds_read_b128 v[10:13], v6 offset:16
	s_waitcnt lgkmcnt(0)
	v_mul_f64 v[6:7], v[4:5], v[12:13]
	v_mul_f64 v[96:97], v[2:3], v[12:13]
	v_fma_f64 v[94:95], v[2:3], v[10:11], -v[6:7]
	v_fmac_f64_e32 v[96:97], v[4:5], v[10:11]
	scratch_store_dwordx4 off, v[94:97], off offset:16
.LBB26_217:
	s_or_b64 exec, exec, s[6:7]
	scratch_load_dwordx4 v[2:5], v81, off
	v_cmp_gt_u32_e32 vcc, 2, v0
	s_waitcnt vmcnt(0)
	ds_write_b128 v9, v[2:5]
	s_waitcnt lgkmcnt(0)
	; wave barrier
	s_waitcnt lgkmcnt(0)
	s_and_saveexec_b64 s[6:7], vcc
	s_cbranch_execz .LBB26_223
; %bb.218:
	ds_read_b128 v[2:5], v9
	s_and_b64 vcc, exec, s[0:1]
	s_cbranch_vccnz .LBB26_220
; %bb.219:
	scratch_load_dwordx4 v[10:13], v8, off
	s_waitcnt vmcnt(0) lgkmcnt(0)
	v_mul_f64 v[6:7], v[4:5], v[12:13]
	v_mul_f64 v[12:13], v[2:3], v[12:13]
	v_fmac_f64_e32 v[12:13], v[4:5], v[10:11]
	v_fma_f64 v[2:3], v[2:3], v[10:11], -v[6:7]
	v_mov_b64_e32 v[4:5], v[12:13]
.LBB26_220:
	s_and_saveexec_b64 s[8:9], s[2:3]
	s_cbranch_execz .LBB26_222
; %bb.221:
	scratch_load_dwordx4 v[10:13], v8, off offset:16
	ds_read_b128 v[94:97], v9 offset:16
	s_waitcnt vmcnt(0) lgkmcnt(0)
	v_mul_f64 v[6:7], v[96:97], v[12:13]
	v_mul_f64 v[12:13], v[94:95], v[12:13]
	v_fma_f64 v[6:7], v[94:95], v[10:11], -v[6:7]
	v_fmac_f64_e32 v[12:13], v[96:97], v[10:11]
	v_add_f64 v[2:3], v[2:3], v[6:7]
	v_add_f64 v[4:5], v[4:5], v[12:13]
.LBB26_222:
	s_or_b64 exec, exec, s[8:9]
	v_mov_b32_e32 v6, 0
	ds_read_b128 v[10:13], v6 offset:32
	s_waitcnt lgkmcnt(0)
	v_mul_f64 v[6:7], v[4:5], v[12:13]
	v_mul_f64 v[96:97], v[2:3], v[12:13]
	v_fma_f64 v[94:95], v[2:3], v[10:11], -v[6:7]
	v_fmac_f64_e32 v[96:97], v[4:5], v[10:11]
	scratch_store_dwordx4 off, v[94:97], off offset:32
.LBB26_223:
	s_or_b64 exec, exec, s[6:7]
	scratch_load_dwordx4 v[2:5], v85, off
	v_cmp_gt_u32_e32 vcc, 3, v0
	s_waitcnt vmcnt(0)
	ds_write_b128 v9, v[2:5]
	s_waitcnt lgkmcnt(0)
	; wave barrier
	s_waitcnt lgkmcnt(0)
	s_and_saveexec_b64 s[6:7], vcc
	s_cbranch_execz .LBB26_231
; %bb.224:
	ds_read_b128 v[2:5], v9
	s_and_b64 vcc, exec, s[0:1]
	s_cbranch_vccnz .LBB26_226
; %bb.225:
	scratch_load_dwordx4 v[10:13], v8, off
	s_waitcnt vmcnt(0) lgkmcnt(0)
	v_mul_f64 v[6:7], v[4:5], v[12:13]
	v_mul_f64 v[12:13], v[2:3], v[12:13]
	v_fmac_f64_e32 v[12:13], v[4:5], v[10:11]
	v_fma_f64 v[2:3], v[2:3], v[10:11], -v[6:7]
	v_mov_b64_e32 v[4:5], v[12:13]
.LBB26_226:
	v_cmp_ne_u32_e32 vcc, 2, v0
	s_and_saveexec_b64 s[8:9], vcc
	s_cbranch_execz .LBB26_230
; %bb.227:
	scratch_load_dwordx4 v[10:13], v8, off offset:16
	ds_read_b128 v[94:97], v9 offset:16
	s_waitcnt vmcnt(0) lgkmcnt(0)
	v_mul_f64 v[6:7], v[96:97], v[12:13]
	v_mul_f64 v[12:13], v[94:95], v[12:13]
	v_fma_f64 v[6:7], v[94:95], v[10:11], -v[6:7]
	v_fmac_f64_e32 v[12:13], v[96:97], v[10:11]
	v_add_f64 v[2:3], v[2:3], v[6:7]
	v_add_f64 v[4:5], v[4:5], v[12:13]
	s_and_saveexec_b64 s[10:11], s[2:3]
	s_cbranch_execz .LBB26_229
; %bb.228:
	scratch_load_dwordx4 v[10:13], off, off offset:32
	v_mov_b32_e32 v6, 0
	ds_read_b128 v[94:97], v6 offset:464
	s_waitcnt vmcnt(0) lgkmcnt(0)
	v_mul_f64 v[6:7], v[94:95], v[12:13]
	v_mul_f64 v[12:13], v[96:97], v[12:13]
	v_fmac_f64_e32 v[6:7], v[96:97], v[10:11]
	v_fma_f64 v[10:11], v[94:95], v[10:11], -v[12:13]
	v_add_f64 v[4:5], v[4:5], v[6:7]
	v_add_f64 v[2:3], v[2:3], v[10:11]
.LBB26_229:
	s_or_b64 exec, exec, s[10:11]
.LBB26_230:
	s_or_b64 exec, exec, s[8:9]
	v_mov_b32_e32 v6, 0
	ds_read_b128 v[10:13], v6 offset:48
	s_waitcnt lgkmcnt(0)
	v_mul_f64 v[6:7], v[4:5], v[12:13]
	v_mul_f64 v[96:97], v[2:3], v[12:13]
	v_fma_f64 v[94:95], v[2:3], v[10:11], -v[6:7]
	v_fmac_f64_e32 v[96:97], v[4:5], v[10:11]
	scratch_store_dwordx4 off, v[94:97], off offset:48
.LBB26_231:
	s_or_b64 exec, exec, s[6:7]
	scratch_load_dwordx4 v[2:5], v80, off
	v_cmp_gt_u32_e32 vcc, 4, v0
	s_waitcnt vmcnt(0)
	ds_write_b128 v9, v[2:5]
	s_waitcnt lgkmcnt(0)
	; wave barrier
	s_waitcnt lgkmcnt(0)
	s_and_saveexec_b64 s[2:3], vcc
	s_cbranch_execz .LBB26_239
; %bb.232:
	ds_read_b128 v[2:5], v9
	s_and_b64 vcc, exec, s[0:1]
	s_cbranch_vccnz .LBB26_234
; %bb.233:
	scratch_load_dwordx4 v[10:13], v8, off
	s_waitcnt vmcnt(0) lgkmcnt(0)
	v_mul_f64 v[6:7], v[4:5], v[12:13]
	v_mul_f64 v[12:13], v[2:3], v[12:13]
	v_fmac_f64_e32 v[12:13], v[4:5], v[10:11]
	v_fma_f64 v[2:3], v[2:3], v[10:11], -v[6:7]
	v_mov_b64_e32 v[4:5], v[12:13]
.LBB26_234:
	v_cmp_ne_u32_e32 vcc, 3, v0
	s_and_saveexec_b64 s[6:7], vcc
	s_cbranch_execz .LBB26_238
; %bb.235:
	v_mov_b32_e32 v7, 0
	v_add_u32_e32 v6, 0x1c0, v60
	v_add3_u32 v7, v60, v7, 24
	s_mov_b64 s[8:9], 0
	v_mov_b32_e32 v10, v0
.LBB26_236:                             ; =>This Inner Loop Header: Depth=1
	v_add_u32_e32 v11, -8, v7
	scratch_load_dwordx4 v[94:97], v11, off
	ds_read_b128 v[98:101], v6
	v_add_u32_e32 v10, 1, v10
	v_cmp_lt_u32_e32 vcc, 2, v10
	v_add_u32_e32 v6, 16, v6
	v_add_u32_e32 v7, 16, v7
	s_or_b64 s[8:9], vcc, s[8:9]
	s_waitcnt vmcnt(0) lgkmcnt(0)
	v_mul_f64 v[12:13], v[100:101], v[96:97]
	v_mul_f64 v[96:97], v[98:99], v[96:97]
	v_fma_f64 v[12:13], v[98:99], v[94:95], -v[12:13]
	v_fmac_f64_e32 v[96:97], v[100:101], v[94:95]
	v_add_f64 v[2:3], v[2:3], v[12:13]
	v_add_f64 v[4:5], v[4:5], v[96:97]
	s_andn2_b64 exec, exec, s[8:9]
	s_cbranch_execnz .LBB26_236
; %bb.237:
	s_or_b64 exec, exec, s[8:9]
.LBB26_238:
	s_or_b64 exec, exec, s[6:7]
	v_mov_b32_e32 v6, 0
	ds_read_b128 v[10:13], v6 offset:64
	s_waitcnt lgkmcnt(0)
	v_mul_f64 v[6:7], v[4:5], v[12:13]
	v_mul_f64 v[96:97], v[2:3], v[12:13]
	v_fma_f64 v[94:95], v[2:3], v[10:11], -v[6:7]
	v_fmac_f64_e32 v[96:97], v[4:5], v[10:11]
	scratch_store_dwordx4 off, v[94:97], off offset:64
.LBB26_239:
	s_or_b64 exec, exec, s[2:3]
	scratch_load_dwordx4 v[2:5], v84, off
	v_cmp_gt_u32_e32 vcc, 5, v0
	s_waitcnt vmcnt(0)
	ds_write_b128 v9, v[2:5]
	s_waitcnt lgkmcnt(0)
	; wave barrier
	s_waitcnt lgkmcnt(0)
	s_and_saveexec_b64 s[2:3], vcc
	s_cbranch_execz .LBB26_247
; %bb.240:
	ds_read_b128 v[2:5], v9
	s_and_b64 vcc, exec, s[0:1]
	s_cbranch_vccnz .LBB26_242
; %bb.241:
	scratch_load_dwordx4 v[10:13], v8, off
	s_waitcnt vmcnt(0) lgkmcnt(0)
	v_mul_f64 v[6:7], v[4:5], v[12:13]
	v_mul_f64 v[12:13], v[2:3], v[12:13]
	v_fmac_f64_e32 v[12:13], v[4:5], v[10:11]
	v_fma_f64 v[2:3], v[2:3], v[10:11], -v[6:7]
	v_mov_b64_e32 v[4:5], v[12:13]
.LBB26_242:
	v_cmp_ne_u32_e32 vcc, 4, v0
	s_and_saveexec_b64 s[6:7], vcc
	s_cbranch_execz .LBB26_246
; %bb.243:
	v_mov_b32_e32 v7, 0
	v_add_u32_e32 v6, 0x1c0, v60
	v_add3_u32 v7, v60, v7, 24
	s_mov_b64 s[8:9], 0
	v_mov_b32_e32 v10, v0
.LBB26_244:                             ; =>This Inner Loop Header: Depth=1
	v_add_u32_e32 v11, -8, v7
	scratch_load_dwordx4 v[94:97], v11, off
	ds_read_b128 v[98:101], v6
	v_add_u32_e32 v10, 1, v10
	v_cmp_lt_u32_e32 vcc, 3, v10
	v_add_u32_e32 v6, 16, v6
	v_add_u32_e32 v7, 16, v7
	s_or_b64 s[8:9], vcc, s[8:9]
	s_waitcnt vmcnt(0) lgkmcnt(0)
	v_mul_f64 v[12:13], v[100:101], v[96:97]
	v_mul_f64 v[96:97], v[98:99], v[96:97]
	v_fma_f64 v[12:13], v[98:99], v[94:95], -v[12:13]
	v_fmac_f64_e32 v[96:97], v[100:101], v[94:95]
	v_add_f64 v[2:3], v[2:3], v[12:13]
	v_add_f64 v[4:5], v[4:5], v[96:97]
	s_andn2_b64 exec, exec, s[8:9]
	s_cbranch_execnz .LBB26_244
; %bb.245:
	s_or_b64 exec, exec, s[8:9]
.LBB26_246:
	s_or_b64 exec, exec, s[6:7]
	v_mov_b32_e32 v6, 0
	ds_read_b128 v[10:13], v6 offset:80
	s_waitcnt lgkmcnt(0)
	v_mul_f64 v[6:7], v[4:5], v[12:13]
	v_mul_f64 v[96:97], v[2:3], v[12:13]
	v_fma_f64 v[94:95], v[2:3], v[10:11], -v[6:7]
	v_fmac_f64_e32 v[96:97], v[4:5], v[10:11]
	scratch_store_dwordx4 off, v[94:97], off offset:80
.LBB26_247:
	;; [unrolled: 63-line block ×21, first 2 shown]
	s_or_b64 exec, exec, s[2:3]
	scratch_load_dwordx4 v[2:5], v61, off
	v_cmp_gt_u32_e64 s[2:3], 25, v0
	s_waitcnt vmcnt(0)
	ds_write_b128 v9, v[2:5]
	s_waitcnt lgkmcnt(0)
	; wave barrier
	s_waitcnt lgkmcnt(0)
	s_and_saveexec_b64 s[6:7], s[2:3]
	s_cbranch_execz .LBB26_407
; %bb.400:
	ds_read_b128 v[2:5], v9
	s_and_b64 vcc, exec, s[0:1]
	s_cbranch_vccnz .LBB26_402
; %bb.401:
	scratch_load_dwordx4 v[10:13], v8, off
	s_waitcnt vmcnt(0) lgkmcnt(0)
	v_mul_f64 v[6:7], v[4:5], v[12:13]
	v_mul_f64 v[12:13], v[2:3], v[12:13]
	v_fmac_f64_e32 v[12:13], v[4:5], v[10:11]
	v_fma_f64 v[2:3], v[2:3], v[10:11], -v[6:7]
	v_mov_b64_e32 v[4:5], v[12:13]
.LBB26_402:
	v_cmp_ne_u32_e32 vcc, 24, v0
	s_and_saveexec_b64 s[8:9], vcc
	s_cbranch_execz .LBB26_406
; %bb.403:
	v_mov_b32_e32 v7, 0
	v_add_u32_e32 v6, 0x1c0, v60
	v_add3_u32 v7, v60, v7, 24
	s_mov_b64 s[10:11], 0
	v_mov_b32_e32 v10, v0
.LBB26_404:                             ; =>This Inner Loop Header: Depth=1
	v_add_u32_e32 v11, -8, v7
	scratch_load_dwordx4 v[94:97], v11, off
	ds_read_b128 v[98:101], v6
	v_add_u32_e32 v10, 1, v10
	v_cmp_lt_u32_e32 vcc, 23, v10
	v_add_u32_e32 v6, 16, v6
	v_add_u32_e32 v7, 16, v7
	s_or_b64 s[10:11], vcc, s[10:11]
	s_waitcnt vmcnt(0) lgkmcnt(0)
	v_mul_f64 v[12:13], v[100:101], v[96:97]
	v_mul_f64 v[96:97], v[98:99], v[96:97]
	v_fma_f64 v[12:13], v[98:99], v[94:95], -v[12:13]
	v_fmac_f64_e32 v[96:97], v[100:101], v[94:95]
	v_add_f64 v[2:3], v[2:3], v[12:13]
	v_add_f64 v[4:5], v[4:5], v[96:97]
	s_andn2_b64 exec, exec, s[10:11]
	s_cbranch_execnz .LBB26_404
; %bb.405:
	s_or_b64 exec, exec, s[10:11]
.LBB26_406:
	s_or_b64 exec, exec, s[8:9]
	v_mov_b32_e32 v6, 0
	ds_read_b128 v[10:13], v6 offset:400
	s_waitcnt lgkmcnt(0)
	v_mul_f64 v[6:7], v[4:5], v[12:13]
	v_mul_f64 v[96:97], v[2:3], v[12:13]
	v_fma_f64 v[94:95], v[2:3], v[10:11], -v[6:7]
	v_fmac_f64_e32 v[96:97], v[4:5], v[10:11]
	scratch_store_dwordx4 off, v[94:97], off offset:400
.LBB26_407:
	s_or_b64 exec, exec, s[6:7]
	scratch_load_dwordx4 v[2:5], v1, off
	v_cmp_ne_u32_e32 vcc, 26, v0
                                        ; implicit-def: $vgpr6_vgpr7
                                        ; implicit-def: $vgpr10
	s_waitcnt vmcnt(0)
	ds_write_b128 v9, v[2:5]
	s_waitcnt lgkmcnt(0)
	; wave barrier
	s_waitcnt lgkmcnt(0)
	s_and_saveexec_b64 s[6:7], vcc
	s_cbranch_execz .LBB26_415
; %bb.408:
	ds_read_b128 v[2:5], v9
	s_and_b64 vcc, exec, s[0:1]
	s_cbranch_vccnz .LBB26_410
; %bb.409:
	scratch_load_dwordx4 v[6:9], v8, off
	s_waitcnt vmcnt(0) lgkmcnt(0)
	v_mul_f64 v[10:11], v[4:5], v[8:9]
	v_mul_f64 v[8:9], v[2:3], v[8:9]
	v_fmac_f64_e32 v[8:9], v[4:5], v[6:7]
	v_fma_f64 v[2:3], v[2:3], v[6:7], -v[10:11]
	v_mov_b64_e32 v[4:5], v[8:9]
.LBB26_410:
	s_and_saveexec_b64 s[0:1], s[2:3]
	s_cbranch_execz .LBB26_414
; %bb.411:
	v_mov_b32_e32 v7, 0
	v_add_u32_e32 v6, 0x1c0, v60
	v_add3_u32 v7, v60, v7, 24
	s_mov_b64 s[2:3], 0
.LBB26_412:                             ; =>This Inner Loop Header: Depth=1
	v_add_u32_e32 v8, -8, v7
	scratch_load_dwordx4 v[8:11], v8, off
	ds_read_b128 v[94:97], v6
	v_add_u32_e32 v0, 1, v0
	v_cmp_lt_u32_e32 vcc, 24, v0
	v_add_u32_e32 v6, 16, v6
	v_add_u32_e32 v7, 16, v7
	s_or_b64 s[2:3], vcc, s[2:3]
	s_waitcnt vmcnt(0) lgkmcnt(0)
	v_mul_f64 v[12:13], v[96:97], v[10:11]
	v_mul_f64 v[10:11], v[94:95], v[10:11]
	v_fma_f64 v[12:13], v[94:95], v[8:9], -v[12:13]
	v_fmac_f64_e32 v[10:11], v[96:97], v[8:9]
	v_add_f64 v[2:3], v[2:3], v[12:13]
	v_add_f64 v[4:5], v[4:5], v[10:11]
	s_andn2_b64 exec, exec, s[2:3]
	s_cbranch_execnz .LBB26_412
; %bb.413:
	s_or_b64 exec, exec, s[2:3]
.LBB26_414:
	s_or_b64 exec, exec, s[0:1]
	v_mov_b32_e32 v0, 0
	ds_read_b128 v[94:97], v0 offset:416
	v_mov_b32_e32 v0, 0
	v_add_u32_e32 v10, 0x1a8, v0
	s_or_b64 s[4:5], s[4:5], exec
	s_waitcnt lgkmcnt(0)
	v_mul_f64 v[8:9], v[4:5], v[96:97]
	v_mul_f64 v[6:7], v[2:3], v[96:97]
	v_fma_f64 v[2:3], v[2:3], v[94:95], -v[8:9]
	v_fmac_f64_e32 v[6:7], v[4:5], v[94:95]
	scratch_store_dwordx2 off, v[2:3], off offset:416
.LBB26_415:
	s_or_b64 exec, exec, s[6:7]
.LBB26_416:
	s_and_saveexec_b64 s[0:1], s[4:5]
	s_cbranch_execz .LBB26_418
; %bb.417:
	scratch_store_dwordx2 v10, v[6:7], off
.LBB26_418:
	s_or_b64 exec, exec, s[0:1]
	scratch_load_dwordx4 v[2:5], off, off
	scratch_load_dwordx4 v[6:9], v86, off
	scratch_load_dwordx4 v[10:13], v81, off
	scratch_load_dwordx4 v[94:97], v85, off
	scratch_load_dwordx4 v[98:101], v80, off
	scratch_load_dwordx4 v[102:105], v84, off
	scratch_load_dwordx4 v[106:109], v92, off
	scratch_load_dwordx4 v[110:113], v89, off
	scratch_load_dwordx4 v[114:117], v91, off
	scratch_load_dwordx4 v[118:121], v88, off
	scratch_load_dwordx4 v[122:125], v90, off
	scratch_load_dwordx4 v[126:129], v93, off
                                        ; kill: killed $vgpr93
                                        ; kill: killed $vgpr92
                                        ; kill: killed $vgpr86
                                        ; kill: killed $vgpr91
                                        ; kill: killed $vgpr85
                                        ; kill: killed $vgpr90
                                        ; kill: killed $vgpr84
                                        ; kill: killed $vgpr89
                                        ; kill: killed $vgpr81
                                        ; kill: killed $vgpr88
                                        ; kill: killed $vgpr80
	s_nop 0
	scratch_load_dwordx4 v[84:87], v87, off
	s_waitcnt vmcnt(12)
	global_store_dwordx4 v[16:17], v[2:5], off
	scratch_load_dwordx4 v[2:5], v83, off
	s_nop 0
	scratch_load_dwordx4 v[88:91], v82, off
	s_waitcnt vmcnt(14)
	global_store_dwordx4 v[14:15], v[6:9], off
	scratch_load_dwordx4 v[6:9], v79, off
	;; [unrolled: 5-line block ×7, first 2 shown]
	s_nop 0
	scratch_load_dwordx4 v[104:107], v1, off
	s_waitcnt vmcnt(26)
	global_store_dwordx4 v[28:29], v[110:113], off
	s_waitcnt vmcnt(26)
	global_store_dwordx4 v[30:31], v[114:117], off
	;; [unrolled: 2-line block ×20, first 2 shown]
.LBB26_419:
	s_endpgm
	.section	.rodata,"a",@progbits
	.p2align	6, 0x0
	.amdhsa_kernel _ZN9rocsolver6v33100L18trti2_kernel_smallILi27E19rocblas_complex_numIdEPS3_EEv13rocblas_fill_17rocblas_diagonal_T1_iil
		.amdhsa_group_segment_fixed_size 864
		.amdhsa_private_segment_fixed_size 448
		.amdhsa_kernarg_size 32
		.amdhsa_user_sgpr_count 2
		.amdhsa_user_sgpr_dispatch_ptr 0
		.amdhsa_user_sgpr_queue_ptr 0
		.amdhsa_user_sgpr_kernarg_segment_ptr 1
		.amdhsa_user_sgpr_dispatch_id 0
		.amdhsa_user_sgpr_kernarg_preload_length 0
		.amdhsa_user_sgpr_kernarg_preload_offset 0
		.amdhsa_user_sgpr_private_segment_size 0
		.amdhsa_uses_dynamic_stack 0
		.amdhsa_enable_private_segment 1
		.amdhsa_system_sgpr_workgroup_id_x 1
		.amdhsa_system_sgpr_workgroup_id_y 0
		.amdhsa_system_sgpr_workgroup_id_z 0
		.amdhsa_system_sgpr_workgroup_info 0
		.amdhsa_system_vgpr_workitem_id 0
		.amdhsa_next_free_vgpr 130
		.amdhsa_next_free_sgpr 12
		.amdhsa_accum_offset 132
		.amdhsa_reserve_vcc 1
		.amdhsa_float_round_mode_32 0
		.amdhsa_float_round_mode_16_64 0
		.amdhsa_float_denorm_mode_32 3
		.amdhsa_float_denorm_mode_16_64 3
		.amdhsa_dx10_clamp 1
		.amdhsa_ieee_mode 1
		.amdhsa_fp16_overflow 0
		.amdhsa_tg_split 0
		.amdhsa_exception_fp_ieee_invalid_op 0
		.amdhsa_exception_fp_denorm_src 0
		.amdhsa_exception_fp_ieee_div_zero 0
		.amdhsa_exception_fp_ieee_overflow 0
		.amdhsa_exception_fp_ieee_underflow 0
		.amdhsa_exception_fp_ieee_inexact 0
		.amdhsa_exception_int_div_zero 0
	.end_amdhsa_kernel
	.section	.text._ZN9rocsolver6v33100L18trti2_kernel_smallILi27E19rocblas_complex_numIdEPS3_EEv13rocblas_fill_17rocblas_diagonal_T1_iil,"axG",@progbits,_ZN9rocsolver6v33100L18trti2_kernel_smallILi27E19rocblas_complex_numIdEPS3_EEv13rocblas_fill_17rocblas_diagonal_T1_iil,comdat
.Lfunc_end26:
	.size	_ZN9rocsolver6v33100L18trti2_kernel_smallILi27E19rocblas_complex_numIdEPS3_EEv13rocblas_fill_17rocblas_diagonal_T1_iil, .Lfunc_end26-_ZN9rocsolver6v33100L18trti2_kernel_smallILi27E19rocblas_complex_numIdEPS3_EEv13rocblas_fill_17rocblas_diagonal_T1_iil
                                        ; -- End function
	.section	.AMDGPU.csdata,"",@progbits
; Kernel info:
; codeLenInByte = 17664
; NumSgprs: 18
; NumVgprs: 130
; NumAgprs: 0
; TotalNumVgprs: 130
; ScratchSize: 448
; MemoryBound: 0
; FloatMode: 240
; IeeeMode: 1
; LDSByteSize: 864 bytes/workgroup (compile time only)
; SGPRBlocks: 2
; VGPRBlocks: 16
; NumSGPRsForWavesPerEU: 18
; NumVGPRsForWavesPerEU: 130
; AccumOffset: 132
; Occupancy: 3
; WaveLimiterHint : 0
; COMPUTE_PGM_RSRC2:SCRATCH_EN: 1
; COMPUTE_PGM_RSRC2:USER_SGPR: 2
; COMPUTE_PGM_RSRC2:TRAP_HANDLER: 0
; COMPUTE_PGM_RSRC2:TGID_X_EN: 1
; COMPUTE_PGM_RSRC2:TGID_Y_EN: 0
; COMPUTE_PGM_RSRC2:TGID_Z_EN: 0
; COMPUTE_PGM_RSRC2:TIDIG_COMP_CNT: 0
; COMPUTE_PGM_RSRC3_GFX90A:ACCUM_OFFSET: 32
; COMPUTE_PGM_RSRC3_GFX90A:TG_SPLIT: 0
	.section	.text._ZN9rocsolver6v33100L18trti2_kernel_smallILi28E19rocblas_complex_numIdEPS3_EEv13rocblas_fill_17rocblas_diagonal_T1_iil,"axG",@progbits,_ZN9rocsolver6v33100L18trti2_kernel_smallILi28E19rocblas_complex_numIdEPS3_EEv13rocblas_fill_17rocblas_diagonal_T1_iil,comdat
	.globl	_ZN9rocsolver6v33100L18trti2_kernel_smallILi28E19rocblas_complex_numIdEPS3_EEv13rocblas_fill_17rocblas_diagonal_T1_iil ; -- Begin function _ZN9rocsolver6v33100L18trti2_kernel_smallILi28E19rocblas_complex_numIdEPS3_EEv13rocblas_fill_17rocblas_diagonal_T1_iil
	.p2align	8
	.type	_ZN9rocsolver6v33100L18trti2_kernel_smallILi28E19rocblas_complex_numIdEPS3_EEv13rocblas_fill_17rocblas_diagonal_T1_iil,@function
_ZN9rocsolver6v33100L18trti2_kernel_smallILi28E19rocblas_complex_numIdEPS3_EEv13rocblas_fill_17rocblas_diagonal_T1_iil: ; @_ZN9rocsolver6v33100L18trti2_kernel_smallILi28E19rocblas_complex_numIdEPS3_EEv13rocblas_fill_17rocblas_diagonal_T1_iil
; %bb.0:
	v_cmp_gt_u32_e32 vcc, 28, v0
	s_and_saveexec_b64 s[4:5], vcc
	s_cbranch_execz .LBB27_435
; %bb.1:
	s_load_dwordx8 s[4:11], s[0:1], 0x0
	s_ashr_i32 s3, s2, 31
	v_lshlrev_b32_e32 v52, 4, v0
	v_mov_b32_e32 v53, 0
	v_mov_b32_e32 v1, 0
	s_waitcnt lgkmcnt(0)
	s_ashr_i32 s1, s8, 31
	s_mov_b32 s0, s8
	s_mul_i32 s8, s2, s11
	s_mul_hi_u32 s11, s2, s10
	s_add_i32 s8, s11, s8
	s_mul_i32 s3, s3, s10
	s_add_i32 s3, s8, s3
	s_mul_i32 s2, s2, s10
	s_lshl_b64 s[2:3], s[2:3], 4
	s_add_u32 s2, s6, s2
	s_addc_u32 s3, s7, s3
	s_lshl_b64 s[0:1], s[0:1], 4
	s_add_u32 s0, s2, s0
	s_addc_u32 s1, s3, s1
	v_lshl_add_u64 v[22:23], s[0:1], 0, v[52:53]
	s_ashr_i32 s3, s9, 31
	s_mov_b32 s2, s9
	v_lshl_add_u64 v[24:25], s[2:3], 4, v[22:23]
	s_add_i32 s2, s9, s9
	v_add_u32_e32 v14, s2, v0
	v_ashrrev_i32_e32 v15, 31, v14
	v_lshl_add_u64 v[26:27], v[14:15], 4, s[0:1]
	v_add_u32_e32 v14, s9, v14
	v_add_u32_e32 v32, s9, v14
	;; [unrolled: 1-line block ×7, first 2 shown]
	v_ashrrev_i32_e32 v15, 31, v14
	v_ashrrev_i32_e32 v33, 31, v32
	;; [unrolled: 1-line block ×7, first 2 shown]
	v_add_u32_e32 v44, s9, v42
	v_lshl_add_u64 v[28:29], v[14:15], 4, s[0:1]
	v_lshl_add_u64 v[30:31], v[32:33], 4, s[0:1]
	;; [unrolled: 1-line block ×7, first 2 shown]
	v_ashrrev_i32_e32 v45, 31, v44
	global_load_dwordx4 v[2:5], v52, s[0:1]
	global_load_dwordx4 v[6:9], v[24:25], off
	global_load_dwordx4 v[10:13], v[26:27], off
	;; [unrolled: 1-line block ×8, first 2 shown]
	v_lshl_add_u64 v[42:43], v[44:45], 4, s[0:1]
	global_load_dwordx4 v[72:75], v[40:41], off
	global_load_dwordx4 v[76:79], v[42:43], off
	v_add_u32_e32 v46, s9, v44
	v_ashrrev_i32_e32 v47, 31, v46
	v_lshl_add_u64 v[44:45], v[46:47], 4, s[0:1]
	global_load_dwordx4 v[80:83], v[44:45], off
	v_add_u32_e32 v46, s9, v46
	v_add_u32_e32 v48, s9, v46
	;; [unrolled: 1-line block ×16, first 2 shown]
	v_ashrrev_i32_e32 v47, 31, v46
	v_ashrrev_i32_e32 v49, 31, v48
	;; [unrolled: 1-line block ×3, first 2 shown]
	v_lshl_add_u64 v[46:47], v[46:47], 4, s[0:1]
	global_load_dwordx4 v[84:87], v[46:47], off
	v_lshl_add_u64 v[48:49], v[48:49], 4, s[0:1]
	v_ashrrev_i32_e32 v51, 31, v50
	v_ashrrev_i32_e32 v101, 31, v100
	v_lshl_add_u64 v[54:55], v[54:55], 4, s[0:1]
	v_ashrrev_i32_e32 v105, 31, v104
	v_ashrrev_i32_e32 v109, 31, v108
	;; [unrolled: 1-line block ×5, first 2 shown]
	v_lshl_add_u64 v[50:51], v[50:51], 4, s[0:1]
	global_load_dwordx4 v[88:91], v[48:49], off
	global_load_dwordx4 v[92:95], v[50:51], off
	;; [unrolled: 1-line block ×3, first 2 shown]
	v_ashrrev_i32_e32 v103, 31, v102
	v_ashrrev_i32_e32 v107, 31, v106
	;; [unrolled: 1-line block ×6, first 2 shown]
	s_cmpk_lg_i32 s5, 0x84
	s_cselect_b64 s[6:7], -1, 0
	s_cmpk_eq_i32 s5, 0x84
	s_waitcnt vmcnt(15)
	scratch_store_dwordx4 off, v[2:5], off
	s_waitcnt vmcnt(15)
	scratch_store_dwordx4 off, v[6:9], off offset:16
	s_waitcnt vmcnt(15)
	scratch_store_dwordx4 off, v[10:13], off offset:32
	;; [unrolled: 2-line block ×11, first 2 shown]
	v_lshl_add_u64 v[14:15], v[100:101], 4, s[0:1]
	v_lshl_add_u64 v[18:19], v[104:105], 4, s[0:1]
	;; [unrolled: 1-line block ×7, first 2 shown]
	global_load_dwordx4 v[2:5], v[14:15], off
	global_load_dwordx4 v[6:9], v[16:17], off
	v_lshl_add_u64 v[20:21], v[106:107], 4, s[0:1]
	global_load_dwordx4 v[10:13], v[18:19], off
	global_load_dwordx4 v[72:75], v[20:21], off
	v_lshl_add_u64 v[58:59], v[110:111], 4, s[0:1]
	;; [unrolled: 3-line block ×5, first 2 shown]
	global_load_dwordx4 v[116:119], v[68:69], off
	global_load_dwordx4 v[120:123], v[70:71], off
	s_waitcnt vmcnt(27)
	scratch_store_dwordx4 off, v[84:87], off offset:192
	s_waitcnt vmcnt(27)
	scratch_store_dwordx4 off, v[88:91], off offset:208
	;; [unrolled: 2-line block ×15, first 2 shown]
	scratch_store_dwordx4 off, v[96:99], off offset:432
	s_cbranch_scc1 .LBB27_7
; %bb.2:
	scratch_load_dwordx4 v[2:5], v52, off
                                        ; implicit-def: $vgpr10_vgpr11
	s_waitcnt vmcnt(0)
	v_xor_b32_e32 v7, 0x80000000, v3
	v_cmp_gt_f64_e32 vcc, 0, v[2:3]
	v_xor_b32_e32 v8, 0x80000000, v5
	v_mov_b32_e32 v6, v2
	v_cndmask_b32_e32 v7, v3, v7, vcc
	v_cmp_gt_f64_e32 vcc, 0, v[4:5]
	s_nop 1
	v_cndmask_b32_e32 v9, v5, v8, vcc
	v_mov_b32_e32 v8, v4
	v_cmp_ngt_f64_e32 vcc, v[6:7], v[8:9]
                                        ; implicit-def: $vgpr6_vgpr7
	s_and_saveexec_b64 s[0:1], vcc
	s_xor_b64 s[0:1], exec, s[0:1]
	s_cbranch_execz .LBB27_4
; %bb.3:
	v_div_scale_f64 v[6:7], s[2:3], v[4:5], v[4:5], v[2:3]
	v_rcp_f64_e32 v[8:9], v[6:7]
	v_div_scale_f64 v[10:11], vcc, v[2:3], v[4:5], v[2:3]
	v_fma_f64 v[12:13], -v[6:7], v[8:9], 1.0
	v_fmac_f64_e32 v[8:9], v[8:9], v[12:13]
	v_fma_f64 v[12:13], -v[6:7], v[8:9], 1.0
	v_fmac_f64_e32 v[8:9], v[8:9], v[12:13]
	v_mul_f64 v[12:13], v[10:11], v[8:9]
	v_fma_f64 v[6:7], -v[6:7], v[12:13], v[10:11]
	v_div_fmas_f64 v[6:7], v[6:7], v[8:9], v[12:13]
	v_div_fixup_f64 v[6:7], v[6:7], v[4:5], v[2:3]
	v_fmac_f64_e32 v[4:5], v[2:3], v[6:7]
	v_div_scale_f64 v[2:3], s[2:3], v[4:5], v[4:5], 1.0
	v_rcp_f64_e32 v[8:9], v[2:3]
	s_nop 0
	v_fma_f64 v[10:11], -v[2:3], v[8:9], 1.0
	v_fmac_f64_e32 v[8:9], v[8:9], v[10:11]
	v_fma_f64 v[10:11], -v[2:3], v[8:9], 1.0
	v_fmac_f64_e32 v[8:9], v[8:9], v[10:11]
	v_div_scale_f64 v[10:11], vcc, 1.0, v[4:5], 1.0
	v_mul_f64 v[12:13], v[10:11], v[8:9]
	v_fma_f64 v[2:3], -v[2:3], v[12:13], v[10:11]
	s_nop 1
	v_div_fmas_f64 v[2:3], v[2:3], v[8:9], v[12:13]
	v_div_fixup_f64 v[8:9], v[2:3], v[4:5], 1.0
	v_mul_f64 v[6:7], v[6:7], v[8:9]
	v_xor_b32_e32 v9, 0x80000000, v9
	v_xor_b32_e32 v11, 0x80000000, v7
	v_mov_b32_e32 v10, v6
                                        ; implicit-def: $vgpr2_vgpr3
.LBB27_4:
	s_or_saveexec_b64 s[0:1], s[0:1]
	v_add_u32_e32 v12, 0, v52
	s_xor_b64 exec, exec, s[0:1]
	s_cbranch_execz .LBB27_6
; %bb.5:
	v_div_scale_f64 v[6:7], s[2:3], v[2:3], v[2:3], v[4:5]
	v_rcp_f64_e32 v[8:9], v[6:7]
	v_div_scale_f64 v[10:11], vcc, v[4:5], v[2:3], v[4:5]
	v_fma_f64 v[72:73], -v[6:7], v[8:9], 1.0
	v_fmac_f64_e32 v[8:9], v[8:9], v[72:73]
	v_fma_f64 v[72:73], -v[6:7], v[8:9], 1.0
	v_fmac_f64_e32 v[8:9], v[8:9], v[72:73]
	v_mul_f64 v[72:73], v[10:11], v[8:9]
	v_fma_f64 v[6:7], -v[6:7], v[72:73], v[10:11]
	v_div_fmas_f64 v[6:7], v[6:7], v[8:9], v[72:73]
	v_div_fixup_f64 v[8:9], v[6:7], v[2:3], v[4:5]
	v_fmac_f64_e32 v[2:3], v[4:5], v[8:9]
	v_div_scale_f64 v[4:5], s[2:3], v[2:3], v[2:3], 1.0
	v_rcp_f64_e32 v[6:7], v[4:5]
	s_nop 0
	v_fma_f64 v[10:11], -v[4:5], v[6:7], 1.0
	v_fmac_f64_e32 v[6:7], v[6:7], v[10:11]
	v_fma_f64 v[10:11], -v[4:5], v[6:7], 1.0
	v_fmac_f64_e32 v[6:7], v[6:7], v[10:11]
	v_div_scale_f64 v[10:11], vcc, 1.0, v[2:3], 1.0
	v_mul_f64 v[72:73], v[10:11], v[6:7]
	v_fma_f64 v[4:5], -v[4:5], v[72:73], v[10:11]
	s_nop 1
	v_div_fmas_f64 v[4:5], v[4:5], v[6:7], v[72:73]
	v_div_fixup_f64 v[6:7], v[4:5], v[2:3], 1.0
	v_xor_b32_e32 v11, 0x80000000, v7
	v_mov_b32_e32 v10, v6
	v_mul_f64 v[8:9], v[8:9], -v[6:7]
.LBB27_6:
	s_or_b64 exec, exec, s[0:1]
	scratch_store_dwordx4 v12, v[6:9], off
	s_nop 1
	v_xor_b32_e32 v9, 0x80000000, v9
	s_branch .LBB27_8
.LBB27_7:
	v_mov_b64_e32 v[8:9], 0
	v_mov_b64_e32 v[10:11], -1.0
.LBB27_8:
	v_add_u32_e32 v88, 16, v1
	v_add_u32_e32 v91, 32, v1
	;; [unrolled: 1-line block ×27, first 2 shown]
	v_mov_b32_e32 v12, v8
	v_mov_b32_e32 v13, v9
	s_cmpk_eq_i32 s4, 0x79
	v_add_u32_e32 v9, 0x1c0, v52
	v_add_u32_e32 v8, 0, v52
	ds_write_b128 v52, v[10:13]
	s_cbranch_scc1 .LBB27_220
; %bb.9:
	scratch_load_dwordx4 v[2:5], v53, off
	v_cmp_eq_u32_e64 s[0:1], 27, v0
	s_waitcnt vmcnt(0)
	ds_write_b128 v9, v[2:5]
	s_waitcnt lgkmcnt(0)
	; wave barrier
	s_waitcnt lgkmcnt(0)
	s_and_saveexec_b64 s[2:3], s[0:1]
	s_cbranch_execz .LBB27_13
; %bb.10:
	ds_read_b128 v[2:5], v9
	s_andn2_b64 vcc, exec, s[6:7]
	s_cbranch_vccnz .LBB27_12
; %bb.11:
	scratch_load_dwordx4 v[10:13], v8, off
	s_waitcnt vmcnt(0) lgkmcnt(0)
	v_mul_f64 v[6:7], v[4:5], v[12:13]
	v_mul_f64 v[12:13], v[2:3], v[12:13]
	v_fmac_f64_e32 v[12:13], v[4:5], v[10:11]
	v_fma_f64 v[2:3], v[2:3], v[10:11], -v[6:7]
	v_mov_b64_e32 v[4:5], v[12:13]
.LBB27_12:
	v_mov_b32_e32 v6, 0
	ds_read_b128 v[10:13], v6 offset:416
	s_waitcnt lgkmcnt(0)
	v_mul_f64 v[6:7], v[4:5], v[12:13]
	v_mul_f64 v[100:101], v[2:3], v[12:13]
	v_fma_f64 v[98:99], v[2:3], v[10:11], -v[6:7]
	v_fmac_f64_e32 v[100:101], v[4:5], v[10:11]
	scratch_store_dwordx4 off, v[98:101], off offset:416
.LBB27_13:
	s_or_b64 exec, exec, s[2:3]
	scratch_load_dwordx4 v[2:5], v73, off
	v_cmp_lt_u32_e64 s[2:3], 25, v0
	s_waitcnt vmcnt(0)
	ds_write_b128 v9, v[2:5]
	s_waitcnt lgkmcnt(0)
	; wave barrier
	s_waitcnt lgkmcnt(0)
	s_and_saveexec_b64 s[4:5], s[2:3]
	s_cbranch_execz .LBB27_19
; %bb.14:
	ds_read_b128 v[2:5], v9
	s_andn2_b64 vcc, exec, s[6:7]
	s_cbranch_vccnz .LBB27_16
; %bb.15:
	scratch_load_dwordx4 v[10:13], v8, off
	s_waitcnt vmcnt(0) lgkmcnt(0)
	v_mul_f64 v[6:7], v[4:5], v[12:13]
	v_mul_f64 v[12:13], v[2:3], v[12:13]
	v_fmac_f64_e32 v[12:13], v[4:5], v[10:11]
	v_fma_f64 v[2:3], v[2:3], v[10:11], -v[6:7]
	v_mov_b64_e32 v[4:5], v[12:13]
.LBB27_16:
	s_and_saveexec_b64 s[8:9], s[0:1]
	s_cbranch_execz .LBB27_18
; %bb.17:
	scratch_load_dwordx4 v[10:13], off, off offset:416
	v_mov_b32_e32 v6, 0
	ds_read_b128 v[98:101], v6 offset:864
	s_waitcnt vmcnt(0) lgkmcnt(0)
	v_mul_f64 v[6:7], v[98:99], v[12:13]
	v_mul_f64 v[12:13], v[100:101], v[12:13]
	v_fmac_f64_e32 v[6:7], v[100:101], v[10:11]
	v_fma_f64 v[10:11], v[98:99], v[10:11], -v[12:13]
	v_add_f64 v[4:5], v[4:5], v[6:7]
	v_add_f64 v[2:3], v[2:3], v[10:11]
.LBB27_18:
	s_or_b64 exec, exec, s[8:9]
	v_mov_b32_e32 v6, 0
	ds_read_b128 v[10:13], v6 offset:400
	s_waitcnt lgkmcnt(0)
	v_mul_f64 v[6:7], v[4:5], v[12:13]
	v_mul_f64 v[100:101], v[2:3], v[12:13]
	v_fma_f64 v[98:99], v[2:3], v[10:11], -v[6:7]
	v_fmac_f64_e32 v[100:101], v[4:5], v[10:11]
	scratch_store_dwordx4 off, v[98:101], off offset:400
.LBB27_19:
	s_or_b64 exec, exec, s[4:5]
	scratch_load_dwordx4 v[2:5], v72, off
	v_cmp_lt_u32_e64 s[0:1], 24, v0
	s_waitcnt vmcnt(0)
	ds_write_b128 v9, v[2:5]
	s_waitcnt lgkmcnt(0)
	; wave barrier
	s_waitcnt lgkmcnt(0)
	s_and_saveexec_b64 s[4:5], s[0:1]
	s_cbranch_execz .LBB27_27
; %bb.20:
	ds_read_b128 v[2:5], v9
	s_andn2_b64 vcc, exec, s[6:7]
	s_cbranch_vccnz .LBB27_22
; %bb.21:
	scratch_load_dwordx4 v[10:13], v8, off
	s_waitcnt vmcnt(0) lgkmcnt(0)
	v_mul_f64 v[6:7], v[4:5], v[12:13]
	v_mul_f64 v[12:13], v[2:3], v[12:13]
	v_fmac_f64_e32 v[12:13], v[4:5], v[10:11]
	v_fma_f64 v[2:3], v[2:3], v[10:11], -v[6:7]
	v_mov_b64_e32 v[4:5], v[12:13]
.LBB27_22:
	s_and_saveexec_b64 s[8:9], s[2:3]
	s_cbranch_execz .LBB27_26
; %bb.23:
	v_mov_b32_e32 v7, 0
	v_subrev_u32_e32 v6, 25, v0
	v_add_u32_e32 v7, 0x198, v7
	s_movk_i32 s10, 0x350
	s_mov_b64 s[2:3], 0
.LBB27_24:                              ; =>This Inner Loop Header: Depth=1
	v_add_u32_e32 v10, -8, v7
	scratch_load_dwordx4 v[10:13], v10, off
	v_mov_b32_e32 v97, s10
	ds_read_b128 v[98:101], v97
	v_add_u32_e32 v6, -1, v6
	s_add_i32 s10, s10, 16
	v_cmp_eq_u32_e32 vcc, 0, v6
	v_add_u32_e32 v7, 16, v7
	s_or_b64 s[2:3], vcc, s[2:3]
	s_waitcnt vmcnt(0) lgkmcnt(0)
	v_mul_f64 v[102:103], v[100:101], v[12:13]
	v_mul_f64 v[12:13], v[98:99], v[12:13]
	v_fma_f64 v[98:99], v[98:99], v[10:11], -v[102:103]
	v_fmac_f64_e32 v[12:13], v[100:101], v[10:11]
	v_add_f64 v[2:3], v[2:3], v[98:99]
	v_add_f64 v[4:5], v[4:5], v[12:13]
	s_andn2_b64 exec, exec, s[2:3]
	s_cbranch_execnz .LBB27_24
; %bb.25:
	s_or_b64 exec, exec, s[2:3]
.LBB27_26:
	s_or_b64 exec, exec, s[8:9]
	v_mov_b32_e32 v6, 0
	ds_read_b128 v[10:13], v6 offset:384
	s_waitcnt lgkmcnt(0)
	v_mul_f64 v[6:7], v[4:5], v[12:13]
	v_mul_f64 v[100:101], v[2:3], v[12:13]
	v_fma_f64 v[98:99], v[2:3], v[10:11], -v[6:7]
	v_fmac_f64_e32 v[100:101], v[4:5], v[10:11]
	scratch_store_dwordx4 off, v[98:101], off offset:384
.LBB27_27:
	s_or_b64 exec, exec, s[4:5]
	scratch_load_dwordx4 v[2:5], v75, off
	v_cmp_lt_u32_e64 s[2:3], 23, v0
	s_waitcnt vmcnt(0)
	ds_write_b128 v9, v[2:5]
	s_waitcnt lgkmcnt(0)
	; wave barrier
	s_waitcnt lgkmcnt(0)
	s_and_saveexec_b64 s[4:5], s[2:3]
	s_cbranch_execz .LBB27_35
; %bb.28:
	ds_read_b128 v[2:5], v9
	s_andn2_b64 vcc, exec, s[6:7]
	s_cbranch_vccnz .LBB27_30
; %bb.29:
	scratch_load_dwordx4 v[10:13], v8, off
	s_waitcnt vmcnt(0) lgkmcnt(0)
	v_mul_f64 v[6:7], v[4:5], v[12:13]
	v_mul_f64 v[12:13], v[2:3], v[12:13]
	v_fmac_f64_e32 v[12:13], v[4:5], v[10:11]
	v_fma_f64 v[2:3], v[2:3], v[10:11], -v[6:7]
	v_mov_b64_e32 v[4:5], v[12:13]
.LBB27_30:
	s_and_saveexec_b64 s[8:9], s[0:1]
	s_cbranch_execz .LBB27_34
; %bb.31:
	v_mov_b32_e32 v7, 0
	v_subrev_u32_e32 v6, 24, v0
	v_add_u32_e32 v7, 0x188, v7
	s_movk_i32 s10, 0x340
	s_mov_b64 s[0:1], 0
.LBB27_32:                              ; =>This Inner Loop Header: Depth=1
	v_add_u32_e32 v10, -8, v7
	scratch_load_dwordx4 v[10:13], v10, off
	v_mov_b32_e32 v97, s10
	ds_read_b128 v[98:101], v97
	v_add_u32_e32 v6, -1, v6
	s_add_i32 s10, s10, 16
	v_cmp_eq_u32_e32 vcc, 0, v6
	v_add_u32_e32 v7, 16, v7
	s_or_b64 s[0:1], vcc, s[0:1]
	s_waitcnt vmcnt(0) lgkmcnt(0)
	v_mul_f64 v[102:103], v[100:101], v[12:13]
	v_mul_f64 v[12:13], v[98:99], v[12:13]
	v_fma_f64 v[98:99], v[98:99], v[10:11], -v[102:103]
	v_fmac_f64_e32 v[12:13], v[100:101], v[10:11]
	v_add_f64 v[2:3], v[2:3], v[98:99]
	v_add_f64 v[4:5], v[4:5], v[12:13]
	s_andn2_b64 exec, exec, s[0:1]
	s_cbranch_execnz .LBB27_32
; %bb.33:
	s_or_b64 exec, exec, s[0:1]
.LBB27_34:
	s_or_b64 exec, exec, s[8:9]
	v_mov_b32_e32 v6, 0
	ds_read_b128 v[10:13], v6 offset:368
	s_waitcnt lgkmcnt(0)
	v_mul_f64 v[6:7], v[4:5], v[12:13]
	v_mul_f64 v[100:101], v[2:3], v[12:13]
	v_fma_f64 v[98:99], v[2:3], v[10:11], -v[6:7]
	v_fmac_f64_e32 v[100:101], v[4:5], v[10:11]
	scratch_store_dwordx4 off, v[98:101], off offset:368
.LBB27_35:
	;; [unrolled: 63-line block ×9, first 2 shown]
	s_or_b64 exec, exec, s[4:5]
	scratch_load_dwordx4 v[2:5], v82, off
	v_cmp_lt_u32_e64 s[2:3], 15, v0
	s_waitcnt vmcnt(0)
	ds_write_b128 v9, v[2:5]
	s_waitcnt lgkmcnt(0)
	; wave barrier
	s_waitcnt lgkmcnt(0)
	s_and_saveexec_b64 s[4:5], s[2:3]
	s_cbranch_execz .LBB27_99
; %bb.92:
	ds_read_b128 v[2:5], v9
	s_andn2_b64 vcc, exec, s[6:7]
	s_cbranch_vccnz .LBB27_94
; %bb.93:
	scratch_load_dwordx4 v[10:13], v8, off
	s_waitcnt vmcnt(0) lgkmcnt(0)
	v_mul_f64 v[6:7], v[4:5], v[12:13]
	v_mul_f64 v[12:13], v[2:3], v[12:13]
	v_fmac_f64_e32 v[12:13], v[4:5], v[10:11]
	v_fma_f64 v[2:3], v[2:3], v[10:11], -v[6:7]
	v_mov_b64_e32 v[4:5], v[12:13]
.LBB27_94:
	s_and_saveexec_b64 s[8:9], s[0:1]
	s_cbranch_execz .LBB27_98
; %bb.95:
	v_mov_b32_e32 v7, 0
	v_add_u32_e32 v6, -16, v0
	v_add_u32_e32 v7, 0x108, v7
	s_movk_i32 s10, 0x2c0
	s_mov_b64 s[0:1], 0
.LBB27_96:                              ; =>This Inner Loop Header: Depth=1
	v_add_u32_e32 v10, -8, v7
	scratch_load_dwordx4 v[10:13], v10, off
	v_mov_b32_e32 v97, s10
	ds_read_b128 v[98:101], v97
	v_add_u32_e32 v6, -1, v6
	s_add_i32 s10, s10, 16
	v_cmp_eq_u32_e32 vcc, 0, v6
	v_add_u32_e32 v7, 16, v7
	s_or_b64 s[0:1], vcc, s[0:1]
	s_waitcnt vmcnt(0) lgkmcnt(0)
	v_mul_f64 v[102:103], v[100:101], v[12:13]
	v_mul_f64 v[12:13], v[98:99], v[12:13]
	v_fma_f64 v[98:99], v[98:99], v[10:11], -v[102:103]
	v_fmac_f64_e32 v[12:13], v[100:101], v[10:11]
	v_add_f64 v[2:3], v[2:3], v[98:99]
	v_add_f64 v[4:5], v[4:5], v[12:13]
	s_andn2_b64 exec, exec, s[0:1]
	s_cbranch_execnz .LBB27_96
; %bb.97:
	s_or_b64 exec, exec, s[0:1]
.LBB27_98:
	s_or_b64 exec, exec, s[8:9]
	v_mov_b32_e32 v6, 0
	ds_read_b128 v[10:13], v6 offset:240
	s_waitcnt lgkmcnt(0)
	v_mul_f64 v[6:7], v[4:5], v[12:13]
	v_mul_f64 v[100:101], v[2:3], v[12:13]
	v_fma_f64 v[98:99], v[2:3], v[10:11], -v[6:7]
	v_fmac_f64_e32 v[100:101], v[4:5], v[10:11]
	scratch_store_dwordx4 off, v[98:101], off offset:240
.LBB27_99:
	s_or_b64 exec, exec, s[4:5]
	scratch_load_dwordx4 v[2:5], v83, off
	v_cmp_lt_u32_e64 s[0:1], 14, v0
	s_waitcnt vmcnt(0)
	ds_write_b128 v9, v[2:5]
	s_waitcnt lgkmcnt(0)
	; wave barrier
	s_waitcnt lgkmcnt(0)
	s_and_saveexec_b64 s[4:5], s[0:1]
	s_cbranch_execz .LBB27_107
; %bb.100:
	ds_read_b128 v[2:5], v9
	s_andn2_b64 vcc, exec, s[6:7]
	s_cbranch_vccnz .LBB27_102
; %bb.101:
	scratch_load_dwordx4 v[10:13], v8, off
	s_waitcnt vmcnt(0) lgkmcnt(0)
	v_mul_f64 v[6:7], v[4:5], v[12:13]
	v_mul_f64 v[12:13], v[2:3], v[12:13]
	v_fmac_f64_e32 v[12:13], v[4:5], v[10:11]
	v_fma_f64 v[2:3], v[2:3], v[10:11], -v[6:7]
	v_mov_b64_e32 v[4:5], v[12:13]
.LBB27_102:
	s_and_saveexec_b64 s[8:9], s[2:3]
	s_cbranch_execz .LBB27_106
; %bb.103:
	v_mov_b32_e32 v7, 0
	v_add_u32_e32 v6, -15, v0
	v_add_u32_e32 v7, 0xf8, v7
	s_movk_i32 s10, 0x2b0
	s_mov_b64 s[2:3], 0
.LBB27_104:                             ; =>This Inner Loop Header: Depth=1
	v_add_u32_e32 v10, -8, v7
	scratch_load_dwordx4 v[10:13], v10, off
	v_mov_b32_e32 v97, s10
	ds_read_b128 v[98:101], v97
	v_add_u32_e32 v6, -1, v6
	s_add_i32 s10, s10, 16
	v_cmp_eq_u32_e32 vcc, 0, v6
	v_add_u32_e32 v7, 16, v7
	s_or_b64 s[2:3], vcc, s[2:3]
	s_waitcnt vmcnt(0) lgkmcnt(0)
	v_mul_f64 v[102:103], v[100:101], v[12:13]
	v_mul_f64 v[12:13], v[98:99], v[12:13]
	v_fma_f64 v[98:99], v[98:99], v[10:11], -v[102:103]
	v_fmac_f64_e32 v[12:13], v[100:101], v[10:11]
	v_add_f64 v[2:3], v[2:3], v[98:99]
	v_add_f64 v[4:5], v[4:5], v[12:13]
	s_andn2_b64 exec, exec, s[2:3]
	s_cbranch_execnz .LBB27_104
; %bb.105:
	s_or_b64 exec, exec, s[2:3]
.LBB27_106:
	s_or_b64 exec, exec, s[8:9]
	v_mov_b32_e32 v6, 0
	ds_read_b128 v[10:13], v6 offset:224
	s_waitcnt lgkmcnt(0)
	v_mul_f64 v[6:7], v[4:5], v[12:13]
	v_mul_f64 v[100:101], v[2:3], v[12:13]
	v_fma_f64 v[98:99], v[2:3], v[10:11], -v[6:7]
	v_fmac_f64_e32 v[100:101], v[4:5], v[10:11]
	scratch_store_dwordx4 off, v[98:101], off offset:224
.LBB27_107:
	s_or_b64 exec, exec, s[4:5]
	scratch_load_dwordx4 v[2:5], v85, off
	v_cmp_lt_u32_e64 s[2:3], 13, v0
	s_waitcnt vmcnt(0)
	ds_write_b128 v9, v[2:5]
	s_waitcnt lgkmcnt(0)
	; wave barrier
	s_waitcnt lgkmcnt(0)
	s_and_saveexec_b64 s[4:5], s[2:3]
	s_cbranch_execz .LBB27_115
; %bb.108:
	ds_read_b128 v[2:5], v9
	s_andn2_b64 vcc, exec, s[6:7]
	s_cbranch_vccnz .LBB27_110
; %bb.109:
	scratch_load_dwordx4 v[10:13], v8, off
	s_waitcnt vmcnt(0) lgkmcnt(0)
	v_mul_f64 v[6:7], v[4:5], v[12:13]
	v_mul_f64 v[12:13], v[2:3], v[12:13]
	v_fmac_f64_e32 v[12:13], v[4:5], v[10:11]
	v_fma_f64 v[2:3], v[2:3], v[10:11], -v[6:7]
	v_mov_b64_e32 v[4:5], v[12:13]
.LBB27_110:
	s_and_saveexec_b64 s[8:9], s[0:1]
	s_cbranch_execz .LBB27_114
; %bb.111:
	v_mov_b32_e32 v7, 0
	v_add_u32_e32 v6, -14, v0
	v_add_u32_e32 v7, 0xe8, v7
	s_movk_i32 s10, 0x2a0
	s_mov_b64 s[0:1], 0
.LBB27_112:                             ; =>This Inner Loop Header: Depth=1
	v_add_u32_e32 v10, -8, v7
	scratch_load_dwordx4 v[10:13], v10, off
	v_mov_b32_e32 v97, s10
	ds_read_b128 v[98:101], v97
	v_add_u32_e32 v6, -1, v6
	s_add_i32 s10, s10, 16
	v_cmp_eq_u32_e32 vcc, 0, v6
	v_add_u32_e32 v7, 16, v7
	s_or_b64 s[0:1], vcc, s[0:1]
	s_waitcnt vmcnt(0) lgkmcnt(0)
	v_mul_f64 v[102:103], v[100:101], v[12:13]
	v_mul_f64 v[12:13], v[98:99], v[12:13]
	v_fma_f64 v[98:99], v[98:99], v[10:11], -v[102:103]
	v_fmac_f64_e32 v[12:13], v[100:101], v[10:11]
	v_add_f64 v[2:3], v[2:3], v[98:99]
	v_add_f64 v[4:5], v[4:5], v[12:13]
	s_andn2_b64 exec, exec, s[0:1]
	s_cbranch_execnz .LBB27_112
; %bb.113:
	s_or_b64 exec, exec, s[0:1]
.LBB27_114:
	s_or_b64 exec, exec, s[8:9]
	v_mov_b32_e32 v6, 0
	ds_read_b128 v[10:13], v6 offset:208
	s_waitcnt lgkmcnt(0)
	v_mul_f64 v[6:7], v[4:5], v[12:13]
	v_mul_f64 v[100:101], v[2:3], v[12:13]
	v_fma_f64 v[98:99], v[2:3], v[10:11], -v[6:7]
	v_fmac_f64_e32 v[100:101], v[4:5], v[10:11]
	scratch_store_dwordx4 off, v[98:101], off offset:208
.LBB27_115:
	;; [unrolled: 63-line block ×14, first 2 shown]
	s_or_b64 exec, exec, s[2:3]
	scratch_load_dwordx4 v[2:5], off, off
	v_cmp_ne_u32_e32 vcc, 0, v0
	s_mov_b64 s[2:3], 0
	s_mov_b64 s[4:5], 0
                                        ; implicit-def: $vgpr6_vgpr7
                                        ; implicit-def: $vgpr10
	s_waitcnt vmcnt(0)
	ds_write_b128 v9, v[2:5]
	s_waitcnt lgkmcnt(0)
	; wave barrier
	s_waitcnt lgkmcnt(0)
	s_and_saveexec_b64 s[8:9], vcc
	s_cbranch_execz .LBB27_219
; %bb.212:
	ds_read_b128 v[2:5], v9
	s_andn2_b64 vcc, exec, s[6:7]
	s_cbranch_vccnz .LBB27_214
; %bb.213:
	scratch_load_dwordx4 v[10:13], v8, off
	s_waitcnt vmcnt(0) lgkmcnt(0)
	v_mul_f64 v[6:7], v[4:5], v[12:13]
	v_mul_f64 v[12:13], v[2:3], v[12:13]
	v_fmac_f64_e32 v[12:13], v[4:5], v[10:11]
	v_fma_f64 v[2:3], v[2:3], v[10:11], -v[6:7]
	v_mov_b64_e32 v[4:5], v[12:13]
.LBB27_214:
	s_and_saveexec_b64 s[4:5], s[0:1]
	s_cbranch_execz .LBB27_218
; %bb.215:
	v_mov_b32_e32 v7, 0
	v_add_u32_e32 v6, -1, v0
	v_add_u32_e32 v7, 24, v7
	s_movk_i32 s10, 0x1d0
	s_mov_b64 s[0:1], 0
.LBB27_216:                             ; =>This Inner Loop Header: Depth=1
	v_add_u32_e32 v10, -8, v7
	scratch_load_dwordx4 v[10:13], v10, off
	v_mov_b32_e32 v97, s10
	ds_read_b128 v[98:101], v97
	v_add_u32_e32 v6, -1, v6
	s_add_i32 s10, s10, 16
	v_cmp_eq_u32_e32 vcc, 0, v6
	v_add_u32_e32 v7, 16, v7
	s_or_b64 s[0:1], vcc, s[0:1]
	s_waitcnt vmcnt(0) lgkmcnt(0)
	v_mul_f64 v[102:103], v[100:101], v[12:13]
	v_mul_f64 v[12:13], v[98:99], v[12:13]
	v_fma_f64 v[98:99], v[98:99], v[10:11], -v[102:103]
	v_fmac_f64_e32 v[12:13], v[100:101], v[10:11]
	v_add_f64 v[2:3], v[2:3], v[98:99]
	v_add_f64 v[4:5], v[4:5], v[12:13]
	s_andn2_b64 exec, exec, s[0:1]
	s_cbranch_execnz .LBB27_216
; %bb.217:
	s_or_b64 exec, exec, s[0:1]
.LBB27_218:
	s_or_b64 exec, exec, s[4:5]
	v_mov_b32_e32 v6, 0
	ds_read_b128 v[98:101], v6
	v_mov_b32_e32 v6, 0
	v_or_b32_e32 v10, 8, v6
	s_mov_b64 s[4:5], exec
	s_waitcnt lgkmcnt(0)
	v_mul_f64 v[12:13], v[4:5], v[100:101]
	v_mul_f64 v[6:7], v[2:3], v[100:101]
	v_fma_f64 v[2:3], v[2:3], v[98:99], -v[12:13]
	v_fmac_f64_e32 v[6:7], v[4:5], v[98:99]
	scratch_store_dwordx2 off, v[2:3], off
.LBB27_219:
	s_or_b64 exec, exec, s[8:9]
	s_and_b64 vcc, exec, s[2:3]
	s_cbranch_vccnz .LBB27_221
	s_branch .LBB27_432
.LBB27_220:
	s_mov_b64 s[4:5], 0
                                        ; implicit-def: $vgpr6_vgpr7
                                        ; implicit-def: $vgpr10
	s_cbranch_execz .LBB27_432
.LBB27_221:
	scratch_load_dwordx4 v[2:5], v88, off
	v_cndmask_b32_e64 v6, 0, 1, s[6:7]
	v_cmp_eq_u32_e64 s[2:3], 0, v0
	v_cmp_ne_u32_e64 s[0:1], 1, v6
	s_waitcnt vmcnt(0)
	ds_write_b128 v9, v[2:5]
	s_waitcnt lgkmcnt(0)
	; wave barrier
	s_waitcnt lgkmcnt(0)
	s_and_saveexec_b64 s[6:7], s[2:3]
	s_cbranch_execz .LBB27_225
; %bb.222:
	ds_read_b128 v[2:5], v9
	s_and_b64 vcc, exec, s[0:1]
	s_cbranch_vccnz .LBB27_224
; %bb.223:
	scratch_load_dwordx4 v[10:13], v8, off
	s_waitcnt vmcnt(0) lgkmcnt(0)
	v_mul_f64 v[6:7], v[4:5], v[12:13]
	v_mul_f64 v[12:13], v[2:3], v[12:13]
	v_fmac_f64_e32 v[12:13], v[4:5], v[10:11]
	v_fma_f64 v[2:3], v[2:3], v[10:11], -v[6:7]
	v_mov_b64_e32 v[4:5], v[12:13]
.LBB27_224:
	v_mov_b32_e32 v6, 0
	ds_read_b128 v[10:13], v6 offset:16
	s_waitcnt lgkmcnt(0)
	v_mul_f64 v[6:7], v[4:5], v[12:13]
	v_mul_f64 v[100:101], v[2:3], v[12:13]
	v_fma_f64 v[98:99], v[2:3], v[10:11], -v[6:7]
	v_fmac_f64_e32 v[100:101], v[4:5], v[10:11]
	scratch_store_dwordx4 off, v[98:101], off offset:16
.LBB27_225:
	s_or_b64 exec, exec, s[6:7]
	scratch_load_dwordx4 v[2:5], v91, off
	v_cmp_gt_u32_e32 vcc, 2, v0
	s_waitcnt vmcnt(0)
	ds_write_b128 v9, v[2:5]
	s_waitcnt lgkmcnt(0)
	; wave barrier
	s_waitcnt lgkmcnt(0)
	s_and_saveexec_b64 s[6:7], vcc
	s_cbranch_execz .LBB27_231
; %bb.226:
	ds_read_b128 v[2:5], v9
	s_and_b64 vcc, exec, s[0:1]
	s_cbranch_vccnz .LBB27_228
; %bb.227:
	scratch_load_dwordx4 v[10:13], v8, off
	s_waitcnt vmcnt(0) lgkmcnt(0)
	v_mul_f64 v[6:7], v[4:5], v[12:13]
	v_mul_f64 v[12:13], v[2:3], v[12:13]
	v_fmac_f64_e32 v[12:13], v[4:5], v[10:11]
	v_fma_f64 v[2:3], v[2:3], v[10:11], -v[6:7]
	v_mov_b64_e32 v[4:5], v[12:13]
.LBB27_228:
	s_and_saveexec_b64 s[8:9], s[2:3]
	s_cbranch_execz .LBB27_230
; %bb.229:
	scratch_load_dwordx4 v[10:13], v8, off offset:16
	ds_read_b128 v[98:101], v9 offset:16
	s_waitcnt vmcnt(0) lgkmcnt(0)
	v_mul_f64 v[6:7], v[100:101], v[12:13]
	v_mul_f64 v[12:13], v[98:99], v[12:13]
	v_fma_f64 v[6:7], v[98:99], v[10:11], -v[6:7]
	v_fmac_f64_e32 v[12:13], v[100:101], v[10:11]
	v_add_f64 v[2:3], v[2:3], v[6:7]
	v_add_f64 v[4:5], v[4:5], v[12:13]
.LBB27_230:
	s_or_b64 exec, exec, s[8:9]
	v_mov_b32_e32 v6, 0
	ds_read_b128 v[10:13], v6 offset:32
	s_waitcnt lgkmcnt(0)
	v_mul_f64 v[6:7], v[4:5], v[12:13]
	v_mul_f64 v[100:101], v[2:3], v[12:13]
	v_fma_f64 v[98:99], v[2:3], v[10:11], -v[6:7]
	v_fmac_f64_e32 v[100:101], v[4:5], v[10:11]
	scratch_store_dwordx4 off, v[98:101], off offset:32
.LBB27_231:
	s_or_b64 exec, exec, s[6:7]
	scratch_load_dwordx4 v[2:5], v87, off
	v_cmp_gt_u32_e32 vcc, 3, v0
	s_waitcnt vmcnt(0)
	ds_write_b128 v9, v[2:5]
	s_waitcnt lgkmcnt(0)
	; wave barrier
	s_waitcnt lgkmcnt(0)
	s_and_saveexec_b64 s[6:7], vcc
	s_cbranch_execz .LBB27_239
; %bb.232:
	ds_read_b128 v[2:5], v9
	s_and_b64 vcc, exec, s[0:1]
	s_cbranch_vccnz .LBB27_234
; %bb.233:
	scratch_load_dwordx4 v[10:13], v8, off
	s_waitcnt vmcnt(0) lgkmcnt(0)
	v_mul_f64 v[6:7], v[4:5], v[12:13]
	v_mul_f64 v[12:13], v[2:3], v[12:13]
	v_fmac_f64_e32 v[12:13], v[4:5], v[10:11]
	v_fma_f64 v[2:3], v[2:3], v[10:11], -v[6:7]
	v_mov_b64_e32 v[4:5], v[12:13]
.LBB27_234:
	v_cmp_ne_u32_e32 vcc, 2, v0
	s_and_saveexec_b64 s[8:9], vcc
	s_cbranch_execz .LBB27_238
; %bb.235:
	scratch_load_dwordx4 v[10:13], v8, off offset:16
	ds_read_b128 v[98:101], v9 offset:16
	s_waitcnt vmcnt(0) lgkmcnt(0)
	v_mul_f64 v[6:7], v[100:101], v[12:13]
	v_mul_f64 v[12:13], v[98:99], v[12:13]
	v_fma_f64 v[6:7], v[98:99], v[10:11], -v[6:7]
	v_fmac_f64_e32 v[12:13], v[100:101], v[10:11]
	v_add_f64 v[2:3], v[2:3], v[6:7]
	v_add_f64 v[4:5], v[4:5], v[12:13]
	s_and_saveexec_b64 s[10:11], s[2:3]
	s_cbranch_execz .LBB27_237
; %bb.236:
	scratch_load_dwordx4 v[10:13], off, off offset:32
	v_mov_b32_e32 v6, 0
	ds_read_b128 v[98:101], v6 offset:480
	s_waitcnt vmcnt(0) lgkmcnt(0)
	v_mul_f64 v[6:7], v[98:99], v[12:13]
	v_mul_f64 v[12:13], v[100:101], v[12:13]
	v_fmac_f64_e32 v[6:7], v[100:101], v[10:11]
	v_fma_f64 v[10:11], v[98:99], v[10:11], -v[12:13]
	v_add_f64 v[4:5], v[4:5], v[6:7]
	v_add_f64 v[2:3], v[2:3], v[10:11]
.LBB27_237:
	s_or_b64 exec, exec, s[10:11]
.LBB27_238:
	s_or_b64 exec, exec, s[8:9]
	v_mov_b32_e32 v6, 0
	ds_read_b128 v[10:13], v6 offset:48
	s_waitcnt lgkmcnt(0)
	v_mul_f64 v[6:7], v[4:5], v[12:13]
	v_mul_f64 v[100:101], v[2:3], v[12:13]
	v_fma_f64 v[98:99], v[2:3], v[10:11], -v[6:7]
	v_fmac_f64_e32 v[100:101], v[4:5], v[10:11]
	scratch_store_dwordx4 off, v[98:101], off offset:48
.LBB27_239:
	s_or_b64 exec, exec, s[6:7]
	scratch_load_dwordx4 v[2:5], v90, off
	v_cmp_gt_u32_e32 vcc, 4, v0
	s_waitcnt vmcnt(0)
	ds_write_b128 v9, v[2:5]
	s_waitcnt lgkmcnt(0)
	; wave barrier
	s_waitcnt lgkmcnt(0)
	s_and_saveexec_b64 s[2:3], vcc
	s_cbranch_execz .LBB27_247
; %bb.240:
	ds_read_b128 v[2:5], v9
	s_and_b64 vcc, exec, s[0:1]
	s_cbranch_vccnz .LBB27_242
; %bb.241:
	scratch_load_dwordx4 v[10:13], v8, off
	s_waitcnt vmcnt(0) lgkmcnt(0)
	v_mul_f64 v[6:7], v[4:5], v[12:13]
	v_mul_f64 v[12:13], v[2:3], v[12:13]
	v_fmac_f64_e32 v[12:13], v[4:5], v[10:11]
	v_fma_f64 v[2:3], v[2:3], v[10:11], -v[6:7]
	v_mov_b64_e32 v[4:5], v[12:13]
.LBB27_242:
	v_cmp_ne_u32_e32 vcc, 3, v0
	s_and_saveexec_b64 s[6:7], vcc
	s_cbranch_execz .LBB27_246
; %bb.243:
	v_mov_b32_e32 v7, 0
	v_add_u32_e32 v6, 0x1d0, v52
	v_add3_u32 v7, v52, v7, 24
	s_mov_b64 s[8:9], 0
	v_mov_b32_e32 v10, v0
.LBB27_244:                             ; =>This Inner Loop Header: Depth=1
	v_add_u32_e32 v11, -8, v7
	scratch_load_dwordx4 v[98:101], v11, off
	ds_read_b128 v[102:105], v6
	v_add_u32_e32 v10, 1, v10
	v_cmp_lt_u32_e32 vcc, 2, v10
	v_add_u32_e32 v6, 16, v6
	v_add_u32_e32 v7, 16, v7
	s_or_b64 s[8:9], vcc, s[8:9]
	s_waitcnt vmcnt(0) lgkmcnt(0)
	v_mul_f64 v[12:13], v[104:105], v[100:101]
	v_mul_f64 v[100:101], v[102:103], v[100:101]
	v_fma_f64 v[12:13], v[102:103], v[98:99], -v[12:13]
	v_fmac_f64_e32 v[100:101], v[104:105], v[98:99]
	v_add_f64 v[2:3], v[2:3], v[12:13]
	v_add_f64 v[4:5], v[4:5], v[100:101]
	s_andn2_b64 exec, exec, s[8:9]
	s_cbranch_execnz .LBB27_244
; %bb.245:
	s_or_b64 exec, exec, s[8:9]
.LBB27_246:
	s_or_b64 exec, exec, s[6:7]
	v_mov_b32_e32 v6, 0
	ds_read_b128 v[10:13], v6 offset:64
	s_waitcnt lgkmcnt(0)
	v_mul_f64 v[6:7], v[4:5], v[12:13]
	v_mul_f64 v[100:101], v[2:3], v[12:13]
	v_fma_f64 v[98:99], v[2:3], v[10:11], -v[6:7]
	v_fmac_f64_e32 v[100:101], v[4:5], v[10:11]
	scratch_store_dwordx4 off, v[98:101], off offset:64
.LBB27_247:
	s_or_b64 exec, exec, s[2:3]
	scratch_load_dwordx4 v[2:5], v86, off
	v_cmp_gt_u32_e32 vcc, 5, v0
	s_waitcnt vmcnt(0)
	ds_write_b128 v9, v[2:5]
	s_waitcnt lgkmcnt(0)
	; wave barrier
	s_waitcnt lgkmcnt(0)
	s_and_saveexec_b64 s[2:3], vcc
	s_cbranch_execz .LBB27_255
; %bb.248:
	ds_read_b128 v[2:5], v9
	s_and_b64 vcc, exec, s[0:1]
	s_cbranch_vccnz .LBB27_250
; %bb.249:
	scratch_load_dwordx4 v[10:13], v8, off
	s_waitcnt vmcnt(0) lgkmcnt(0)
	v_mul_f64 v[6:7], v[4:5], v[12:13]
	v_mul_f64 v[12:13], v[2:3], v[12:13]
	v_fmac_f64_e32 v[12:13], v[4:5], v[10:11]
	v_fma_f64 v[2:3], v[2:3], v[10:11], -v[6:7]
	v_mov_b64_e32 v[4:5], v[12:13]
.LBB27_250:
	v_cmp_ne_u32_e32 vcc, 4, v0
	s_and_saveexec_b64 s[6:7], vcc
	s_cbranch_execz .LBB27_254
; %bb.251:
	v_mov_b32_e32 v7, 0
	v_add_u32_e32 v6, 0x1d0, v52
	v_add3_u32 v7, v52, v7, 24
	s_mov_b64 s[8:9], 0
	v_mov_b32_e32 v10, v0
.LBB27_252:                             ; =>This Inner Loop Header: Depth=1
	v_add_u32_e32 v11, -8, v7
	scratch_load_dwordx4 v[98:101], v11, off
	ds_read_b128 v[102:105], v6
	v_add_u32_e32 v10, 1, v10
	v_cmp_lt_u32_e32 vcc, 3, v10
	v_add_u32_e32 v6, 16, v6
	v_add_u32_e32 v7, 16, v7
	s_or_b64 s[8:9], vcc, s[8:9]
	s_waitcnt vmcnt(0) lgkmcnt(0)
	v_mul_f64 v[12:13], v[104:105], v[100:101]
	v_mul_f64 v[100:101], v[102:103], v[100:101]
	v_fma_f64 v[12:13], v[102:103], v[98:99], -v[12:13]
	v_fmac_f64_e32 v[100:101], v[104:105], v[98:99]
	v_add_f64 v[2:3], v[2:3], v[12:13]
	v_add_f64 v[4:5], v[4:5], v[100:101]
	s_andn2_b64 exec, exec, s[8:9]
	s_cbranch_execnz .LBB27_252
; %bb.253:
	s_or_b64 exec, exec, s[8:9]
.LBB27_254:
	s_or_b64 exec, exec, s[6:7]
	v_mov_b32_e32 v6, 0
	ds_read_b128 v[10:13], v6 offset:80
	s_waitcnt lgkmcnt(0)
	v_mul_f64 v[6:7], v[4:5], v[12:13]
	v_mul_f64 v[100:101], v[2:3], v[12:13]
	v_fma_f64 v[98:99], v[2:3], v[10:11], -v[6:7]
	v_fmac_f64_e32 v[100:101], v[4:5], v[10:11]
	scratch_store_dwordx4 off, v[98:101], off offset:80
.LBB27_255:
	;; [unrolled: 63-line block ×22, first 2 shown]
	s_or_b64 exec, exec, s[2:3]
	scratch_load_dwordx4 v[2:5], v53, off
	v_cmp_gt_u32_e64 s[2:3], 26, v0
	s_waitcnt vmcnt(0)
	ds_write_b128 v9, v[2:5]
	s_waitcnt lgkmcnt(0)
	; wave barrier
	s_waitcnt lgkmcnt(0)
	s_and_saveexec_b64 s[6:7], s[2:3]
	s_cbranch_execz .LBB27_423
; %bb.416:
	ds_read_b128 v[2:5], v9
	s_and_b64 vcc, exec, s[0:1]
	s_cbranch_vccnz .LBB27_418
; %bb.417:
	scratch_load_dwordx4 v[10:13], v8, off
	s_waitcnt vmcnt(0) lgkmcnt(0)
	v_mul_f64 v[6:7], v[4:5], v[12:13]
	v_mul_f64 v[12:13], v[2:3], v[12:13]
	v_fmac_f64_e32 v[12:13], v[4:5], v[10:11]
	v_fma_f64 v[2:3], v[2:3], v[10:11], -v[6:7]
	v_mov_b64_e32 v[4:5], v[12:13]
.LBB27_418:
	v_cmp_ne_u32_e32 vcc, 25, v0
	s_and_saveexec_b64 s[8:9], vcc
	s_cbranch_execz .LBB27_422
; %bb.419:
	v_mov_b32_e32 v7, 0
	v_add_u32_e32 v6, 0x1d0, v52
	v_add3_u32 v7, v52, v7, 24
	s_mov_b64 s[10:11], 0
	v_mov_b32_e32 v10, v0
.LBB27_420:                             ; =>This Inner Loop Header: Depth=1
	v_add_u32_e32 v11, -8, v7
	scratch_load_dwordx4 v[98:101], v11, off
	ds_read_b128 v[102:105], v6
	v_add_u32_e32 v10, 1, v10
	v_cmp_lt_u32_e32 vcc, 24, v10
	v_add_u32_e32 v6, 16, v6
	v_add_u32_e32 v7, 16, v7
	s_or_b64 s[10:11], vcc, s[10:11]
	s_waitcnt vmcnt(0) lgkmcnt(0)
	v_mul_f64 v[12:13], v[104:105], v[100:101]
	v_mul_f64 v[100:101], v[102:103], v[100:101]
	v_fma_f64 v[12:13], v[102:103], v[98:99], -v[12:13]
	v_fmac_f64_e32 v[100:101], v[104:105], v[98:99]
	v_add_f64 v[2:3], v[2:3], v[12:13]
	v_add_f64 v[4:5], v[4:5], v[100:101]
	s_andn2_b64 exec, exec, s[10:11]
	s_cbranch_execnz .LBB27_420
; %bb.421:
	s_or_b64 exec, exec, s[10:11]
.LBB27_422:
	s_or_b64 exec, exec, s[8:9]
	v_mov_b32_e32 v6, 0
	ds_read_b128 v[10:13], v6 offset:416
	s_waitcnt lgkmcnt(0)
	v_mul_f64 v[6:7], v[4:5], v[12:13]
	v_mul_f64 v[100:101], v[2:3], v[12:13]
	v_fma_f64 v[98:99], v[2:3], v[10:11], -v[6:7]
	v_fmac_f64_e32 v[100:101], v[4:5], v[10:11]
	scratch_store_dwordx4 off, v[98:101], off offset:416
.LBB27_423:
	s_or_b64 exec, exec, s[6:7]
	scratch_load_dwordx4 v[2:5], v1, off
	v_cmp_ne_u32_e32 vcc, 27, v0
                                        ; implicit-def: $vgpr6_vgpr7
                                        ; implicit-def: $vgpr10
	s_waitcnt vmcnt(0)
	ds_write_b128 v9, v[2:5]
	s_waitcnt lgkmcnt(0)
	; wave barrier
	s_waitcnt lgkmcnt(0)
	s_and_saveexec_b64 s[6:7], vcc
	s_cbranch_execz .LBB27_431
; %bb.424:
	ds_read_b128 v[2:5], v9
	s_and_b64 vcc, exec, s[0:1]
	s_cbranch_vccnz .LBB27_426
; %bb.425:
	scratch_load_dwordx4 v[6:9], v8, off
	s_waitcnt vmcnt(0) lgkmcnt(0)
	v_mul_f64 v[10:11], v[4:5], v[8:9]
	v_mul_f64 v[8:9], v[2:3], v[8:9]
	v_fmac_f64_e32 v[8:9], v[4:5], v[6:7]
	v_fma_f64 v[2:3], v[2:3], v[6:7], -v[10:11]
	v_mov_b64_e32 v[4:5], v[8:9]
.LBB27_426:
	s_and_saveexec_b64 s[0:1], s[2:3]
	s_cbranch_execz .LBB27_430
; %bb.427:
	v_mov_b32_e32 v7, 0
	v_add_u32_e32 v6, 0x1d0, v52
	v_add3_u32 v7, v52, v7, 24
	s_mov_b64 s[2:3], 0
.LBB27_428:                             ; =>This Inner Loop Header: Depth=1
	v_add_u32_e32 v8, -8, v7
	scratch_load_dwordx4 v[8:11], v8, off
	ds_read_b128 v[98:101], v6
	v_add_u32_e32 v0, 1, v0
	v_cmp_lt_u32_e32 vcc, 25, v0
	v_add_u32_e32 v6, 16, v6
	v_add_u32_e32 v7, 16, v7
	s_or_b64 s[2:3], vcc, s[2:3]
	s_waitcnt vmcnt(0) lgkmcnt(0)
	v_mul_f64 v[12:13], v[100:101], v[10:11]
	v_mul_f64 v[10:11], v[98:99], v[10:11]
	v_fma_f64 v[12:13], v[98:99], v[8:9], -v[12:13]
	v_fmac_f64_e32 v[10:11], v[100:101], v[8:9]
	v_add_f64 v[2:3], v[2:3], v[12:13]
	v_add_f64 v[4:5], v[4:5], v[10:11]
	s_andn2_b64 exec, exec, s[2:3]
	s_cbranch_execnz .LBB27_428
; %bb.429:
	s_or_b64 exec, exec, s[2:3]
.LBB27_430:
	s_or_b64 exec, exec, s[0:1]
	v_mov_b32_e32 v0, 0
	ds_read_b128 v[98:101], v0 offset:432
	v_mov_b32_e32 v0, 0
	v_add_u32_e32 v10, 0x1b8, v0
	s_or_b64 s[4:5], s[4:5], exec
	s_waitcnt lgkmcnt(0)
	v_mul_f64 v[8:9], v[4:5], v[100:101]
	v_mul_f64 v[6:7], v[2:3], v[100:101]
	v_fma_f64 v[2:3], v[2:3], v[98:99], -v[8:9]
	v_fmac_f64_e32 v[6:7], v[4:5], v[98:99]
	scratch_store_dwordx2 off, v[2:3], off offset:432
.LBB27_431:
	s_or_b64 exec, exec, s[6:7]
.LBB27_432:
	s_and_saveexec_b64 s[0:1], s[4:5]
	s_cbranch_execz .LBB27_434
; %bb.433:
	scratch_store_dwordx2 v10, v[6:7], off
.LBB27_434:
	s_or_b64 exec, exec, s[0:1]
	scratch_load_dwordx4 v[2:5], off, off
	scratch_load_dwordx4 v[6:9], v88, off
	scratch_load_dwordx4 v[10:13], v91, off
	;; [unrolled: 1-line block ×10, first 2 shown]
                                        ; kill: killed $vgpr96
                                        ; kill: killed $vgpr91
                                        ; kill: killed $vgpr95
                                        ; kill: killed $vgpr90
                                        ; kill: killed $vgpr94
                                        ; kill: killed $vgpr88
                                        ; kill: killed $vgpr93
                                        ; kill: killed $vgpr87
                                        ; kill: killed $vgpr92
                                        ; kill: killed $vgpr86
	s_nop 0
	scratch_load_dwordx4 v[86:89], v89, off
	s_waitcnt vmcnt(11)
	global_store_dwordx4 v[22:23], v[2:5], off
	scratch_load_dwordx4 v[2:5], v84, off
	s_nop 0
	scratch_load_dwordx4 v[90:93], v85, off
	s_waitcnt vmcnt(13)
	global_store_dwordx4 v[24:25], v[6:9], off
	scratch_load_dwordx4 v[6:9], v83, off
	;; [unrolled: 5-line block ×5, first 2 shown]
	scratch_load_dwordx4 v[98:101], v77, off
	s_waitcnt vmcnt(21)
	global_store_dwordx4 v[32:33], v[106:109], off
	scratch_load_dwordx4 v[30:33], v74, off
	s_nop 0
	scratch_load_dwordx4 v[102:105], v75, off
	s_waitcnt vmcnt(23)
	global_store_dwordx4 v[34:35], v[110:113], off
	scratch_load_dwordx4 v[74:77], v72, off
	scratch_load_dwordx4 v[106:109], v73, off
	s_waitcnt vmcnt(25)
	global_store_dwordx4 v[36:37], v[114:117], off
	scratch_load_dwordx4 v[34:37], v53, off
	s_nop 0
	scratch_load_dwordx4 v[110:113], v1, off
	s_waitcnt vmcnt(27)
	global_store_dwordx4 v[38:39], v[118:121], off
	s_waitcnt vmcnt(27)
	global_store_dwordx4 v[40:41], v[122:125], off
	;; [unrolled: 2-line block ×20, first 2 shown]
.LBB27_435:
	s_endpgm
	.section	.rodata,"a",@progbits
	.p2align	6, 0x0
	.amdhsa_kernel _ZN9rocsolver6v33100L18trti2_kernel_smallILi28E19rocblas_complex_numIdEPS3_EEv13rocblas_fill_17rocblas_diagonal_T1_iil
		.amdhsa_group_segment_fixed_size 896
		.amdhsa_private_segment_fixed_size 464
		.amdhsa_kernarg_size 32
		.amdhsa_user_sgpr_count 2
		.amdhsa_user_sgpr_dispatch_ptr 0
		.amdhsa_user_sgpr_queue_ptr 0
		.amdhsa_user_sgpr_kernarg_segment_ptr 1
		.amdhsa_user_sgpr_dispatch_id 0
		.amdhsa_user_sgpr_kernarg_preload_length 0
		.amdhsa_user_sgpr_kernarg_preload_offset 0
		.amdhsa_user_sgpr_private_segment_size 0
		.amdhsa_uses_dynamic_stack 0
		.amdhsa_enable_private_segment 1
		.amdhsa_system_sgpr_workgroup_id_x 1
		.amdhsa_system_sgpr_workgroup_id_y 0
		.amdhsa_system_sgpr_workgroup_id_z 0
		.amdhsa_system_sgpr_workgroup_info 0
		.amdhsa_system_vgpr_workitem_id 0
		.amdhsa_next_free_vgpr 130
		.amdhsa_next_free_sgpr 12
		.amdhsa_accum_offset 132
		.amdhsa_reserve_vcc 1
		.amdhsa_float_round_mode_32 0
		.amdhsa_float_round_mode_16_64 0
		.amdhsa_float_denorm_mode_32 3
		.amdhsa_float_denorm_mode_16_64 3
		.amdhsa_dx10_clamp 1
		.amdhsa_ieee_mode 1
		.amdhsa_fp16_overflow 0
		.amdhsa_tg_split 0
		.amdhsa_exception_fp_ieee_invalid_op 0
		.amdhsa_exception_fp_denorm_src 0
		.amdhsa_exception_fp_ieee_div_zero 0
		.amdhsa_exception_fp_ieee_overflow 0
		.amdhsa_exception_fp_ieee_underflow 0
		.amdhsa_exception_fp_ieee_inexact 0
		.amdhsa_exception_int_div_zero 0
	.end_amdhsa_kernel
	.section	.text._ZN9rocsolver6v33100L18trti2_kernel_smallILi28E19rocblas_complex_numIdEPS3_EEv13rocblas_fill_17rocblas_diagonal_T1_iil,"axG",@progbits,_ZN9rocsolver6v33100L18trti2_kernel_smallILi28E19rocblas_complex_numIdEPS3_EEv13rocblas_fill_17rocblas_diagonal_T1_iil,comdat
.Lfunc_end27:
	.size	_ZN9rocsolver6v33100L18trti2_kernel_smallILi28E19rocblas_complex_numIdEPS3_EEv13rocblas_fill_17rocblas_diagonal_T1_iil, .Lfunc_end27-_ZN9rocsolver6v33100L18trti2_kernel_smallILi28E19rocblas_complex_numIdEPS3_EEv13rocblas_fill_17rocblas_diagonal_T1_iil
                                        ; -- End function
	.section	.AMDGPU.csdata,"",@progbits
; Kernel info:
; codeLenInByte = 18320
; NumSgprs: 18
; NumVgprs: 130
; NumAgprs: 0
; TotalNumVgprs: 130
; ScratchSize: 464
; MemoryBound: 0
; FloatMode: 240
; IeeeMode: 1
; LDSByteSize: 896 bytes/workgroup (compile time only)
; SGPRBlocks: 2
; VGPRBlocks: 16
; NumSGPRsForWavesPerEU: 18
; NumVGPRsForWavesPerEU: 130
; AccumOffset: 132
; Occupancy: 3
; WaveLimiterHint : 0
; COMPUTE_PGM_RSRC2:SCRATCH_EN: 1
; COMPUTE_PGM_RSRC2:USER_SGPR: 2
; COMPUTE_PGM_RSRC2:TRAP_HANDLER: 0
; COMPUTE_PGM_RSRC2:TGID_X_EN: 1
; COMPUTE_PGM_RSRC2:TGID_Y_EN: 0
; COMPUTE_PGM_RSRC2:TGID_Z_EN: 0
; COMPUTE_PGM_RSRC2:TIDIG_COMP_CNT: 0
; COMPUTE_PGM_RSRC3_GFX90A:ACCUM_OFFSET: 32
; COMPUTE_PGM_RSRC3_GFX90A:TG_SPLIT: 0
	.section	.text._ZN9rocsolver6v33100L18trti2_kernel_smallILi29E19rocblas_complex_numIdEPS3_EEv13rocblas_fill_17rocblas_diagonal_T1_iil,"axG",@progbits,_ZN9rocsolver6v33100L18trti2_kernel_smallILi29E19rocblas_complex_numIdEPS3_EEv13rocblas_fill_17rocblas_diagonal_T1_iil,comdat
	.globl	_ZN9rocsolver6v33100L18trti2_kernel_smallILi29E19rocblas_complex_numIdEPS3_EEv13rocblas_fill_17rocblas_diagonal_T1_iil ; -- Begin function _ZN9rocsolver6v33100L18trti2_kernel_smallILi29E19rocblas_complex_numIdEPS3_EEv13rocblas_fill_17rocblas_diagonal_T1_iil
	.p2align	8
	.type	_ZN9rocsolver6v33100L18trti2_kernel_smallILi29E19rocblas_complex_numIdEPS3_EEv13rocblas_fill_17rocblas_diagonal_T1_iil,@function
_ZN9rocsolver6v33100L18trti2_kernel_smallILi29E19rocblas_complex_numIdEPS3_EEv13rocblas_fill_17rocblas_diagonal_T1_iil: ; @_ZN9rocsolver6v33100L18trti2_kernel_smallILi29E19rocblas_complex_numIdEPS3_EEv13rocblas_fill_17rocblas_diagonal_T1_iil
; %bb.0:
	v_cmp_gt_u32_e32 vcc, 29, v0
	s_and_saveexec_b64 s[4:5], vcc
	s_cbranch_execz .LBB28_451
; %bb.1:
	s_load_dwordx8 s[4:11], s[0:1], 0x0
	s_ashr_i32 s3, s2, 31
	v_lshlrev_b32_e32 v62, 4, v0
	v_mov_b32_e32 v63, 0
	s_waitcnt lgkmcnt(0)
	s_ashr_i32 s1, s8, 31
	s_mov_b32 s0, s8
	s_mul_i32 s8, s2, s11
	s_mul_hi_u32 s11, s2, s10
	s_add_i32 s8, s11, s8
	s_mul_i32 s3, s3, s10
	s_add_i32 s3, s8, s3
	s_mul_i32 s2, s2, s10
	s_lshl_b64 s[2:3], s[2:3], 4
	s_add_u32 s2, s6, s2
	s_addc_u32 s3, s7, s3
	s_lshl_b64 s[0:1], s[0:1], 4
	s_add_u32 s0, s2, s0
	s_addc_u32 s1, s3, s1
	v_lshl_add_u64 v[16:17], s[0:1], 0, v[62:63]
	s_ashr_i32 s3, s9, 31
	s_mov_b32 s2, s9
	v_lshl_add_u64 v[14:15], s[2:3], 4, v[16:17]
	s_add_i32 s2, s9, s9
	v_add_u32_e32 v20, s2, v0
	v_add_u32_e32 v22, s9, v20
	;; [unrolled: 1-line block ×6, first 2 shown]
	v_ashrrev_i32_e32 v21, 31, v20
	v_ashrrev_i32_e32 v23, 31, v22
	;; [unrolled: 1-line block ×6, first 2 shown]
	v_lshl_add_u64 v[18:19], v[20:21], 4, s[0:1]
	v_lshl_add_u64 v[20:21], v[22:23], 4, s[0:1]
	;; [unrolled: 1-line block ×6, first 2 shown]
	v_add_u32_e32 v30, s9, v30
	v_add_u32_e32 v32, s9, v30
	;; [unrolled: 1-line block ×4, first 2 shown]
	v_ashrrev_i32_e32 v33, 31, v32
	v_ashrrev_i32_e32 v37, 31, v36
	v_add_u32_e32 v38, s9, v36
	v_ashrrev_i32_e32 v31, 31, v30
	v_lshl_add_u64 v[32:33], v[32:33], 4, s[0:1]
	v_ashrrev_i32_e32 v35, 31, v34
	v_lshl_add_u64 v[36:37], v[36:37], 4, s[0:1]
	v_ashrrev_i32_e32 v39, 31, v38
	global_load_dwordx4 v[2:5], v62, s[0:1]
	global_load_dwordx4 v[6:9], v[14:15], off
	global_load_dwordx4 v[10:13], v[18:19], off
	;; [unrolled: 1-line block ×6, first 2 shown]
	v_lshl_add_u64 v[30:31], v[30:31], 4, s[0:1]
	global_load_dwordx4 v[72:75], v[28:29], off
	global_load_dwordx4 v[76:79], v[30:31], off
	v_lshl_add_u64 v[34:35], v[34:35], 4, s[0:1]
	global_load_dwordx4 v[80:83], v[32:33], off
	global_load_dwordx4 v[84:87], v[34:35], off
	v_add_u32_e32 v42, s9, v38
	v_lshl_add_u64 v[38:39], v[38:39], 4, s[0:1]
	global_load_dwordx4 v[88:91], v[36:37], off
	global_load_dwordx4 v[92:95], v[38:39], off
	v_ashrrev_i32_e32 v43, 31, v42
	v_lshl_add_u64 v[40:41], v[42:43], 4, s[0:1]
	global_load_dwordx4 v[96:99], v[40:41], off
	v_add_u32_e32 v42, s9, v42
	v_add_u32_e32 v44, s9, v42
	;; [unrolled: 1-line block ×4, first 2 shown]
	v_ashrrev_i32_e32 v43, 31, v42
	v_ashrrev_i32_e32 v45, 31, v44
	;; [unrolled: 1-line block ×3, first 2 shown]
	v_add_u32_e32 v50, s9, v48
	v_lshl_add_u64 v[42:43], v[42:43], 4, s[0:1]
	global_load_dwordx4 v[100:103], v[42:43], off
	v_lshl_add_u64 v[44:45], v[44:45], 4, s[0:1]
	v_ashrrev_i32_e32 v47, 31, v46
	v_lshl_add_u64 v[48:49], v[48:49], 4, s[0:1]
	v_ashrrev_i32_e32 v51, 31, v50
	v_add_u32_e32 v60, s9, v50
	v_lshl_add_u64 v[46:47], v[46:47], 4, s[0:1]
	global_load_dwordx4 v[104:107], v[44:45], off
	global_load_dwordx4 v[108:111], v[46:47], off
	v_lshl_add_u64 v[50:51], v[50:51], 4, s[0:1]
	global_load_dwordx4 v[112:115], v[48:49], off
	global_load_dwordx4 v[116:119], v[50:51], off
	v_ashrrev_i32_e32 v61, 31, v60
	s_cmpk_lg_i32 s5, 0x84
	s_cselect_b64 s[6:7], -1, 0
	s_cmpk_eq_i32 s5, 0x84
	s_waitcnt vmcnt(18)
	scratch_store_dwordx4 off, v[2:5], off
	s_waitcnt vmcnt(18)
	scratch_store_dwordx4 off, v[6:9], off offset:16
	s_waitcnt vmcnt(18)
	scratch_store_dwordx4 off, v[10:13], off offset:32
	;; [unrolled: 2-line block ×13, first 2 shown]
	v_add_u32_e32 v10, s9, v60
	v_ashrrev_i32_e32 v11, 31, v10
	v_lshl_add_u64 v[54:55], v[10:11], 4, s[0:1]
	v_add_u32_e32 v10, s9, v10
	v_lshl_add_u64 v[52:53], v[60:61], 4, s[0:1]
	v_add_u32_e32 v60, s9, v10
	v_add_u32_e32 v64, s9, v60
	;; [unrolled: 1-line block ×6, first 2 shown]
	v_ashrrev_i32_e32 v61, 31, v60
	v_ashrrev_i32_e32 v65, 31, v64
	;; [unrolled: 1-line block ×7, first 2 shown]
	v_lshl_add_u64 v[58:59], v[60:61], 4, s[0:1]
	v_lshl_add_u64 v[60:61], v[64:65], 4, s[0:1]
	v_lshl_add_u64 v[64:65], v[66:67], 4, s[0:1]
	v_lshl_add_u64 v[66:67], v[68:69], 4, s[0:1]
	v_lshl_add_u64 v[68:69], v[70:71], 4, s[0:1]
	v_lshl_add_u64 v[70:71], v[72:73], 4, s[0:1]
	v_add_u32_e32 v72, s9, v72
	v_lshl_add_u64 v[56:57], v[10:11], 4, s[0:1]
	v_ashrrev_i32_e32 v73, 31, v72
	global_load_dwordx4 v[2:5], v[52:53], off
	global_load_dwordx4 v[6:9], v[54:55], off
	;; [unrolled: 1-line block ×8, first 2 shown]
	v_lshl_add_u64 v[72:73], v[72:73], 4, s[0:1]
	global_load_dwordx4 v[94:97], v[70:71], off
	global_load_dwordx4 v[120:123], v[72:73], off
	s_waitcnt vmcnt(28)
	scratch_store_dwordx4 off, v[100:103], off offset:224
	s_waitcnt vmcnt(28)
	scratch_store_dwordx4 off, v[104:107], off offset:240
	;; [unrolled: 2-line block ×15, first 2 shown]
	v_mov_b32_e32 v12, 0
	s_cbranch_scc1 .LBB28_7
; %bb.2:
	scratch_load_dwordx4 v[2:5], v62, off
                                        ; implicit-def: $vgpr10_vgpr11
	s_waitcnt vmcnt(0)
	v_xor_b32_e32 v1, 0x80000000, v3
	v_cmp_gt_f64_e32 vcc, 0, v[2:3]
	v_xor_b32_e32 v8, 0x80000000, v5
	v_mov_b32_e32 v6, v2
	v_cndmask_b32_e32 v7, v3, v1, vcc
	v_cmp_gt_f64_e32 vcc, 0, v[4:5]
	s_nop 1
	v_cndmask_b32_e32 v9, v5, v8, vcc
	v_mov_b32_e32 v8, v4
	v_cmp_ngt_f64_e32 vcc, v[6:7], v[8:9]
                                        ; implicit-def: $vgpr6_vgpr7
	s_and_saveexec_b64 s[0:1], vcc
	s_xor_b64 s[0:1], exec, s[0:1]
	s_cbranch_execz .LBB28_4
; %bb.3:
	v_div_scale_f64 v[6:7], s[2:3], v[4:5], v[4:5], v[2:3]
	v_rcp_f64_e32 v[8:9], v[6:7]
	v_div_scale_f64 v[10:11], vcc, v[2:3], v[4:5], v[2:3]
	v_fma_f64 v[74:75], -v[6:7], v[8:9], 1.0
	v_fmac_f64_e32 v[8:9], v[8:9], v[74:75]
	v_fma_f64 v[74:75], -v[6:7], v[8:9], 1.0
	v_fmac_f64_e32 v[8:9], v[8:9], v[74:75]
	v_mul_f64 v[74:75], v[10:11], v[8:9]
	v_fma_f64 v[6:7], -v[6:7], v[74:75], v[10:11]
	v_div_fmas_f64 v[6:7], v[6:7], v[8:9], v[74:75]
	v_div_fixup_f64 v[6:7], v[6:7], v[4:5], v[2:3]
	v_fmac_f64_e32 v[4:5], v[2:3], v[6:7]
	v_div_scale_f64 v[2:3], s[2:3], v[4:5], v[4:5], 1.0
	v_rcp_f64_e32 v[8:9], v[2:3]
	s_nop 0
	v_fma_f64 v[10:11], -v[2:3], v[8:9], 1.0
	v_fmac_f64_e32 v[8:9], v[8:9], v[10:11]
	v_fma_f64 v[10:11], -v[2:3], v[8:9], 1.0
	v_fmac_f64_e32 v[8:9], v[8:9], v[10:11]
	v_div_scale_f64 v[10:11], vcc, 1.0, v[4:5], 1.0
	v_mul_f64 v[74:75], v[10:11], v[8:9]
	v_fma_f64 v[2:3], -v[2:3], v[74:75], v[10:11]
	s_nop 1
	v_div_fmas_f64 v[2:3], v[2:3], v[8:9], v[74:75]
	v_div_fixup_f64 v[8:9], v[2:3], v[4:5], 1.0
	v_mul_f64 v[6:7], v[6:7], v[8:9]
	v_xor_b32_e32 v9, 0x80000000, v9
	v_xor_b32_e32 v11, 0x80000000, v7
	v_mov_b32_e32 v10, v6
                                        ; implicit-def: $vgpr2_vgpr3
.LBB28_4:
	s_or_saveexec_b64 s[0:1], s[0:1]
	v_add_u32_e32 v1, 0, v62
	s_xor_b64 exec, exec, s[0:1]
	s_cbranch_execz .LBB28_6
; %bb.5:
	v_div_scale_f64 v[6:7], s[2:3], v[2:3], v[2:3], v[4:5]
	v_rcp_f64_e32 v[8:9], v[6:7]
	v_div_scale_f64 v[10:11], vcc, v[4:5], v[2:3], v[4:5]
	v_fma_f64 v[74:75], -v[6:7], v[8:9], 1.0
	v_fmac_f64_e32 v[8:9], v[8:9], v[74:75]
	v_fma_f64 v[74:75], -v[6:7], v[8:9], 1.0
	v_fmac_f64_e32 v[8:9], v[8:9], v[74:75]
	v_mul_f64 v[74:75], v[10:11], v[8:9]
	v_fma_f64 v[6:7], -v[6:7], v[74:75], v[10:11]
	v_div_fmas_f64 v[6:7], v[6:7], v[8:9], v[74:75]
	v_div_fixup_f64 v[8:9], v[6:7], v[2:3], v[4:5]
	v_fmac_f64_e32 v[2:3], v[4:5], v[8:9]
	v_div_scale_f64 v[4:5], s[2:3], v[2:3], v[2:3], 1.0
	v_rcp_f64_e32 v[6:7], v[4:5]
	s_nop 0
	v_fma_f64 v[10:11], -v[4:5], v[6:7], 1.0
	v_fmac_f64_e32 v[6:7], v[6:7], v[10:11]
	v_fma_f64 v[10:11], -v[4:5], v[6:7], 1.0
	v_fmac_f64_e32 v[6:7], v[6:7], v[10:11]
	v_div_scale_f64 v[10:11], vcc, 1.0, v[2:3], 1.0
	v_mul_f64 v[74:75], v[10:11], v[6:7]
	v_fma_f64 v[4:5], -v[4:5], v[74:75], v[10:11]
	s_nop 1
	v_div_fmas_f64 v[4:5], v[4:5], v[6:7], v[74:75]
	v_div_fixup_f64 v[6:7], v[4:5], v[2:3], 1.0
	v_xor_b32_e32 v11, 0x80000000, v7
	v_mov_b32_e32 v10, v6
	v_mul_f64 v[8:9], v[8:9], -v[6:7]
.LBB28_6:
	s_or_b64 exec, exec, s[0:1]
	scratch_store_dwordx4 v1, v[6:9], off
	s_nop 1
	v_xor_b32_e32 v9, 0x80000000, v9
	s_branch .LBB28_8
.LBB28_7:
	v_mov_b64_e32 v[8:9], 0
	v_mov_b64_e32 v[10:11], -1.0
.LBB28_8:
	v_add_u32_e32 v89, 16, v12
	v_add_u32_e32 v92, 32, v12
	;; [unrolled: 1-line block ×28, first 2 shown]
	v_mov_b32_e32 v12, v8
	v_mov_b32_e32 v13, v9
	s_cmpk_eq_i32 s4, 0x79
	v_add_u32_e32 v9, 0x1d0, v62
	v_add_u32_e32 v8, 0, v62
	ds_write_b128 v62, v[10:13]
	s_cbranch_scc1 .LBB28_228
; %bb.9:
	scratch_load_dwordx4 v[2:5], v1, off
	v_cmp_eq_u32_e64 s[0:1], 28, v0
	s_waitcnt vmcnt(0)
	ds_write_b128 v9, v[2:5]
	s_waitcnt lgkmcnt(0)
	; wave barrier
	s_waitcnt lgkmcnt(0)
	s_and_saveexec_b64 s[2:3], s[0:1]
	s_cbranch_execz .LBB28_13
; %bb.10:
	ds_read_b128 v[2:5], v9
	s_andn2_b64 vcc, exec, s[6:7]
	s_cbranch_vccnz .LBB28_12
; %bb.11:
	scratch_load_dwordx4 v[10:13], v8, off
	s_waitcnt vmcnt(0) lgkmcnt(0)
	v_mul_f64 v[6:7], v[4:5], v[12:13]
	v_mul_f64 v[12:13], v[2:3], v[12:13]
	v_fmac_f64_e32 v[12:13], v[4:5], v[10:11]
	v_fma_f64 v[2:3], v[2:3], v[10:11], -v[6:7]
	v_mov_b64_e32 v[4:5], v[12:13]
.LBB28_12:
	v_mov_b32_e32 v6, 0
	ds_read_b128 v[10:13], v6 offset:432
	s_waitcnt lgkmcnt(0)
	v_mul_f64 v[6:7], v[4:5], v[12:13]
	v_mul_f64 v[102:103], v[2:3], v[12:13]
	v_fma_f64 v[100:101], v[2:3], v[10:11], -v[6:7]
	v_fmac_f64_e32 v[102:103], v[4:5], v[10:11]
	scratch_store_dwordx4 off, v[100:103], off offset:432
.LBB28_13:
	s_or_b64 exec, exec, s[2:3]
	scratch_load_dwordx4 v[2:5], v75, off
	v_cmp_lt_u32_e64 s[2:3], 26, v0
	s_waitcnt vmcnt(0)
	ds_write_b128 v9, v[2:5]
	s_waitcnt lgkmcnt(0)
	; wave barrier
	s_waitcnt lgkmcnt(0)
	s_and_saveexec_b64 s[4:5], s[2:3]
	s_cbranch_execz .LBB28_19
; %bb.14:
	ds_read_b128 v[2:5], v9
	s_andn2_b64 vcc, exec, s[6:7]
	s_cbranch_vccnz .LBB28_16
; %bb.15:
	scratch_load_dwordx4 v[10:13], v8, off
	s_waitcnt vmcnt(0) lgkmcnt(0)
	v_mul_f64 v[6:7], v[4:5], v[12:13]
	v_mul_f64 v[12:13], v[2:3], v[12:13]
	v_fmac_f64_e32 v[12:13], v[4:5], v[10:11]
	v_fma_f64 v[2:3], v[2:3], v[10:11], -v[6:7]
	v_mov_b64_e32 v[4:5], v[12:13]
.LBB28_16:
	s_and_saveexec_b64 s[8:9], s[0:1]
	s_cbranch_execz .LBB28_18
; %bb.17:
	scratch_load_dwordx4 v[10:13], off, off offset:432
	v_mov_b32_e32 v6, 0
	ds_read_b128 v[100:103], v6 offset:896
	s_waitcnt vmcnt(0) lgkmcnt(0)
	v_mul_f64 v[6:7], v[100:101], v[12:13]
	v_mul_f64 v[12:13], v[102:103], v[12:13]
	v_fmac_f64_e32 v[6:7], v[102:103], v[10:11]
	v_fma_f64 v[10:11], v[100:101], v[10:11], -v[12:13]
	v_add_f64 v[4:5], v[4:5], v[6:7]
	v_add_f64 v[2:3], v[2:3], v[10:11]
.LBB28_18:
	s_or_b64 exec, exec, s[8:9]
	v_mov_b32_e32 v6, 0
	ds_read_b128 v[10:13], v6 offset:416
	s_waitcnt lgkmcnt(0)
	v_mul_f64 v[6:7], v[4:5], v[12:13]
	v_mul_f64 v[102:103], v[2:3], v[12:13]
	v_fma_f64 v[100:101], v[2:3], v[10:11], -v[6:7]
	v_fmac_f64_e32 v[102:103], v[4:5], v[10:11]
	scratch_store_dwordx4 off, v[100:103], off offset:416
.LBB28_19:
	s_or_b64 exec, exec, s[4:5]
	scratch_load_dwordx4 v[2:5], v74, off
	v_cmp_lt_u32_e64 s[0:1], 25, v0
	s_waitcnt vmcnt(0)
	ds_write_b128 v9, v[2:5]
	s_waitcnt lgkmcnt(0)
	; wave barrier
	s_waitcnt lgkmcnt(0)
	s_and_saveexec_b64 s[4:5], s[0:1]
	s_cbranch_execz .LBB28_27
; %bb.20:
	ds_read_b128 v[2:5], v9
	s_andn2_b64 vcc, exec, s[6:7]
	s_cbranch_vccnz .LBB28_22
; %bb.21:
	scratch_load_dwordx4 v[10:13], v8, off
	s_waitcnt vmcnt(0) lgkmcnt(0)
	v_mul_f64 v[6:7], v[4:5], v[12:13]
	v_mul_f64 v[12:13], v[2:3], v[12:13]
	v_fmac_f64_e32 v[12:13], v[4:5], v[10:11]
	v_fma_f64 v[2:3], v[2:3], v[10:11], -v[6:7]
	v_mov_b64_e32 v[4:5], v[12:13]
.LBB28_22:
	s_and_saveexec_b64 s[8:9], s[2:3]
	s_cbranch_execz .LBB28_26
; %bb.23:
	v_mov_b32_e32 v7, 0
	v_subrev_u32_e32 v6, 26, v0
	v_add_u32_e32 v7, 0x1a8, v7
	s_movk_i32 s10, 0x370
	s_mov_b64 s[2:3], 0
.LBB28_24:                              ; =>This Inner Loop Header: Depth=1
	v_add_u32_e32 v10, -8, v7
	scratch_load_dwordx4 v[10:13], v10, off
	v_mov_b32_e32 v100, s10
	ds_read_b128 v[100:103], v100
	v_add_u32_e32 v6, -1, v6
	s_add_i32 s10, s10, 16
	v_cmp_eq_u32_e32 vcc, 0, v6
	v_add_u32_e32 v7, 16, v7
	s_or_b64 s[2:3], vcc, s[2:3]
	s_waitcnt vmcnt(0) lgkmcnt(0)
	v_mul_f64 v[104:105], v[102:103], v[12:13]
	v_mul_f64 v[12:13], v[100:101], v[12:13]
	v_fma_f64 v[100:101], v[100:101], v[10:11], -v[104:105]
	v_fmac_f64_e32 v[12:13], v[102:103], v[10:11]
	v_add_f64 v[2:3], v[2:3], v[100:101]
	v_add_f64 v[4:5], v[4:5], v[12:13]
	s_andn2_b64 exec, exec, s[2:3]
	s_cbranch_execnz .LBB28_24
; %bb.25:
	s_or_b64 exec, exec, s[2:3]
.LBB28_26:
	s_or_b64 exec, exec, s[8:9]
	v_mov_b32_e32 v6, 0
	ds_read_b128 v[10:13], v6 offset:400
	s_waitcnt lgkmcnt(0)
	v_mul_f64 v[6:7], v[4:5], v[12:13]
	v_mul_f64 v[102:103], v[2:3], v[12:13]
	v_fma_f64 v[100:101], v[2:3], v[10:11], -v[6:7]
	v_fmac_f64_e32 v[102:103], v[4:5], v[10:11]
	scratch_store_dwordx4 off, v[100:103], off offset:400
.LBB28_27:
	s_or_b64 exec, exec, s[4:5]
	scratch_load_dwordx4 v[2:5], v77, off
	v_cmp_lt_u32_e64 s[2:3], 24, v0
	s_waitcnt vmcnt(0)
	ds_write_b128 v9, v[2:5]
	s_waitcnt lgkmcnt(0)
	; wave barrier
	s_waitcnt lgkmcnt(0)
	s_and_saveexec_b64 s[4:5], s[2:3]
	s_cbranch_execz .LBB28_35
; %bb.28:
	ds_read_b128 v[2:5], v9
	s_andn2_b64 vcc, exec, s[6:7]
	s_cbranch_vccnz .LBB28_30
; %bb.29:
	scratch_load_dwordx4 v[10:13], v8, off
	s_waitcnt vmcnt(0) lgkmcnt(0)
	v_mul_f64 v[6:7], v[4:5], v[12:13]
	v_mul_f64 v[12:13], v[2:3], v[12:13]
	v_fmac_f64_e32 v[12:13], v[4:5], v[10:11]
	v_fma_f64 v[2:3], v[2:3], v[10:11], -v[6:7]
	v_mov_b64_e32 v[4:5], v[12:13]
.LBB28_30:
	s_and_saveexec_b64 s[8:9], s[0:1]
	s_cbranch_execz .LBB28_34
; %bb.31:
	v_mov_b32_e32 v7, 0
	v_subrev_u32_e32 v6, 25, v0
	v_add_u32_e32 v7, 0x198, v7
	s_movk_i32 s10, 0x360
	s_mov_b64 s[0:1], 0
.LBB28_32:                              ; =>This Inner Loop Header: Depth=1
	v_add_u32_e32 v10, -8, v7
	scratch_load_dwordx4 v[10:13], v10, off
	v_mov_b32_e32 v100, s10
	ds_read_b128 v[100:103], v100
	v_add_u32_e32 v6, -1, v6
	s_add_i32 s10, s10, 16
	v_cmp_eq_u32_e32 vcc, 0, v6
	v_add_u32_e32 v7, 16, v7
	s_or_b64 s[0:1], vcc, s[0:1]
	s_waitcnt vmcnt(0) lgkmcnt(0)
	v_mul_f64 v[104:105], v[102:103], v[12:13]
	v_mul_f64 v[12:13], v[100:101], v[12:13]
	v_fma_f64 v[100:101], v[100:101], v[10:11], -v[104:105]
	v_fmac_f64_e32 v[12:13], v[102:103], v[10:11]
	v_add_f64 v[2:3], v[2:3], v[100:101]
	v_add_f64 v[4:5], v[4:5], v[12:13]
	s_andn2_b64 exec, exec, s[0:1]
	s_cbranch_execnz .LBB28_32
; %bb.33:
	s_or_b64 exec, exec, s[0:1]
.LBB28_34:
	s_or_b64 exec, exec, s[8:9]
	v_mov_b32_e32 v6, 0
	ds_read_b128 v[10:13], v6 offset:384
	s_waitcnt lgkmcnt(0)
	v_mul_f64 v[6:7], v[4:5], v[12:13]
	v_mul_f64 v[102:103], v[2:3], v[12:13]
	v_fma_f64 v[100:101], v[2:3], v[10:11], -v[6:7]
	v_fmac_f64_e32 v[102:103], v[4:5], v[10:11]
	scratch_store_dwordx4 off, v[100:103], off offset:384
.LBB28_35:
	;; [unrolled: 63-line block ×10, first 2 shown]
	s_or_b64 exec, exec, s[4:5]
	scratch_load_dwordx4 v[2:5], v85, off
	v_cmp_lt_u32_e64 s[0:1], 15, v0
	s_waitcnt vmcnt(0)
	ds_write_b128 v9, v[2:5]
	s_waitcnt lgkmcnt(0)
	; wave barrier
	s_waitcnt lgkmcnt(0)
	s_and_saveexec_b64 s[4:5], s[0:1]
	s_cbranch_execz .LBB28_107
; %bb.100:
	ds_read_b128 v[2:5], v9
	s_andn2_b64 vcc, exec, s[6:7]
	s_cbranch_vccnz .LBB28_102
; %bb.101:
	scratch_load_dwordx4 v[10:13], v8, off
	s_waitcnt vmcnt(0) lgkmcnt(0)
	v_mul_f64 v[6:7], v[4:5], v[12:13]
	v_mul_f64 v[12:13], v[2:3], v[12:13]
	v_fmac_f64_e32 v[12:13], v[4:5], v[10:11]
	v_fma_f64 v[2:3], v[2:3], v[10:11], -v[6:7]
	v_mov_b64_e32 v[4:5], v[12:13]
.LBB28_102:
	s_and_saveexec_b64 s[8:9], s[2:3]
	s_cbranch_execz .LBB28_106
; %bb.103:
	v_mov_b32_e32 v7, 0
	v_add_u32_e32 v6, -16, v0
	v_add_u32_e32 v7, 0x108, v7
	s_movk_i32 s10, 0x2d0
	s_mov_b64 s[2:3], 0
.LBB28_104:                             ; =>This Inner Loop Header: Depth=1
	v_add_u32_e32 v10, -8, v7
	scratch_load_dwordx4 v[10:13], v10, off
	v_mov_b32_e32 v100, s10
	ds_read_b128 v[100:103], v100
	v_add_u32_e32 v6, -1, v6
	s_add_i32 s10, s10, 16
	v_cmp_eq_u32_e32 vcc, 0, v6
	v_add_u32_e32 v7, 16, v7
	s_or_b64 s[2:3], vcc, s[2:3]
	s_waitcnt vmcnt(0) lgkmcnt(0)
	v_mul_f64 v[104:105], v[102:103], v[12:13]
	v_mul_f64 v[12:13], v[100:101], v[12:13]
	v_fma_f64 v[100:101], v[100:101], v[10:11], -v[104:105]
	v_fmac_f64_e32 v[12:13], v[102:103], v[10:11]
	v_add_f64 v[2:3], v[2:3], v[100:101]
	v_add_f64 v[4:5], v[4:5], v[12:13]
	s_andn2_b64 exec, exec, s[2:3]
	s_cbranch_execnz .LBB28_104
; %bb.105:
	s_or_b64 exec, exec, s[2:3]
.LBB28_106:
	s_or_b64 exec, exec, s[8:9]
	v_mov_b32_e32 v6, 0
	ds_read_b128 v[10:13], v6 offset:240
	s_waitcnt lgkmcnt(0)
	v_mul_f64 v[6:7], v[4:5], v[12:13]
	v_mul_f64 v[102:103], v[2:3], v[12:13]
	v_fma_f64 v[100:101], v[2:3], v[10:11], -v[6:7]
	v_fmac_f64_e32 v[102:103], v[4:5], v[10:11]
	scratch_store_dwordx4 off, v[100:103], off offset:240
.LBB28_107:
	s_or_b64 exec, exec, s[4:5]
	scratch_load_dwordx4 v[2:5], v87, off
	v_cmp_lt_u32_e64 s[2:3], 14, v0
	s_waitcnt vmcnt(0)
	ds_write_b128 v9, v[2:5]
	s_waitcnt lgkmcnt(0)
	; wave barrier
	s_waitcnt lgkmcnt(0)
	s_and_saveexec_b64 s[4:5], s[2:3]
	s_cbranch_execz .LBB28_115
; %bb.108:
	ds_read_b128 v[2:5], v9
	s_andn2_b64 vcc, exec, s[6:7]
	s_cbranch_vccnz .LBB28_110
; %bb.109:
	scratch_load_dwordx4 v[10:13], v8, off
	s_waitcnt vmcnt(0) lgkmcnt(0)
	v_mul_f64 v[6:7], v[4:5], v[12:13]
	v_mul_f64 v[12:13], v[2:3], v[12:13]
	v_fmac_f64_e32 v[12:13], v[4:5], v[10:11]
	v_fma_f64 v[2:3], v[2:3], v[10:11], -v[6:7]
	v_mov_b64_e32 v[4:5], v[12:13]
.LBB28_110:
	s_and_saveexec_b64 s[8:9], s[0:1]
	s_cbranch_execz .LBB28_114
; %bb.111:
	v_mov_b32_e32 v7, 0
	v_add_u32_e32 v6, -15, v0
	v_add_u32_e32 v7, 0xf8, v7
	s_movk_i32 s10, 0x2c0
	s_mov_b64 s[0:1], 0
.LBB28_112:                             ; =>This Inner Loop Header: Depth=1
	v_add_u32_e32 v10, -8, v7
	scratch_load_dwordx4 v[10:13], v10, off
	v_mov_b32_e32 v100, s10
	ds_read_b128 v[100:103], v100
	v_add_u32_e32 v6, -1, v6
	s_add_i32 s10, s10, 16
	v_cmp_eq_u32_e32 vcc, 0, v6
	v_add_u32_e32 v7, 16, v7
	s_or_b64 s[0:1], vcc, s[0:1]
	s_waitcnt vmcnt(0) lgkmcnt(0)
	v_mul_f64 v[104:105], v[102:103], v[12:13]
	v_mul_f64 v[12:13], v[100:101], v[12:13]
	v_fma_f64 v[100:101], v[100:101], v[10:11], -v[104:105]
	v_fmac_f64_e32 v[12:13], v[102:103], v[10:11]
	v_add_f64 v[2:3], v[2:3], v[100:101]
	v_add_f64 v[4:5], v[4:5], v[12:13]
	s_andn2_b64 exec, exec, s[0:1]
	s_cbranch_execnz .LBB28_112
; %bb.113:
	s_or_b64 exec, exec, s[0:1]
.LBB28_114:
	s_or_b64 exec, exec, s[8:9]
	v_mov_b32_e32 v6, 0
	ds_read_b128 v[10:13], v6 offset:224
	s_waitcnt lgkmcnt(0)
	v_mul_f64 v[6:7], v[4:5], v[12:13]
	v_mul_f64 v[102:103], v[2:3], v[12:13]
	v_fma_f64 v[100:101], v[2:3], v[10:11], -v[6:7]
	v_fmac_f64_e32 v[102:103], v[4:5], v[10:11]
	scratch_store_dwordx4 off, v[100:103], off offset:224
.LBB28_115:
	;; [unrolled: 63-line block ×15, first 2 shown]
	s_or_b64 exec, exec, s[4:5]
	scratch_load_dwordx4 v[2:5], off, off
	v_cmp_ne_u32_e32 vcc, 0, v0
	s_mov_b64 s[2:3], 0
	s_mov_b64 s[4:5], 0
                                        ; implicit-def: $vgpr6_vgpr7
                                        ; implicit-def: $vgpr10
	s_waitcnt vmcnt(0)
	ds_write_b128 v9, v[2:5]
	s_waitcnt lgkmcnt(0)
	; wave barrier
	s_waitcnt lgkmcnt(0)
	s_and_saveexec_b64 s[8:9], vcc
	s_cbranch_execz .LBB28_227
; %bb.220:
	ds_read_b128 v[2:5], v9
	s_andn2_b64 vcc, exec, s[6:7]
	s_cbranch_vccnz .LBB28_222
; %bb.221:
	scratch_load_dwordx4 v[10:13], v8, off
	s_waitcnt vmcnt(0) lgkmcnt(0)
	v_mul_f64 v[6:7], v[4:5], v[12:13]
	v_mul_f64 v[12:13], v[2:3], v[12:13]
	v_fmac_f64_e32 v[12:13], v[4:5], v[10:11]
	v_fma_f64 v[2:3], v[2:3], v[10:11], -v[6:7]
	v_mov_b64_e32 v[4:5], v[12:13]
.LBB28_222:
	s_and_saveexec_b64 s[4:5], s[0:1]
	s_cbranch_execz .LBB28_226
; %bb.223:
	v_mov_b32_e32 v7, 0
	v_add_u32_e32 v6, -1, v0
	v_add_u32_e32 v7, 24, v7
	s_movk_i32 s10, 0x1e0
	s_mov_b64 s[0:1], 0
.LBB28_224:                             ; =>This Inner Loop Header: Depth=1
	v_add_u32_e32 v10, -8, v7
	scratch_load_dwordx4 v[10:13], v10, off
	v_mov_b32_e32 v100, s10
	ds_read_b128 v[100:103], v100
	v_add_u32_e32 v6, -1, v6
	s_add_i32 s10, s10, 16
	v_cmp_eq_u32_e32 vcc, 0, v6
	v_add_u32_e32 v7, 16, v7
	s_or_b64 s[0:1], vcc, s[0:1]
	s_waitcnt vmcnt(0) lgkmcnt(0)
	v_mul_f64 v[104:105], v[102:103], v[12:13]
	v_mul_f64 v[12:13], v[100:101], v[12:13]
	v_fma_f64 v[100:101], v[100:101], v[10:11], -v[104:105]
	v_fmac_f64_e32 v[12:13], v[102:103], v[10:11]
	v_add_f64 v[2:3], v[2:3], v[100:101]
	v_add_f64 v[4:5], v[4:5], v[12:13]
	s_andn2_b64 exec, exec, s[0:1]
	s_cbranch_execnz .LBB28_224
; %bb.225:
	s_or_b64 exec, exec, s[0:1]
.LBB28_226:
	s_or_b64 exec, exec, s[4:5]
	v_mov_b32_e32 v6, 0
	ds_read_b128 v[100:103], v6
	v_mov_b32_e32 v6, 0
	v_or_b32_e32 v10, 8, v6
	s_mov_b64 s[4:5], exec
	s_waitcnt lgkmcnt(0)
	v_mul_f64 v[12:13], v[4:5], v[102:103]
	v_mul_f64 v[6:7], v[2:3], v[102:103]
	v_fma_f64 v[2:3], v[2:3], v[100:101], -v[12:13]
	v_fmac_f64_e32 v[6:7], v[4:5], v[100:101]
	scratch_store_dwordx2 off, v[2:3], off
.LBB28_227:
	s_or_b64 exec, exec, s[8:9]
	s_and_b64 vcc, exec, s[2:3]
	s_cbranch_vccnz .LBB28_229
	s_branch .LBB28_448
.LBB28_228:
	s_mov_b64 s[4:5], 0
                                        ; implicit-def: $vgpr6_vgpr7
                                        ; implicit-def: $vgpr10
	s_cbranch_execz .LBB28_448
.LBB28_229:
	scratch_load_dwordx4 v[2:5], v89, off
	v_cndmask_b32_e64 v6, 0, 1, s[6:7]
	v_cmp_eq_u32_e64 s[2:3], 0, v0
	v_cmp_ne_u32_e64 s[0:1], 1, v6
	s_waitcnt vmcnt(0)
	ds_write_b128 v9, v[2:5]
	s_waitcnt lgkmcnt(0)
	; wave barrier
	s_waitcnt lgkmcnt(0)
	s_and_saveexec_b64 s[6:7], s[2:3]
	s_cbranch_execz .LBB28_233
; %bb.230:
	ds_read_b128 v[2:5], v9
	s_and_b64 vcc, exec, s[0:1]
	s_cbranch_vccnz .LBB28_232
; %bb.231:
	scratch_load_dwordx4 v[10:13], v8, off
	s_waitcnt vmcnt(0) lgkmcnt(0)
	v_mul_f64 v[6:7], v[4:5], v[12:13]
	v_mul_f64 v[12:13], v[2:3], v[12:13]
	v_fmac_f64_e32 v[12:13], v[4:5], v[10:11]
	v_fma_f64 v[2:3], v[2:3], v[10:11], -v[6:7]
	v_mov_b64_e32 v[4:5], v[12:13]
.LBB28_232:
	v_mov_b32_e32 v6, 0
	ds_read_b128 v[10:13], v6 offset:16
	s_waitcnt lgkmcnt(0)
	v_mul_f64 v[6:7], v[4:5], v[12:13]
	v_mul_f64 v[102:103], v[2:3], v[12:13]
	v_fma_f64 v[100:101], v[2:3], v[10:11], -v[6:7]
	v_fmac_f64_e32 v[102:103], v[4:5], v[10:11]
	scratch_store_dwordx4 off, v[100:103], off offset:16
.LBB28_233:
	s_or_b64 exec, exec, s[6:7]
	scratch_load_dwordx4 v[2:5], v92, off
	v_cmp_gt_u32_e32 vcc, 2, v0
	s_waitcnt vmcnt(0)
	ds_write_b128 v9, v[2:5]
	s_waitcnt lgkmcnt(0)
	; wave barrier
	s_waitcnt lgkmcnt(0)
	s_and_saveexec_b64 s[6:7], vcc
	s_cbranch_execz .LBB28_239
; %bb.234:
	ds_read_b128 v[2:5], v9
	s_and_b64 vcc, exec, s[0:1]
	s_cbranch_vccnz .LBB28_236
; %bb.235:
	scratch_load_dwordx4 v[10:13], v8, off
	s_waitcnt vmcnt(0) lgkmcnt(0)
	v_mul_f64 v[6:7], v[4:5], v[12:13]
	v_mul_f64 v[12:13], v[2:3], v[12:13]
	v_fmac_f64_e32 v[12:13], v[4:5], v[10:11]
	v_fma_f64 v[2:3], v[2:3], v[10:11], -v[6:7]
	v_mov_b64_e32 v[4:5], v[12:13]
.LBB28_236:
	s_and_saveexec_b64 s[8:9], s[2:3]
	s_cbranch_execz .LBB28_238
; %bb.237:
	scratch_load_dwordx4 v[10:13], v8, off offset:16
	ds_read_b128 v[100:103], v9 offset:16
	s_waitcnt vmcnt(0) lgkmcnt(0)
	v_mul_f64 v[6:7], v[102:103], v[12:13]
	v_mul_f64 v[12:13], v[100:101], v[12:13]
	v_fma_f64 v[6:7], v[100:101], v[10:11], -v[6:7]
	v_fmac_f64_e32 v[12:13], v[102:103], v[10:11]
	v_add_f64 v[2:3], v[2:3], v[6:7]
	v_add_f64 v[4:5], v[4:5], v[12:13]
.LBB28_238:
	s_or_b64 exec, exec, s[8:9]
	v_mov_b32_e32 v6, 0
	ds_read_b128 v[10:13], v6 offset:32
	s_waitcnt lgkmcnt(0)
	v_mul_f64 v[6:7], v[4:5], v[12:13]
	v_mul_f64 v[102:103], v[2:3], v[12:13]
	v_fma_f64 v[100:101], v[2:3], v[10:11], -v[6:7]
	v_fmac_f64_e32 v[102:103], v[4:5], v[10:11]
	scratch_store_dwordx4 off, v[100:103], off offset:32
.LBB28_239:
	s_or_b64 exec, exec, s[6:7]
	scratch_load_dwordx4 v[2:5], v96, off
	v_cmp_gt_u32_e32 vcc, 3, v0
	s_waitcnt vmcnt(0)
	ds_write_b128 v9, v[2:5]
	s_waitcnt lgkmcnt(0)
	; wave barrier
	s_waitcnt lgkmcnt(0)
	s_and_saveexec_b64 s[6:7], vcc
	s_cbranch_execz .LBB28_247
; %bb.240:
	ds_read_b128 v[2:5], v9
	s_and_b64 vcc, exec, s[0:1]
	s_cbranch_vccnz .LBB28_242
; %bb.241:
	scratch_load_dwordx4 v[10:13], v8, off
	s_waitcnt vmcnt(0) lgkmcnt(0)
	v_mul_f64 v[6:7], v[4:5], v[12:13]
	v_mul_f64 v[12:13], v[2:3], v[12:13]
	v_fmac_f64_e32 v[12:13], v[4:5], v[10:11]
	v_fma_f64 v[2:3], v[2:3], v[10:11], -v[6:7]
	v_mov_b64_e32 v[4:5], v[12:13]
.LBB28_242:
	v_cmp_ne_u32_e32 vcc, 2, v0
	s_and_saveexec_b64 s[8:9], vcc
	s_cbranch_execz .LBB28_246
; %bb.243:
	scratch_load_dwordx4 v[10:13], v8, off offset:16
	ds_read_b128 v[100:103], v9 offset:16
	s_waitcnt vmcnt(0) lgkmcnt(0)
	v_mul_f64 v[6:7], v[102:103], v[12:13]
	v_mul_f64 v[12:13], v[100:101], v[12:13]
	v_fma_f64 v[6:7], v[100:101], v[10:11], -v[6:7]
	v_fmac_f64_e32 v[12:13], v[102:103], v[10:11]
	v_add_f64 v[2:3], v[2:3], v[6:7]
	v_add_f64 v[4:5], v[4:5], v[12:13]
	s_and_saveexec_b64 s[10:11], s[2:3]
	s_cbranch_execz .LBB28_245
; %bb.244:
	scratch_load_dwordx4 v[10:13], off, off offset:32
	v_mov_b32_e32 v6, 0
	ds_read_b128 v[100:103], v6 offset:496
	s_waitcnt vmcnt(0) lgkmcnt(0)
	v_mul_f64 v[6:7], v[100:101], v[12:13]
	v_mul_f64 v[12:13], v[102:103], v[12:13]
	v_fmac_f64_e32 v[6:7], v[102:103], v[10:11]
	v_fma_f64 v[10:11], v[100:101], v[10:11], -v[12:13]
	v_add_f64 v[4:5], v[4:5], v[6:7]
	v_add_f64 v[2:3], v[2:3], v[10:11]
.LBB28_245:
	s_or_b64 exec, exec, s[10:11]
.LBB28_246:
	s_or_b64 exec, exec, s[8:9]
	v_mov_b32_e32 v6, 0
	ds_read_b128 v[10:13], v6 offset:48
	s_waitcnt lgkmcnt(0)
	v_mul_f64 v[6:7], v[4:5], v[12:13]
	v_mul_f64 v[102:103], v[2:3], v[12:13]
	v_fma_f64 v[100:101], v[2:3], v[10:11], -v[6:7]
	v_fmac_f64_e32 v[102:103], v[4:5], v[10:11]
	scratch_store_dwordx4 off, v[100:103], off offset:48
.LBB28_247:
	s_or_b64 exec, exec, s[6:7]
	scratch_load_dwordx4 v[2:5], v91, off
	v_cmp_gt_u32_e32 vcc, 4, v0
	s_waitcnt vmcnt(0)
	ds_write_b128 v9, v[2:5]
	s_waitcnt lgkmcnt(0)
	; wave barrier
	s_waitcnt lgkmcnt(0)
	s_and_saveexec_b64 s[2:3], vcc
	s_cbranch_execz .LBB28_255
; %bb.248:
	ds_read_b128 v[2:5], v9
	s_and_b64 vcc, exec, s[0:1]
	s_cbranch_vccnz .LBB28_250
; %bb.249:
	scratch_load_dwordx4 v[10:13], v8, off
	s_waitcnt vmcnt(0) lgkmcnt(0)
	v_mul_f64 v[6:7], v[4:5], v[12:13]
	v_mul_f64 v[12:13], v[2:3], v[12:13]
	v_fmac_f64_e32 v[12:13], v[4:5], v[10:11]
	v_fma_f64 v[2:3], v[2:3], v[10:11], -v[6:7]
	v_mov_b64_e32 v[4:5], v[12:13]
.LBB28_250:
	v_cmp_ne_u32_e32 vcc, 3, v0
	s_and_saveexec_b64 s[6:7], vcc
	s_cbranch_execz .LBB28_254
; %bb.251:
	v_mov_b32_e32 v7, 0
	v_add_u32_e32 v6, 0x1e0, v62
	v_add3_u32 v7, v62, v7, 24
	s_mov_b64 s[8:9], 0
	v_mov_b32_e32 v10, v0
.LBB28_252:                             ; =>This Inner Loop Header: Depth=1
	v_add_u32_e32 v11, -8, v7
	scratch_load_dwordx4 v[100:103], v11, off
	ds_read_b128 v[104:107], v6
	v_add_u32_e32 v10, 1, v10
	v_cmp_lt_u32_e32 vcc, 2, v10
	v_add_u32_e32 v6, 16, v6
	v_add_u32_e32 v7, 16, v7
	s_or_b64 s[8:9], vcc, s[8:9]
	s_waitcnt vmcnt(0) lgkmcnt(0)
	v_mul_f64 v[12:13], v[106:107], v[102:103]
	v_mul_f64 v[102:103], v[104:105], v[102:103]
	v_fma_f64 v[12:13], v[104:105], v[100:101], -v[12:13]
	v_fmac_f64_e32 v[102:103], v[106:107], v[100:101]
	v_add_f64 v[2:3], v[2:3], v[12:13]
	v_add_f64 v[4:5], v[4:5], v[102:103]
	s_andn2_b64 exec, exec, s[8:9]
	s_cbranch_execnz .LBB28_252
; %bb.253:
	s_or_b64 exec, exec, s[8:9]
.LBB28_254:
	s_or_b64 exec, exec, s[6:7]
	v_mov_b32_e32 v6, 0
	ds_read_b128 v[10:13], v6 offset:64
	s_waitcnt lgkmcnt(0)
	v_mul_f64 v[6:7], v[4:5], v[12:13]
	v_mul_f64 v[102:103], v[2:3], v[12:13]
	v_fma_f64 v[100:101], v[2:3], v[10:11], -v[6:7]
	v_fmac_f64_e32 v[102:103], v[4:5], v[10:11]
	scratch_store_dwordx4 off, v[100:103], off offset:64
.LBB28_255:
	s_or_b64 exec, exec, s[2:3]
	scratch_load_dwordx4 v[2:5], v97, off
	v_cmp_gt_u32_e32 vcc, 5, v0
	s_waitcnt vmcnt(0)
	ds_write_b128 v9, v[2:5]
	s_waitcnt lgkmcnt(0)
	; wave barrier
	s_waitcnt lgkmcnt(0)
	s_and_saveexec_b64 s[2:3], vcc
	s_cbranch_execz .LBB28_263
; %bb.256:
	ds_read_b128 v[2:5], v9
	s_and_b64 vcc, exec, s[0:1]
	s_cbranch_vccnz .LBB28_258
; %bb.257:
	scratch_load_dwordx4 v[10:13], v8, off
	s_waitcnt vmcnt(0) lgkmcnt(0)
	v_mul_f64 v[6:7], v[4:5], v[12:13]
	v_mul_f64 v[12:13], v[2:3], v[12:13]
	v_fmac_f64_e32 v[12:13], v[4:5], v[10:11]
	v_fma_f64 v[2:3], v[2:3], v[10:11], -v[6:7]
	v_mov_b64_e32 v[4:5], v[12:13]
.LBB28_258:
	v_cmp_ne_u32_e32 vcc, 4, v0
	s_and_saveexec_b64 s[6:7], vcc
	s_cbranch_execz .LBB28_262
; %bb.259:
	v_mov_b32_e32 v7, 0
	v_add_u32_e32 v6, 0x1e0, v62
	v_add3_u32 v7, v62, v7, 24
	s_mov_b64 s[8:9], 0
	v_mov_b32_e32 v10, v0
.LBB28_260:                             ; =>This Inner Loop Header: Depth=1
	v_add_u32_e32 v11, -8, v7
	scratch_load_dwordx4 v[100:103], v11, off
	ds_read_b128 v[104:107], v6
	v_add_u32_e32 v10, 1, v10
	v_cmp_lt_u32_e32 vcc, 3, v10
	v_add_u32_e32 v6, 16, v6
	v_add_u32_e32 v7, 16, v7
	s_or_b64 s[8:9], vcc, s[8:9]
	s_waitcnt vmcnt(0) lgkmcnt(0)
	v_mul_f64 v[12:13], v[106:107], v[102:103]
	v_mul_f64 v[102:103], v[104:105], v[102:103]
	v_fma_f64 v[12:13], v[104:105], v[100:101], -v[12:13]
	v_fmac_f64_e32 v[102:103], v[106:107], v[100:101]
	v_add_f64 v[2:3], v[2:3], v[12:13]
	v_add_f64 v[4:5], v[4:5], v[102:103]
	s_andn2_b64 exec, exec, s[8:9]
	s_cbranch_execnz .LBB28_260
; %bb.261:
	s_or_b64 exec, exec, s[8:9]
.LBB28_262:
	s_or_b64 exec, exec, s[6:7]
	v_mov_b32_e32 v6, 0
	ds_read_b128 v[10:13], v6 offset:80
	s_waitcnt lgkmcnt(0)
	v_mul_f64 v[6:7], v[4:5], v[12:13]
	v_mul_f64 v[102:103], v[2:3], v[12:13]
	v_fma_f64 v[100:101], v[2:3], v[10:11], -v[6:7]
	v_fmac_f64_e32 v[102:103], v[4:5], v[10:11]
	scratch_store_dwordx4 off, v[100:103], off offset:80
.LBB28_263:
	;; [unrolled: 63-line block ×23, first 2 shown]
	s_or_b64 exec, exec, s[2:3]
	scratch_load_dwordx4 v[2:5], v1, off
	v_cmp_gt_u32_e64 s[2:3], 27, v0
	s_waitcnt vmcnt(0)
	ds_write_b128 v9, v[2:5]
	s_waitcnt lgkmcnt(0)
	; wave barrier
	s_waitcnt lgkmcnt(0)
	s_and_saveexec_b64 s[6:7], s[2:3]
	s_cbranch_execz .LBB28_439
; %bb.432:
	ds_read_b128 v[2:5], v9
	s_and_b64 vcc, exec, s[0:1]
	s_cbranch_vccnz .LBB28_434
; %bb.433:
	scratch_load_dwordx4 v[10:13], v8, off
	s_waitcnt vmcnt(0) lgkmcnt(0)
	v_mul_f64 v[6:7], v[4:5], v[12:13]
	v_mul_f64 v[12:13], v[2:3], v[12:13]
	v_fmac_f64_e32 v[12:13], v[4:5], v[10:11]
	v_fma_f64 v[2:3], v[2:3], v[10:11], -v[6:7]
	v_mov_b64_e32 v[4:5], v[12:13]
.LBB28_434:
	v_cmp_ne_u32_e32 vcc, 26, v0
	s_and_saveexec_b64 s[8:9], vcc
	s_cbranch_execz .LBB28_438
; %bb.435:
	v_mov_b32_e32 v7, 0
	v_add_u32_e32 v6, 0x1e0, v62
	v_add3_u32 v7, v62, v7, 24
	s_mov_b64 s[10:11], 0
	v_mov_b32_e32 v10, v0
.LBB28_436:                             ; =>This Inner Loop Header: Depth=1
	v_add_u32_e32 v11, -8, v7
	scratch_load_dwordx4 v[100:103], v11, off
	ds_read_b128 v[104:107], v6
	v_add_u32_e32 v10, 1, v10
	v_cmp_lt_u32_e32 vcc, 25, v10
	v_add_u32_e32 v6, 16, v6
	v_add_u32_e32 v7, 16, v7
	s_or_b64 s[10:11], vcc, s[10:11]
	s_waitcnt vmcnt(0) lgkmcnt(0)
	v_mul_f64 v[12:13], v[106:107], v[102:103]
	v_mul_f64 v[102:103], v[104:105], v[102:103]
	v_fma_f64 v[12:13], v[104:105], v[100:101], -v[12:13]
	v_fmac_f64_e32 v[102:103], v[106:107], v[100:101]
	v_add_f64 v[2:3], v[2:3], v[12:13]
	v_add_f64 v[4:5], v[4:5], v[102:103]
	s_andn2_b64 exec, exec, s[10:11]
	s_cbranch_execnz .LBB28_436
; %bb.437:
	s_or_b64 exec, exec, s[10:11]
.LBB28_438:
	s_or_b64 exec, exec, s[8:9]
	v_mov_b32_e32 v6, 0
	ds_read_b128 v[10:13], v6 offset:432
	s_waitcnt lgkmcnt(0)
	v_mul_f64 v[6:7], v[4:5], v[12:13]
	v_mul_f64 v[102:103], v[2:3], v[12:13]
	v_fma_f64 v[100:101], v[2:3], v[10:11], -v[6:7]
	v_fmac_f64_e32 v[102:103], v[4:5], v[10:11]
	scratch_store_dwordx4 off, v[100:103], off offset:432
.LBB28_439:
	s_or_b64 exec, exec, s[6:7]
	scratch_load_dwordx4 v[2:5], v63, off
	v_cmp_ne_u32_e32 vcc, 28, v0
                                        ; implicit-def: $vgpr6_vgpr7
                                        ; implicit-def: $vgpr10
	s_waitcnt vmcnt(0)
	ds_write_b128 v9, v[2:5]
	s_waitcnt lgkmcnt(0)
	; wave barrier
	s_waitcnt lgkmcnt(0)
	s_and_saveexec_b64 s[6:7], vcc
	s_cbranch_execz .LBB28_447
; %bb.440:
	ds_read_b128 v[2:5], v9
	s_and_b64 vcc, exec, s[0:1]
	s_cbranch_vccnz .LBB28_442
; %bb.441:
	scratch_load_dwordx4 v[6:9], v8, off
	s_waitcnt vmcnt(0) lgkmcnt(0)
	v_mul_f64 v[10:11], v[4:5], v[8:9]
	v_mul_f64 v[8:9], v[2:3], v[8:9]
	v_fmac_f64_e32 v[8:9], v[4:5], v[6:7]
	v_fma_f64 v[2:3], v[2:3], v[6:7], -v[10:11]
	v_mov_b64_e32 v[4:5], v[8:9]
.LBB28_442:
	s_and_saveexec_b64 s[0:1], s[2:3]
	s_cbranch_execz .LBB28_446
; %bb.443:
	v_mov_b32_e32 v7, 0
	v_add_u32_e32 v6, 0x1e0, v62
	v_add3_u32 v7, v62, v7, 24
	s_mov_b64 s[2:3], 0
.LBB28_444:                             ; =>This Inner Loop Header: Depth=1
	v_add_u32_e32 v8, -8, v7
	scratch_load_dwordx4 v[8:11], v8, off
	ds_read_b128 v[100:103], v6
	v_add_u32_e32 v0, 1, v0
	v_cmp_lt_u32_e32 vcc, 26, v0
	v_add_u32_e32 v6, 16, v6
	v_add_u32_e32 v7, 16, v7
	s_or_b64 s[2:3], vcc, s[2:3]
	s_waitcnt vmcnt(0) lgkmcnt(0)
	v_mul_f64 v[12:13], v[102:103], v[10:11]
	v_mul_f64 v[10:11], v[100:101], v[10:11]
	v_fma_f64 v[12:13], v[100:101], v[8:9], -v[12:13]
	v_fmac_f64_e32 v[10:11], v[102:103], v[8:9]
	v_add_f64 v[2:3], v[2:3], v[12:13]
	v_add_f64 v[4:5], v[4:5], v[10:11]
	s_andn2_b64 exec, exec, s[2:3]
	s_cbranch_execnz .LBB28_444
; %bb.445:
	s_or_b64 exec, exec, s[2:3]
.LBB28_446:
	s_or_b64 exec, exec, s[0:1]
	v_mov_b32_e32 v0, 0
	ds_read_b128 v[100:103], v0 offset:448
	v_mov_b32_e32 v0, 0
	v_add_u32_e32 v10, 0x1c8, v0
	s_or_b64 s[4:5], s[4:5], exec
	s_waitcnt lgkmcnt(0)
	v_mul_f64 v[8:9], v[4:5], v[102:103]
	v_mul_f64 v[6:7], v[2:3], v[102:103]
	v_fma_f64 v[2:3], v[2:3], v[100:101], -v[8:9]
	v_fmac_f64_e32 v[6:7], v[4:5], v[100:101]
	scratch_store_dwordx2 off, v[2:3], off offset:448
.LBB28_447:
	s_or_b64 exec, exec, s[6:7]
.LBB28_448:
	s_and_saveexec_b64 s[0:1], s[4:5]
	s_cbranch_execz .LBB28_450
; %bb.449:
	scratch_store_dwordx2 v10, v[6:7], off
.LBB28_450:
	s_or_b64 exec, exec, s[0:1]
	scratch_load_dwordx4 v[2:5], off, off
	scratch_load_dwordx4 v[6:9], v89, off
	scratch_load_dwordx4 v[10:13], v92, off
	;; [unrolled: 1-line block ×9, first 2 shown]
                                        ; kill: killed $vgpr96
                                        ; kill: killed $vgpr97
                                        ; kill: killed $vgpr99
                                        ; kill: killed $vgpr92
                                        ; kill: killed $vgpr98
                                        ; kill: killed $vgpr91
                                        ; kill: killed $vgpr95
                                        ; kill: killed $vgpr89
                                        ; kill: killed $vgpr94
	s_nop 0
	scratch_load_dwordx4 v[92:95], v93, off
	s_waitcnt vmcnt(10)
	global_store_dwordx4 v[16:17], v[2:5], off
	scratch_load_dwordx4 v[2:5], v88, off
	s_nop 0
	scratch_load_dwordx4 v[96:99], v90, off
	s_waitcnt vmcnt(12)
	global_store_dwordx4 v[14:15], v[6:9], off
	scratch_load_dwordx4 v[6:9], v86, off
	;; [unrolled: 5-line block ×9, first 2 shown]
	s_nop 0
	scratch_load_dwordx4 v[120:123], v63, off
	s_waitcnt vmcnt(28)
	global_store_dwordx4 v[32:33], v[124:127], off
	s_waitcnt vmcnt(28)
	global_store_dwordx4 v[34:35], v[92:95], off
	;; [unrolled: 2-line block ×20, first 2 shown]
.LBB28_451:
	s_endpgm
	.section	.rodata,"a",@progbits
	.p2align	6, 0x0
	.amdhsa_kernel _ZN9rocsolver6v33100L18trti2_kernel_smallILi29E19rocblas_complex_numIdEPS3_EEv13rocblas_fill_17rocblas_diagonal_T1_iil
		.amdhsa_group_segment_fixed_size 928
		.amdhsa_private_segment_fixed_size 480
		.amdhsa_kernarg_size 32
		.amdhsa_user_sgpr_count 2
		.amdhsa_user_sgpr_dispatch_ptr 0
		.amdhsa_user_sgpr_queue_ptr 0
		.amdhsa_user_sgpr_kernarg_segment_ptr 1
		.amdhsa_user_sgpr_dispatch_id 0
		.amdhsa_user_sgpr_kernarg_preload_length 0
		.amdhsa_user_sgpr_kernarg_preload_offset 0
		.amdhsa_user_sgpr_private_segment_size 0
		.amdhsa_uses_dynamic_stack 0
		.amdhsa_enable_private_segment 1
		.amdhsa_system_sgpr_workgroup_id_x 1
		.amdhsa_system_sgpr_workgroup_id_y 0
		.amdhsa_system_sgpr_workgroup_id_z 0
		.amdhsa_system_sgpr_workgroup_info 0
		.amdhsa_system_vgpr_workitem_id 0
		.amdhsa_next_free_vgpr 128
		.amdhsa_next_free_sgpr 12
		.amdhsa_accum_offset 128
		.amdhsa_reserve_vcc 1
		.amdhsa_float_round_mode_32 0
		.amdhsa_float_round_mode_16_64 0
		.amdhsa_float_denorm_mode_32 3
		.amdhsa_float_denorm_mode_16_64 3
		.amdhsa_dx10_clamp 1
		.amdhsa_ieee_mode 1
		.amdhsa_fp16_overflow 0
		.amdhsa_tg_split 0
		.amdhsa_exception_fp_ieee_invalid_op 0
		.amdhsa_exception_fp_denorm_src 0
		.amdhsa_exception_fp_ieee_div_zero 0
		.amdhsa_exception_fp_ieee_overflow 0
		.amdhsa_exception_fp_ieee_underflow 0
		.amdhsa_exception_fp_ieee_inexact 0
		.amdhsa_exception_int_div_zero 0
	.end_amdhsa_kernel
	.section	.text._ZN9rocsolver6v33100L18trti2_kernel_smallILi29E19rocblas_complex_numIdEPS3_EEv13rocblas_fill_17rocblas_diagonal_T1_iil,"axG",@progbits,_ZN9rocsolver6v33100L18trti2_kernel_smallILi29E19rocblas_complex_numIdEPS3_EEv13rocblas_fill_17rocblas_diagonal_T1_iil,comdat
.Lfunc_end28:
	.size	_ZN9rocsolver6v33100L18trti2_kernel_smallILi29E19rocblas_complex_numIdEPS3_EEv13rocblas_fill_17rocblas_diagonal_T1_iil, .Lfunc_end28-_ZN9rocsolver6v33100L18trti2_kernel_smallILi29E19rocblas_complex_numIdEPS3_EEv13rocblas_fill_17rocblas_diagonal_T1_iil
                                        ; -- End function
	.section	.AMDGPU.csdata,"",@progbits
; Kernel info:
; codeLenInByte = 19000
; NumSgprs: 18
; NumVgprs: 128
; NumAgprs: 0
; TotalNumVgprs: 128
; ScratchSize: 480
; MemoryBound: 0
; FloatMode: 240
; IeeeMode: 1
; LDSByteSize: 928 bytes/workgroup (compile time only)
; SGPRBlocks: 2
; VGPRBlocks: 15
; NumSGPRsForWavesPerEU: 18
; NumVGPRsForWavesPerEU: 128
; AccumOffset: 128
; Occupancy: 4
; WaveLimiterHint : 0
; COMPUTE_PGM_RSRC2:SCRATCH_EN: 1
; COMPUTE_PGM_RSRC2:USER_SGPR: 2
; COMPUTE_PGM_RSRC2:TRAP_HANDLER: 0
; COMPUTE_PGM_RSRC2:TGID_X_EN: 1
; COMPUTE_PGM_RSRC2:TGID_Y_EN: 0
; COMPUTE_PGM_RSRC2:TGID_Z_EN: 0
; COMPUTE_PGM_RSRC2:TIDIG_COMP_CNT: 0
; COMPUTE_PGM_RSRC3_GFX90A:ACCUM_OFFSET: 31
; COMPUTE_PGM_RSRC3_GFX90A:TG_SPLIT: 0
	.section	.text._ZN9rocsolver6v33100L18trti2_kernel_smallILi30E19rocblas_complex_numIdEPS3_EEv13rocblas_fill_17rocblas_diagonal_T1_iil,"axG",@progbits,_ZN9rocsolver6v33100L18trti2_kernel_smallILi30E19rocblas_complex_numIdEPS3_EEv13rocblas_fill_17rocblas_diagonal_T1_iil,comdat
	.globl	_ZN9rocsolver6v33100L18trti2_kernel_smallILi30E19rocblas_complex_numIdEPS3_EEv13rocblas_fill_17rocblas_diagonal_T1_iil ; -- Begin function _ZN9rocsolver6v33100L18trti2_kernel_smallILi30E19rocblas_complex_numIdEPS3_EEv13rocblas_fill_17rocblas_diagonal_T1_iil
	.p2align	8
	.type	_ZN9rocsolver6v33100L18trti2_kernel_smallILi30E19rocblas_complex_numIdEPS3_EEv13rocblas_fill_17rocblas_diagonal_T1_iil,@function
_ZN9rocsolver6v33100L18trti2_kernel_smallILi30E19rocblas_complex_numIdEPS3_EEv13rocblas_fill_17rocblas_diagonal_T1_iil: ; @_ZN9rocsolver6v33100L18trti2_kernel_smallILi30E19rocblas_complex_numIdEPS3_EEv13rocblas_fill_17rocblas_diagonal_T1_iil
; %bb.0:
	v_cmp_gt_u32_e32 vcc, 30, v0
	s_and_saveexec_b64 s[4:5], vcc
	s_cbranch_execz .LBB29_467
; %bb.1:
	s_load_dwordx8 s[4:11], s[0:1], 0x0
	s_ashr_i32 s3, s2, 31
	v_lshlrev_b32_e32 v60, 4, v0
	v_mov_b32_e32 v61, 0
	s_waitcnt lgkmcnt(0)
	s_ashr_i32 s1, s8, 31
	s_mov_b32 s0, s8
	s_mul_i32 s8, s2, s11
	s_mul_hi_u32 s11, s2, s10
	s_add_i32 s8, s11, s8
	s_mul_i32 s3, s3, s10
	s_add_i32 s3, s8, s3
	s_mul_i32 s2, s2, s10
	s_lshl_b64 s[2:3], s[2:3], 4
	s_add_u32 s2, s6, s2
	s_addc_u32 s3, s7, s3
	s_lshl_b64 s[0:1], s[0:1], 4
	s_add_u32 s0, s2, s0
	s_addc_u32 s1, s3, s1
	global_load_dwordx4 v[2:5], v60, s[0:1]
	s_add_i32 s6, s9, s9
	v_add_u32_e32 v6, s6, v0
	v_add_u32_e32 v14, s9, v6
	;; [unrolled: 1-line block ×27, first 2 shown]
	s_mov_b32 s2, s9
	s_ashr_i32 s3, s9, 31
	v_lshl_add_u64 v[32:33], s[0:1], 0, v[60:61]
	v_ashrrev_i32_e32 v15, 31, v14
	v_ashrrev_i32_e32 v23, 31, v22
	;; [unrolled: 1-line block ×5, first 2 shown]
	v_add_u32_e32 v62, s9, v122
	v_lshl_add_u64 v[30:31], s[2:3], 4, v[32:33]
	v_ashrrev_i32_e32 v7, 31, v6
	v_lshl_add_u64 v[36:37], v[14:15], 4, s[0:1]
	v_ashrrev_i32_e32 v17, 31, v16
	;; [unrolled: 2-line block ×6, first 2 shown]
	v_ashrrev_i32_e32 v57, 31, v56
	v_ashrrev_i32_e32 v63, 31, v62
	v_lshl_add_u64 v[34:35], v[6:7], 4, s[0:1]
	global_load_dwordx4 v[6:9], v[30:31], off
	global_load_dwordx4 v[10:13], v[34:35], off
	v_lshl_add_u64 v[38:39], v[16:17], 4, s[0:1]
	global_load_dwordx4 v[14:17], v[36:37], off
	global_load_dwordx4 v[18:21], v[38:39], off
	;; [unrolled: 3-line block ×6, first 2 shown]
	v_lshl_add_u64 v[56:57], v[56:57], 4, s[0:1]
	v_ashrrev_i32_e32 v59, 31, v58
	v_lshl_add_u64 v[62:63], v[62:63], 4, s[0:1]
	v_lshl_add_u64 v[58:59], v[58:59], 4, s[0:1]
	global_load_dwordx4 v[88:91], v[62:63], off
	v_ashrrev_i32_e32 v97, 31, v96
	v_ashrrev_i32_e32 v101, 31, v100
	;; [unrolled: 1-line block ×11, first 2 shown]
	s_waitcnt vmcnt(13)
	scratch_store_dwordx4 off, v[2:5], off
	global_load_dwordx4 v[2:5], v[56:57], off
	s_nop 0
	global_load_dwordx4 v[92:95], v[58:59], off
	v_ashrrev_i32_e32 v115, 31, v114
	v_ashrrev_i32_e32 v119, 31, v118
	;; [unrolled: 1-line block ×3, first 2 shown]
	s_cmpk_lg_i32 s5, 0x84
	s_cselect_b64 s[6:7], -1, 0
	s_cmpk_eq_i32 s5, 0x84
	s_waitcnt vmcnt(15)
	scratch_store_dwordx4 off, v[6:9], off offset:16
	s_waitcnt vmcnt(15)
	scratch_store_dwordx4 off, v[10:13], off offset:32
	;; [unrolled: 2-line block ×14, first 2 shown]
	v_lshl_add_u64 v[14:15], v[96:97], 4, s[0:1]
	v_lshl_add_u64 v[18:19], v[100:101], 4, s[0:1]
	;; [unrolled: 1-line block ×8, first 2 shown]
	global_load_dwordx4 v[2:5], v[14:15], off
	global_load_dwordx4 v[6:9], v[16:17], off
	v_lshl_add_u64 v[20:21], v[102:103], 4, s[0:1]
	global_load_dwordx4 v[76:79], v[18:19], off
	global_load_dwordx4 v[80:83], v[20:21], off
	v_lshl_add_u64 v[24:25], v[106:107], 4, s[0:1]
	;; [unrolled: 3-line block ×6, first 2 shown]
	global_load_dwordx4 v[120:123], v[72:73], off
	global_load_dwordx4 v[124:127], v[74:75], off
	v_mov_b32_e32 v12, 0
	s_waitcnt vmcnt(13)
	scratch_store_dwordx4 off, v[2:5], off offset:240
	s_waitcnt vmcnt(13)
	scratch_store_dwordx4 off, v[6:9], off offset:256
	;; [unrolled: 2-line block ×14, first 2 shown]
	scratch_store_dwordx4 off, v[88:91], off offset:464
	s_cbranch_scc1 .LBB29_7
; %bb.2:
	scratch_load_dwordx4 v[2:5], v60, off
                                        ; implicit-def: $vgpr10_vgpr11
	s_waitcnt vmcnt(0)
	v_xor_b32_e32 v1, 0x80000000, v3
	v_cmp_gt_f64_e32 vcc, 0, v[2:3]
	v_xor_b32_e32 v8, 0x80000000, v5
	v_mov_b32_e32 v6, v2
	v_cndmask_b32_e32 v7, v3, v1, vcc
	v_cmp_gt_f64_e32 vcc, 0, v[4:5]
	s_nop 1
	v_cndmask_b32_e32 v9, v5, v8, vcc
	v_mov_b32_e32 v8, v4
	v_cmp_ngt_f64_e32 vcc, v[6:7], v[8:9]
                                        ; implicit-def: $vgpr6_vgpr7
	s_and_saveexec_b64 s[0:1], vcc
	s_xor_b64 s[0:1], exec, s[0:1]
	s_cbranch_execz .LBB29_4
; %bb.3:
	v_div_scale_f64 v[6:7], s[2:3], v[4:5], v[4:5], v[2:3]
	v_rcp_f64_e32 v[8:9], v[6:7]
	v_div_scale_f64 v[10:11], vcc, v[2:3], v[4:5], v[2:3]
	v_fma_f64 v[76:77], -v[6:7], v[8:9], 1.0
	v_fmac_f64_e32 v[8:9], v[8:9], v[76:77]
	v_fma_f64 v[76:77], -v[6:7], v[8:9], 1.0
	v_fmac_f64_e32 v[8:9], v[8:9], v[76:77]
	v_mul_f64 v[76:77], v[10:11], v[8:9]
	v_fma_f64 v[6:7], -v[6:7], v[76:77], v[10:11]
	v_div_fmas_f64 v[6:7], v[6:7], v[8:9], v[76:77]
	v_div_fixup_f64 v[6:7], v[6:7], v[4:5], v[2:3]
	v_fmac_f64_e32 v[4:5], v[2:3], v[6:7]
	v_div_scale_f64 v[2:3], s[2:3], v[4:5], v[4:5], 1.0
	v_rcp_f64_e32 v[8:9], v[2:3]
	s_nop 0
	v_fma_f64 v[10:11], -v[2:3], v[8:9], 1.0
	v_fmac_f64_e32 v[8:9], v[8:9], v[10:11]
	v_fma_f64 v[10:11], -v[2:3], v[8:9], 1.0
	v_fmac_f64_e32 v[8:9], v[8:9], v[10:11]
	v_div_scale_f64 v[10:11], vcc, 1.0, v[4:5], 1.0
	v_mul_f64 v[76:77], v[10:11], v[8:9]
	v_fma_f64 v[2:3], -v[2:3], v[76:77], v[10:11]
	s_nop 1
	v_div_fmas_f64 v[2:3], v[2:3], v[8:9], v[76:77]
	v_div_fixup_f64 v[8:9], v[2:3], v[4:5], 1.0
	v_mul_f64 v[6:7], v[6:7], v[8:9]
	v_xor_b32_e32 v9, 0x80000000, v9
	v_xor_b32_e32 v11, 0x80000000, v7
	v_mov_b32_e32 v10, v6
                                        ; implicit-def: $vgpr2_vgpr3
.LBB29_4:
	s_or_saveexec_b64 s[0:1], s[0:1]
	v_add_u32_e32 v1, 0, v60
	s_xor_b64 exec, exec, s[0:1]
	s_cbranch_execz .LBB29_6
; %bb.5:
	v_div_scale_f64 v[6:7], s[2:3], v[2:3], v[2:3], v[4:5]
	v_rcp_f64_e32 v[8:9], v[6:7]
	v_div_scale_f64 v[10:11], vcc, v[4:5], v[2:3], v[4:5]
	v_fma_f64 v[76:77], -v[6:7], v[8:9], 1.0
	v_fmac_f64_e32 v[8:9], v[8:9], v[76:77]
	v_fma_f64 v[76:77], -v[6:7], v[8:9], 1.0
	v_fmac_f64_e32 v[8:9], v[8:9], v[76:77]
	v_mul_f64 v[76:77], v[10:11], v[8:9]
	v_fma_f64 v[6:7], -v[6:7], v[76:77], v[10:11]
	v_div_fmas_f64 v[6:7], v[6:7], v[8:9], v[76:77]
	v_div_fixup_f64 v[8:9], v[6:7], v[2:3], v[4:5]
	v_fmac_f64_e32 v[2:3], v[4:5], v[8:9]
	v_div_scale_f64 v[4:5], s[2:3], v[2:3], v[2:3], 1.0
	v_rcp_f64_e32 v[6:7], v[4:5]
	s_nop 0
	v_fma_f64 v[10:11], -v[4:5], v[6:7], 1.0
	v_fmac_f64_e32 v[6:7], v[6:7], v[10:11]
	v_fma_f64 v[10:11], -v[4:5], v[6:7], 1.0
	v_fmac_f64_e32 v[6:7], v[6:7], v[10:11]
	v_div_scale_f64 v[10:11], vcc, 1.0, v[2:3], 1.0
	v_mul_f64 v[76:77], v[10:11], v[6:7]
	v_fma_f64 v[4:5], -v[4:5], v[76:77], v[10:11]
	s_nop 1
	v_div_fmas_f64 v[4:5], v[4:5], v[6:7], v[76:77]
	v_div_fixup_f64 v[6:7], v[4:5], v[2:3], 1.0
	v_xor_b32_e32 v11, 0x80000000, v7
	v_mov_b32_e32 v10, v6
	v_mul_f64 v[8:9], v[8:9], -v[6:7]
.LBB29_6:
	s_or_b64 exec, exec, s[0:1]
	scratch_store_dwordx4 v1, v[6:9], off
	s_nop 1
	v_xor_b32_e32 v9, 0x80000000, v9
	s_branch .LBB29_8
.LBB29_7:
	v_mov_b64_e32 v[8:9], 0
	v_mov_b64_e32 v[10:11], -1.0
.LBB29_8:
	v_add_u32_e32 v96, 16, v12
	v_add_u32_e32 v93, 32, v12
	v_add_u32_e32 v95, 48, v12
	v_add_u32_e32 v100, 64, v12
	v_add_u32_e32 v98, 0x50, v12
	v_add_u32_e32 v102, 0x60, v12
	v_add_u32_e32 v99, 0x70, v12
	v_add_u32_e32 v101, 0x80, v12
	v_add_u32_e32 v97, 0x90, v12
	v_add_u32_e32 v92, 0xa0, v12
	v_add_u32_e32 v94, 0xb0, v12
	v_add_u32_e32 v90, 0xc0, v12
	v_add_u32_e32 v91, 0xd0, v12
	v_add_u32_e32 v88, 0xe0, v12
	v_add_u32_e32 v89, 0xf0, v12
	v_add_u32_e32 v86, 0x100, v12
	v_add_u32_e32 v87, 0x110, v12
	v_add_u32_e32 v85, 0x120, v12
	v_add_u32_e32 v84, 0x130, v12
	v_add_u32_e32 v83, 0x140, v12
	v_add_u32_e32 v82, 0x150, v12
	v_add_u32_e32 v80, 0x160, v12
	v_add_u32_e32 v81, 0x170, v12
	v_add_u32_e32 v78, 0x180, v12
	v_add_u32_e32 v79, 0x190, v12
	v_add_u32_e32 v76, 0x1a0, v12
	v_add_u32_e32 v77, 0x1b0, v12
	v_add_u32_e32 v1, 0x1c0, v12
	v_add_u32_e32 v61, 0x1d0, v12
	v_mov_b32_e32 v12, v8
	v_mov_b32_e32 v13, v9
	s_cmpk_eq_i32 s4, 0x79
	v_add_u32_e32 v9, 0x1e0, v60
	v_add_u32_e32 v8, 0, v60
	ds_write_b128 v60, v[10:13]
	s_cbranch_scc1 .LBB29_236
; %bb.9:
	scratch_load_dwordx4 v[2:5], v1, off
	v_cmp_eq_u32_e64 s[0:1], 29, v0
	s_waitcnt vmcnt(0)
	ds_write_b128 v9, v[2:5]
	s_waitcnt lgkmcnt(0)
	; wave barrier
	s_waitcnt lgkmcnt(0)
	s_and_saveexec_b64 s[2:3], s[0:1]
	s_cbranch_execz .LBB29_13
; %bb.10:
	ds_read_b128 v[2:5], v9
	s_andn2_b64 vcc, exec, s[6:7]
	s_cbranch_vccnz .LBB29_12
; %bb.11:
	scratch_load_dwordx4 v[10:13], v8, off
	s_waitcnt vmcnt(0) lgkmcnt(0)
	v_mul_f64 v[6:7], v[4:5], v[12:13]
	v_mul_f64 v[12:13], v[2:3], v[12:13]
	v_fmac_f64_e32 v[12:13], v[4:5], v[10:11]
	v_fma_f64 v[2:3], v[2:3], v[10:11], -v[6:7]
	v_mov_b64_e32 v[4:5], v[12:13]
.LBB29_12:
	v_mov_b32_e32 v6, 0
	ds_read_b128 v[10:13], v6 offset:448
	s_waitcnt lgkmcnt(0)
	v_mul_f64 v[6:7], v[4:5], v[12:13]
	v_mul_f64 v[106:107], v[2:3], v[12:13]
	v_fma_f64 v[104:105], v[2:3], v[10:11], -v[6:7]
	v_fmac_f64_e32 v[106:107], v[4:5], v[10:11]
	scratch_store_dwordx4 off, v[104:107], off offset:448
.LBB29_13:
	s_or_b64 exec, exec, s[2:3]
	scratch_load_dwordx4 v[2:5], v77, off
	v_cmp_lt_u32_e64 s[2:3], 27, v0
	s_waitcnt vmcnt(0)
	ds_write_b128 v9, v[2:5]
	s_waitcnt lgkmcnt(0)
	; wave barrier
	s_waitcnt lgkmcnt(0)
	s_and_saveexec_b64 s[4:5], s[2:3]
	s_cbranch_execz .LBB29_19
; %bb.14:
	ds_read_b128 v[2:5], v9
	s_andn2_b64 vcc, exec, s[6:7]
	s_cbranch_vccnz .LBB29_16
; %bb.15:
	scratch_load_dwordx4 v[10:13], v8, off
	s_waitcnt vmcnt(0) lgkmcnt(0)
	v_mul_f64 v[6:7], v[4:5], v[12:13]
	v_mul_f64 v[12:13], v[2:3], v[12:13]
	v_fmac_f64_e32 v[12:13], v[4:5], v[10:11]
	v_fma_f64 v[2:3], v[2:3], v[10:11], -v[6:7]
	v_mov_b64_e32 v[4:5], v[12:13]
.LBB29_16:
	s_and_saveexec_b64 s[8:9], s[0:1]
	s_cbranch_execz .LBB29_18
; %bb.17:
	scratch_load_dwordx4 v[10:13], off, off offset:448
	v_mov_b32_e32 v6, 0
	ds_read_b128 v[104:107], v6 offset:928
	s_waitcnt vmcnt(0) lgkmcnt(0)
	v_mul_f64 v[6:7], v[104:105], v[12:13]
	v_mul_f64 v[12:13], v[106:107], v[12:13]
	v_fmac_f64_e32 v[6:7], v[106:107], v[10:11]
	v_fma_f64 v[10:11], v[104:105], v[10:11], -v[12:13]
	v_add_f64 v[4:5], v[4:5], v[6:7]
	v_add_f64 v[2:3], v[2:3], v[10:11]
.LBB29_18:
	s_or_b64 exec, exec, s[8:9]
	v_mov_b32_e32 v6, 0
	ds_read_b128 v[10:13], v6 offset:432
	s_waitcnt lgkmcnt(0)
	v_mul_f64 v[6:7], v[4:5], v[12:13]
	v_mul_f64 v[106:107], v[2:3], v[12:13]
	v_fma_f64 v[104:105], v[2:3], v[10:11], -v[6:7]
	v_fmac_f64_e32 v[106:107], v[4:5], v[10:11]
	scratch_store_dwordx4 off, v[104:107], off offset:432
.LBB29_19:
	s_or_b64 exec, exec, s[4:5]
	scratch_load_dwordx4 v[2:5], v76, off
	v_cmp_lt_u32_e64 s[0:1], 26, v0
	s_waitcnt vmcnt(0)
	ds_write_b128 v9, v[2:5]
	s_waitcnt lgkmcnt(0)
	; wave barrier
	s_waitcnt lgkmcnt(0)
	s_and_saveexec_b64 s[4:5], s[0:1]
	s_cbranch_execz .LBB29_27
; %bb.20:
	ds_read_b128 v[2:5], v9
	s_andn2_b64 vcc, exec, s[6:7]
	s_cbranch_vccnz .LBB29_22
; %bb.21:
	scratch_load_dwordx4 v[10:13], v8, off
	s_waitcnt vmcnt(0) lgkmcnt(0)
	v_mul_f64 v[6:7], v[4:5], v[12:13]
	v_mul_f64 v[12:13], v[2:3], v[12:13]
	v_fmac_f64_e32 v[12:13], v[4:5], v[10:11]
	v_fma_f64 v[2:3], v[2:3], v[10:11], -v[6:7]
	v_mov_b64_e32 v[4:5], v[12:13]
.LBB29_22:
	s_and_saveexec_b64 s[8:9], s[2:3]
	s_cbranch_execz .LBB29_26
; %bb.23:
	v_mov_b32_e32 v7, 0
	v_subrev_u32_e32 v6, 27, v0
	v_add_u32_e32 v7, 0x1b8, v7
	s_movk_i32 s10, 0x390
	s_mov_b64 s[2:3], 0
.LBB29_24:                              ; =>This Inner Loop Header: Depth=1
	v_add_u32_e32 v10, -8, v7
	scratch_load_dwordx4 v[10:13], v10, off
	v_mov_b32_e32 v103, s10
	ds_read_b128 v[104:107], v103
	v_add_u32_e32 v6, -1, v6
	s_add_i32 s10, s10, 16
	v_cmp_eq_u32_e32 vcc, 0, v6
	v_add_u32_e32 v7, 16, v7
	s_or_b64 s[2:3], vcc, s[2:3]
	s_waitcnt vmcnt(0) lgkmcnt(0)
	v_mul_f64 v[108:109], v[106:107], v[12:13]
	v_mul_f64 v[12:13], v[104:105], v[12:13]
	v_fma_f64 v[104:105], v[104:105], v[10:11], -v[108:109]
	v_fmac_f64_e32 v[12:13], v[106:107], v[10:11]
	v_add_f64 v[2:3], v[2:3], v[104:105]
	v_add_f64 v[4:5], v[4:5], v[12:13]
	s_andn2_b64 exec, exec, s[2:3]
	s_cbranch_execnz .LBB29_24
; %bb.25:
	s_or_b64 exec, exec, s[2:3]
.LBB29_26:
	s_or_b64 exec, exec, s[8:9]
	v_mov_b32_e32 v6, 0
	ds_read_b128 v[10:13], v6 offset:416
	s_waitcnt lgkmcnt(0)
	v_mul_f64 v[6:7], v[4:5], v[12:13]
	v_mul_f64 v[106:107], v[2:3], v[12:13]
	v_fma_f64 v[104:105], v[2:3], v[10:11], -v[6:7]
	v_fmac_f64_e32 v[106:107], v[4:5], v[10:11]
	scratch_store_dwordx4 off, v[104:107], off offset:416
.LBB29_27:
	s_or_b64 exec, exec, s[4:5]
	scratch_load_dwordx4 v[2:5], v79, off
	v_cmp_lt_u32_e64 s[2:3], 25, v0
	s_waitcnt vmcnt(0)
	ds_write_b128 v9, v[2:5]
	s_waitcnt lgkmcnt(0)
	; wave barrier
	s_waitcnt lgkmcnt(0)
	s_and_saveexec_b64 s[4:5], s[2:3]
	s_cbranch_execz .LBB29_35
; %bb.28:
	ds_read_b128 v[2:5], v9
	s_andn2_b64 vcc, exec, s[6:7]
	s_cbranch_vccnz .LBB29_30
; %bb.29:
	scratch_load_dwordx4 v[10:13], v8, off
	s_waitcnt vmcnt(0) lgkmcnt(0)
	v_mul_f64 v[6:7], v[4:5], v[12:13]
	v_mul_f64 v[12:13], v[2:3], v[12:13]
	v_fmac_f64_e32 v[12:13], v[4:5], v[10:11]
	v_fma_f64 v[2:3], v[2:3], v[10:11], -v[6:7]
	v_mov_b64_e32 v[4:5], v[12:13]
.LBB29_30:
	s_and_saveexec_b64 s[8:9], s[0:1]
	s_cbranch_execz .LBB29_34
; %bb.31:
	v_mov_b32_e32 v7, 0
	v_subrev_u32_e32 v6, 26, v0
	v_add_u32_e32 v7, 0x1a8, v7
	s_movk_i32 s10, 0x380
	s_mov_b64 s[0:1], 0
.LBB29_32:                              ; =>This Inner Loop Header: Depth=1
	v_add_u32_e32 v10, -8, v7
	scratch_load_dwordx4 v[10:13], v10, off
	v_mov_b32_e32 v103, s10
	ds_read_b128 v[104:107], v103
	v_add_u32_e32 v6, -1, v6
	s_add_i32 s10, s10, 16
	v_cmp_eq_u32_e32 vcc, 0, v6
	v_add_u32_e32 v7, 16, v7
	s_or_b64 s[0:1], vcc, s[0:1]
	s_waitcnt vmcnt(0) lgkmcnt(0)
	v_mul_f64 v[108:109], v[106:107], v[12:13]
	v_mul_f64 v[12:13], v[104:105], v[12:13]
	v_fma_f64 v[104:105], v[104:105], v[10:11], -v[108:109]
	v_fmac_f64_e32 v[12:13], v[106:107], v[10:11]
	v_add_f64 v[2:3], v[2:3], v[104:105]
	v_add_f64 v[4:5], v[4:5], v[12:13]
	s_andn2_b64 exec, exec, s[0:1]
	s_cbranch_execnz .LBB29_32
; %bb.33:
	s_or_b64 exec, exec, s[0:1]
.LBB29_34:
	s_or_b64 exec, exec, s[8:9]
	v_mov_b32_e32 v6, 0
	ds_read_b128 v[10:13], v6 offset:400
	s_waitcnt lgkmcnt(0)
	v_mul_f64 v[6:7], v[4:5], v[12:13]
	v_mul_f64 v[106:107], v[2:3], v[12:13]
	v_fma_f64 v[104:105], v[2:3], v[10:11], -v[6:7]
	v_fmac_f64_e32 v[106:107], v[4:5], v[10:11]
	scratch_store_dwordx4 off, v[104:107], off offset:400
.LBB29_35:
	;; [unrolled: 63-line block ×10, first 2 shown]
	s_or_b64 exec, exec, s[4:5]
	scratch_load_dwordx4 v[2:5], v86, off
	v_cmp_lt_u32_e64 s[0:1], 16, v0
	s_waitcnt vmcnt(0)
	ds_write_b128 v9, v[2:5]
	s_waitcnt lgkmcnt(0)
	; wave barrier
	s_waitcnt lgkmcnt(0)
	s_and_saveexec_b64 s[4:5], s[0:1]
	s_cbranch_execz .LBB29_107
; %bb.100:
	ds_read_b128 v[2:5], v9
	s_andn2_b64 vcc, exec, s[6:7]
	s_cbranch_vccnz .LBB29_102
; %bb.101:
	scratch_load_dwordx4 v[10:13], v8, off
	s_waitcnt vmcnt(0) lgkmcnt(0)
	v_mul_f64 v[6:7], v[4:5], v[12:13]
	v_mul_f64 v[12:13], v[2:3], v[12:13]
	v_fmac_f64_e32 v[12:13], v[4:5], v[10:11]
	v_fma_f64 v[2:3], v[2:3], v[10:11], -v[6:7]
	v_mov_b64_e32 v[4:5], v[12:13]
.LBB29_102:
	s_and_saveexec_b64 s[8:9], s[2:3]
	s_cbranch_execz .LBB29_106
; %bb.103:
	v_mov_b32_e32 v7, 0
	v_subrev_u32_e32 v6, 17, v0
	v_add_u32_e32 v7, 0x118, v7
	s_movk_i32 s10, 0x2f0
	s_mov_b64 s[2:3], 0
.LBB29_104:                             ; =>This Inner Loop Header: Depth=1
	v_add_u32_e32 v10, -8, v7
	scratch_load_dwordx4 v[10:13], v10, off
	v_mov_b32_e32 v103, s10
	ds_read_b128 v[104:107], v103
	v_add_u32_e32 v6, -1, v6
	s_add_i32 s10, s10, 16
	v_cmp_eq_u32_e32 vcc, 0, v6
	v_add_u32_e32 v7, 16, v7
	s_or_b64 s[2:3], vcc, s[2:3]
	s_waitcnt vmcnt(0) lgkmcnt(0)
	v_mul_f64 v[108:109], v[106:107], v[12:13]
	v_mul_f64 v[12:13], v[104:105], v[12:13]
	v_fma_f64 v[104:105], v[104:105], v[10:11], -v[108:109]
	v_fmac_f64_e32 v[12:13], v[106:107], v[10:11]
	v_add_f64 v[2:3], v[2:3], v[104:105]
	v_add_f64 v[4:5], v[4:5], v[12:13]
	s_andn2_b64 exec, exec, s[2:3]
	s_cbranch_execnz .LBB29_104
; %bb.105:
	s_or_b64 exec, exec, s[2:3]
.LBB29_106:
	s_or_b64 exec, exec, s[8:9]
	v_mov_b32_e32 v6, 0
	ds_read_b128 v[10:13], v6 offset:256
	s_waitcnt lgkmcnt(0)
	v_mul_f64 v[6:7], v[4:5], v[12:13]
	v_mul_f64 v[106:107], v[2:3], v[12:13]
	v_fma_f64 v[104:105], v[2:3], v[10:11], -v[6:7]
	v_fmac_f64_e32 v[106:107], v[4:5], v[10:11]
	scratch_store_dwordx4 off, v[104:107], off offset:256
.LBB29_107:
	s_or_b64 exec, exec, s[4:5]
	scratch_load_dwordx4 v[2:5], v89, off
	v_cmp_lt_u32_e64 s[2:3], 15, v0
	s_waitcnt vmcnt(0)
	ds_write_b128 v9, v[2:5]
	s_waitcnt lgkmcnt(0)
	; wave barrier
	s_waitcnt lgkmcnt(0)
	s_and_saveexec_b64 s[4:5], s[2:3]
	s_cbranch_execz .LBB29_115
; %bb.108:
	ds_read_b128 v[2:5], v9
	s_andn2_b64 vcc, exec, s[6:7]
	s_cbranch_vccnz .LBB29_110
; %bb.109:
	scratch_load_dwordx4 v[10:13], v8, off
	s_waitcnt vmcnt(0) lgkmcnt(0)
	v_mul_f64 v[6:7], v[4:5], v[12:13]
	v_mul_f64 v[12:13], v[2:3], v[12:13]
	v_fmac_f64_e32 v[12:13], v[4:5], v[10:11]
	v_fma_f64 v[2:3], v[2:3], v[10:11], -v[6:7]
	v_mov_b64_e32 v[4:5], v[12:13]
.LBB29_110:
	s_and_saveexec_b64 s[8:9], s[0:1]
	s_cbranch_execz .LBB29_114
; %bb.111:
	v_mov_b32_e32 v7, 0
	v_add_u32_e32 v6, -16, v0
	v_add_u32_e32 v7, 0x108, v7
	s_movk_i32 s10, 0x2e0
	s_mov_b64 s[0:1], 0
.LBB29_112:                             ; =>This Inner Loop Header: Depth=1
	v_add_u32_e32 v10, -8, v7
	scratch_load_dwordx4 v[10:13], v10, off
	v_mov_b32_e32 v103, s10
	ds_read_b128 v[104:107], v103
	v_add_u32_e32 v6, -1, v6
	s_add_i32 s10, s10, 16
	v_cmp_eq_u32_e32 vcc, 0, v6
	v_add_u32_e32 v7, 16, v7
	s_or_b64 s[0:1], vcc, s[0:1]
	s_waitcnt vmcnt(0) lgkmcnt(0)
	v_mul_f64 v[108:109], v[106:107], v[12:13]
	v_mul_f64 v[12:13], v[104:105], v[12:13]
	v_fma_f64 v[104:105], v[104:105], v[10:11], -v[108:109]
	v_fmac_f64_e32 v[12:13], v[106:107], v[10:11]
	v_add_f64 v[2:3], v[2:3], v[104:105]
	v_add_f64 v[4:5], v[4:5], v[12:13]
	s_andn2_b64 exec, exec, s[0:1]
	s_cbranch_execnz .LBB29_112
; %bb.113:
	s_or_b64 exec, exec, s[0:1]
.LBB29_114:
	s_or_b64 exec, exec, s[8:9]
	v_mov_b32_e32 v6, 0
	ds_read_b128 v[10:13], v6 offset:240
	s_waitcnt lgkmcnt(0)
	v_mul_f64 v[6:7], v[4:5], v[12:13]
	v_mul_f64 v[106:107], v[2:3], v[12:13]
	v_fma_f64 v[104:105], v[2:3], v[10:11], -v[6:7]
	v_fmac_f64_e32 v[106:107], v[4:5], v[10:11]
	scratch_store_dwordx4 off, v[104:107], off offset:240
.LBB29_115:
	s_or_b64 exec, exec, s[4:5]
	scratch_load_dwordx4 v[2:5], v88, off
	v_cmp_lt_u32_e64 s[0:1], 14, v0
	s_waitcnt vmcnt(0)
	ds_write_b128 v9, v[2:5]
	s_waitcnt lgkmcnt(0)
	; wave barrier
	s_waitcnt lgkmcnt(0)
	s_and_saveexec_b64 s[4:5], s[0:1]
	s_cbranch_execz .LBB29_123
; %bb.116:
	ds_read_b128 v[2:5], v9
	s_andn2_b64 vcc, exec, s[6:7]
	s_cbranch_vccnz .LBB29_118
; %bb.117:
	scratch_load_dwordx4 v[10:13], v8, off
	s_waitcnt vmcnt(0) lgkmcnt(0)
	v_mul_f64 v[6:7], v[4:5], v[12:13]
	v_mul_f64 v[12:13], v[2:3], v[12:13]
	v_fmac_f64_e32 v[12:13], v[4:5], v[10:11]
	v_fma_f64 v[2:3], v[2:3], v[10:11], -v[6:7]
	v_mov_b64_e32 v[4:5], v[12:13]
.LBB29_118:
	s_and_saveexec_b64 s[8:9], s[2:3]
	s_cbranch_execz .LBB29_122
; %bb.119:
	v_mov_b32_e32 v7, 0
	v_add_u32_e32 v6, -15, v0
	v_add_u32_e32 v7, 0xf8, v7
	s_movk_i32 s10, 0x2d0
	s_mov_b64 s[2:3], 0
.LBB29_120:                             ; =>This Inner Loop Header: Depth=1
	v_add_u32_e32 v10, -8, v7
	scratch_load_dwordx4 v[10:13], v10, off
	v_mov_b32_e32 v103, s10
	ds_read_b128 v[104:107], v103
	v_add_u32_e32 v6, -1, v6
	s_add_i32 s10, s10, 16
	v_cmp_eq_u32_e32 vcc, 0, v6
	v_add_u32_e32 v7, 16, v7
	s_or_b64 s[2:3], vcc, s[2:3]
	s_waitcnt vmcnt(0) lgkmcnt(0)
	v_mul_f64 v[108:109], v[106:107], v[12:13]
	v_mul_f64 v[12:13], v[104:105], v[12:13]
	v_fma_f64 v[104:105], v[104:105], v[10:11], -v[108:109]
	v_fmac_f64_e32 v[12:13], v[106:107], v[10:11]
	v_add_f64 v[2:3], v[2:3], v[104:105]
	v_add_f64 v[4:5], v[4:5], v[12:13]
	s_andn2_b64 exec, exec, s[2:3]
	s_cbranch_execnz .LBB29_120
; %bb.121:
	s_or_b64 exec, exec, s[2:3]
.LBB29_122:
	s_or_b64 exec, exec, s[8:9]
	v_mov_b32_e32 v6, 0
	ds_read_b128 v[10:13], v6 offset:224
	s_waitcnt lgkmcnt(0)
	v_mul_f64 v[6:7], v[4:5], v[12:13]
	v_mul_f64 v[106:107], v[2:3], v[12:13]
	v_fma_f64 v[104:105], v[2:3], v[10:11], -v[6:7]
	v_fmac_f64_e32 v[106:107], v[4:5], v[10:11]
	scratch_store_dwordx4 off, v[104:107], off offset:224
.LBB29_123:
	;; [unrolled: 63-line block ×15, first 2 shown]
	s_or_b64 exec, exec, s[2:3]
	scratch_load_dwordx4 v[2:5], off, off
	v_cmp_ne_u32_e32 vcc, 0, v0
	s_mov_b64 s[2:3], 0
	s_mov_b64 s[4:5], 0
                                        ; implicit-def: $vgpr6_vgpr7
                                        ; implicit-def: $vgpr10
	s_waitcnt vmcnt(0)
	ds_write_b128 v9, v[2:5]
	s_waitcnt lgkmcnt(0)
	; wave barrier
	s_waitcnt lgkmcnt(0)
	s_and_saveexec_b64 s[8:9], vcc
	s_cbranch_execz .LBB29_235
; %bb.228:
	ds_read_b128 v[2:5], v9
	s_andn2_b64 vcc, exec, s[6:7]
	s_cbranch_vccnz .LBB29_230
; %bb.229:
	scratch_load_dwordx4 v[10:13], v8, off
	s_waitcnt vmcnt(0) lgkmcnt(0)
	v_mul_f64 v[6:7], v[4:5], v[12:13]
	v_mul_f64 v[12:13], v[2:3], v[12:13]
	v_fmac_f64_e32 v[12:13], v[4:5], v[10:11]
	v_fma_f64 v[2:3], v[2:3], v[10:11], -v[6:7]
	v_mov_b64_e32 v[4:5], v[12:13]
.LBB29_230:
	s_and_saveexec_b64 s[4:5], s[0:1]
	s_cbranch_execz .LBB29_234
; %bb.231:
	v_mov_b32_e32 v7, 0
	v_add_u32_e32 v6, -1, v0
	v_add_u32_e32 v7, 24, v7
	s_movk_i32 s10, 0x1f0
	s_mov_b64 s[0:1], 0
.LBB29_232:                             ; =>This Inner Loop Header: Depth=1
	v_add_u32_e32 v10, -8, v7
	scratch_load_dwordx4 v[10:13], v10, off
	v_mov_b32_e32 v103, s10
	ds_read_b128 v[104:107], v103
	v_add_u32_e32 v6, -1, v6
	s_add_i32 s10, s10, 16
	v_cmp_eq_u32_e32 vcc, 0, v6
	v_add_u32_e32 v7, 16, v7
	s_or_b64 s[0:1], vcc, s[0:1]
	s_waitcnt vmcnt(0) lgkmcnt(0)
	v_mul_f64 v[108:109], v[106:107], v[12:13]
	v_mul_f64 v[12:13], v[104:105], v[12:13]
	v_fma_f64 v[104:105], v[104:105], v[10:11], -v[108:109]
	v_fmac_f64_e32 v[12:13], v[106:107], v[10:11]
	v_add_f64 v[2:3], v[2:3], v[104:105]
	v_add_f64 v[4:5], v[4:5], v[12:13]
	s_andn2_b64 exec, exec, s[0:1]
	s_cbranch_execnz .LBB29_232
; %bb.233:
	s_or_b64 exec, exec, s[0:1]
.LBB29_234:
	s_or_b64 exec, exec, s[4:5]
	v_mov_b32_e32 v6, 0
	ds_read_b128 v[104:107], v6
	v_mov_b32_e32 v6, 0
	v_or_b32_e32 v10, 8, v6
	s_mov_b64 s[4:5], exec
	s_waitcnt lgkmcnt(0)
	v_mul_f64 v[12:13], v[4:5], v[106:107]
	v_mul_f64 v[6:7], v[2:3], v[106:107]
	v_fma_f64 v[2:3], v[2:3], v[104:105], -v[12:13]
	v_fmac_f64_e32 v[6:7], v[4:5], v[104:105]
	scratch_store_dwordx2 off, v[2:3], off
.LBB29_235:
	s_or_b64 exec, exec, s[8:9]
	s_and_b64 vcc, exec, s[2:3]
	s_cbranch_vccnz .LBB29_237
	s_branch .LBB29_464
.LBB29_236:
	s_mov_b64 s[4:5], 0
                                        ; implicit-def: $vgpr6_vgpr7
                                        ; implicit-def: $vgpr10
	s_cbranch_execz .LBB29_464
.LBB29_237:
	scratch_load_dwordx4 v[2:5], v96, off
	v_cndmask_b32_e64 v6, 0, 1, s[6:7]
	v_cmp_eq_u32_e64 s[2:3], 0, v0
	v_cmp_ne_u32_e64 s[0:1], 1, v6
	s_waitcnt vmcnt(0)
	ds_write_b128 v9, v[2:5]
	s_waitcnt lgkmcnt(0)
	; wave barrier
	s_waitcnt lgkmcnt(0)
	s_and_saveexec_b64 s[6:7], s[2:3]
	s_cbranch_execz .LBB29_241
; %bb.238:
	ds_read_b128 v[2:5], v9
	s_and_b64 vcc, exec, s[0:1]
	s_cbranch_vccnz .LBB29_240
; %bb.239:
	scratch_load_dwordx4 v[10:13], v8, off
	s_waitcnt vmcnt(0) lgkmcnt(0)
	v_mul_f64 v[6:7], v[4:5], v[12:13]
	v_mul_f64 v[12:13], v[2:3], v[12:13]
	v_fmac_f64_e32 v[12:13], v[4:5], v[10:11]
	v_fma_f64 v[2:3], v[2:3], v[10:11], -v[6:7]
	v_mov_b64_e32 v[4:5], v[12:13]
.LBB29_240:
	v_mov_b32_e32 v6, 0
	ds_read_b128 v[10:13], v6 offset:16
	s_waitcnt lgkmcnt(0)
	v_mul_f64 v[6:7], v[4:5], v[12:13]
	v_mul_f64 v[106:107], v[2:3], v[12:13]
	v_fma_f64 v[104:105], v[2:3], v[10:11], -v[6:7]
	v_fmac_f64_e32 v[106:107], v[4:5], v[10:11]
	scratch_store_dwordx4 off, v[104:107], off offset:16
.LBB29_241:
	s_or_b64 exec, exec, s[6:7]
	scratch_load_dwordx4 v[2:5], v93, off
	v_cmp_gt_u32_e32 vcc, 2, v0
	s_waitcnt vmcnt(0)
	ds_write_b128 v9, v[2:5]
	s_waitcnt lgkmcnt(0)
	; wave barrier
	s_waitcnt lgkmcnt(0)
	s_and_saveexec_b64 s[6:7], vcc
	s_cbranch_execz .LBB29_247
; %bb.242:
	ds_read_b128 v[2:5], v9
	s_and_b64 vcc, exec, s[0:1]
	s_cbranch_vccnz .LBB29_244
; %bb.243:
	scratch_load_dwordx4 v[10:13], v8, off
	s_waitcnt vmcnt(0) lgkmcnt(0)
	v_mul_f64 v[6:7], v[4:5], v[12:13]
	v_mul_f64 v[12:13], v[2:3], v[12:13]
	v_fmac_f64_e32 v[12:13], v[4:5], v[10:11]
	v_fma_f64 v[2:3], v[2:3], v[10:11], -v[6:7]
	v_mov_b64_e32 v[4:5], v[12:13]
.LBB29_244:
	s_and_saveexec_b64 s[8:9], s[2:3]
	s_cbranch_execz .LBB29_246
; %bb.245:
	scratch_load_dwordx4 v[10:13], v8, off offset:16
	ds_read_b128 v[104:107], v9 offset:16
	s_waitcnt vmcnt(0) lgkmcnt(0)
	v_mul_f64 v[6:7], v[106:107], v[12:13]
	v_mul_f64 v[12:13], v[104:105], v[12:13]
	v_fma_f64 v[6:7], v[104:105], v[10:11], -v[6:7]
	v_fmac_f64_e32 v[12:13], v[106:107], v[10:11]
	v_add_f64 v[2:3], v[2:3], v[6:7]
	v_add_f64 v[4:5], v[4:5], v[12:13]
.LBB29_246:
	s_or_b64 exec, exec, s[8:9]
	v_mov_b32_e32 v6, 0
	ds_read_b128 v[10:13], v6 offset:32
	s_waitcnt lgkmcnt(0)
	v_mul_f64 v[6:7], v[4:5], v[12:13]
	v_mul_f64 v[106:107], v[2:3], v[12:13]
	v_fma_f64 v[104:105], v[2:3], v[10:11], -v[6:7]
	v_fmac_f64_e32 v[106:107], v[4:5], v[10:11]
	scratch_store_dwordx4 off, v[104:107], off offset:32
.LBB29_247:
	s_or_b64 exec, exec, s[6:7]
	scratch_load_dwordx4 v[2:5], v95, off
	v_cmp_gt_u32_e32 vcc, 3, v0
	s_waitcnt vmcnt(0)
	ds_write_b128 v9, v[2:5]
	s_waitcnt lgkmcnt(0)
	; wave barrier
	s_waitcnt lgkmcnt(0)
	s_and_saveexec_b64 s[6:7], vcc
	s_cbranch_execz .LBB29_255
; %bb.248:
	ds_read_b128 v[2:5], v9
	s_and_b64 vcc, exec, s[0:1]
	s_cbranch_vccnz .LBB29_250
; %bb.249:
	scratch_load_dwordx4 v[10:13], v8, off
	s_waitcnt vmcnt(0) lgkmcnt(0)
	v_mul_f64 v[6:7], v[4:5], v[12:13]
	v_mul_f64 v[12:13], v[2:3], v[12:13]
	v_fmac_f64_e32 v[12:13], v[4:5], v[10:11]
	v_fma_f64 v[2:3], v[2:3], v[10:11], -v[6:7]
	v_mov_b64_e32 v[4:5], v[12:13]
.LBB29_250:
	v_cmp_ne_u32_e32 vcc, 2, v0
	s_and_saveexec_b64 s[8:9], vcc
	s_cbranch_execz .LBB29_254
; %bb.251:
	scratch_load_dwordx4 v[10:13], v8, off offset:16
	ds_read_b128 v[104:107], v9 offset:16
	s_waitcnt vmcnt(0) lgkmcnt(0)
	v_mul_f64 v[6:7], v[106:107], v[12:13]
	v_mul_f64 v[12:13], v[104:105], v[12:13]
	v_fma_f64 v[6:7], v[104:105], v[10:11], -v[6:7]
	v_fmac_f64_e32 v[12:13], v[106:107], v[10:11]
	v_add_f64 v[2:3], v[2:3], v[6:7]
	v_add_f64 v[4:5], v[4:5], v[12:13]
	s_and_saveexec_b64 s[10:11], s[2:3]
	s_cbranch_execz .LBB29_253
; %bb.252:
	scratch_load_dwordx4 v[10:13], off, off offset:32
	v_mov_b32_e32 v6, 0
	ds_read_b128 v[104:107], v6 offset:512
	s_waitcnt vmcnt(0) lgkmcnt(0)
	v_mul_f64 v[6:7], v[104:105], v[12:13]
	v_mul_f64 v[12:13], v[106:107], v[12:13]
	v_fmac_f64_e32 v[6:7], v[106:107], v[10:11]
	v_fma_f64 v[10:11], v[104:105], v[10:11], -v[12:13]
	v_add_f64 v[4:5], v[4:5], v[6:7]
	v_add_f64 v[2:3], v[2:3], v[10:11]
.LBB29_253:
	s_or_b64 exec, exec, s[10:11]
.LBB29_254:
	s_or_b64 exec, exec, s[8:9]
	v_mov_b32_e32 v6, 0
	ds_read_b128 v[10:13], v6 offset:48
	s_waitcnt lgkmcnt(0)
	v_mul_f64 v[6:7], v[4:5], v[12:13]
	v_mul_f64 v[106:107], v[2:3], v[12:13]
	v_fma_f64 v[104:105], v[2:3], v[10:11], -v[6:7]
	v_fmac_f64_e32 v[106:107], v[4:5], v[10:11]
	scratch_store_dwordx4 off, v[104:107], off offset:48
.LBB29_255:
	s_or_b64 exec, exec, s[6:7]
	scratch_load_dwordx4 v[2:5], v100, off
	v_cmp_gt_u32_e32 vcc, 4, v0
	s_waitcnt vmcnt(0)
	ds_write_b128 v9, v[2:5]
	s_waitcnt lgkmcnt(0)
	; wave barrier
	s_waitcnt lgkmcnt(0)
	s_and_saveexec_b64 s[2:3], vcc
	s_cbranch_execz .LBB29_263
; %bb.256:
	ds_read_b128 v[2:5], v9
	s_and_b64 vcc, exec, s[0:1]
	s_cbranch_vccnz .LBB29_258
; %bb.257:
	scratch_load_dwordx4 v[10:13], v8, off
	s_waitcnt vmcnt(0) lgkmcnt(0)
	v_mul_f64 v[6:7], v[4:5], v[12:13]
	v_mul_f64 v[12:13], v[2:3], v[12:13]
	v_fmac_f64_e32 v[12:13], v[4:5], v[10:11]
	v_fma_f64 v[2:3], v[2:3], v[10:11], -v[6:7]
	v_mov_b64_e32 v[4:5], v[12:13]
.LBB29_258:
	v_cmp_ne_u32_e32 vcc, 3, v0
	s_and_saveexec_b64 s[6:7], vcc
	s_cbranch_execz .LBB29_262
; %bb.259:
	v_mov_b32_e32 v7, 0
	v_add_u32_e32 v6, 0x1f0, v60
	v_add3_u32 v7, v60, v7, 24
	s_mov_b64 s[8:9], 0
	v_mov_b32_e32 v10, v0
.LBB29_260:                             ; =>This Inner Loop Header: Depth=1
	v_add_u32_e32 v11, -8, v7
	scratch_load_dwordx4 v[104:107], v11, off
	ds_read_b128 v[108:111], v6
	v_add_u32_e32 v10, 1, v10
	v_cmp_lt_u32_e32 vcc, 2, v10
	v_add_u32_e32 v6, 16, v6
	v_add_u32_e32 v7, 16, v7
	s_or_b64 s[8:9], vcc, s[8:9]
	s_waitcnt vmcnt(0) lgkmcnt(0)
	v_mul_f64 v[12:13], v[110:111], v[106:107]
	v_mul_f64 v[106:107], v[108:109], v[106:107]
	v_fma_f64 v[12:13], v[108:109], v[104:105], -v[12:13]
	v_fmac_f64_e32 v[106:107], v[110:111], v[104:105]
	v_add_f64 v[2:3], v[2:3], v[12:13]
	v_add_f64 v[4:5], v[4:5], v[106:107]
	s_andn2_b64 exec, exec, s[8:9]
	s_cbranch_execnz .LBB29_260
; %bb.261:
	s_or_b64 exec, exec, s[8:9]
.LBB29_262:
	s_or_b64 exec, exec, s[6:7]
	v_mov_b32_e32 v6, 0
	ds_read_b128 v[10:13], v6 offset:64
	s_waitcnt lgkmcnt(0)
	v_mul_f64 v[6:7], v[4:5], v[12:13]
	v_mul_f64 v[106:107], v[2:3], v[12:13]
	v_fma_f64 v[104:105], v[2:3], v[10:11], -v[6:7]
	v_fmac_f64_e32 v[106:107], v[4:5], v[10:11]
	scratch_store_dwordx4 off, v[104:107], off offset:64
.LBB29_263:
	s_or_b64 exec, exec, s[2:3]
	scratch_load_dwordx4 v[2:5], v98, off
	v_cmp_gt_u32_e32 vcc, 5, v0
	s_waitcnt vmcnt(0)
	ds_write_b128 v9, v[2:5]
	s_waitcnt lgkmcnt(0)
	; wave barrier
	s_waitcnt lgkmcnt(0)
	s_and_saveexec_b64 s[2:3], vcc
	s_cbranch_execz .LBB29_271
; %bb.264:
	ds_read_b128 v[2:5], v9
	s_and_b64 vcc, exec, s[0:1]
	s_cbranch_vccnz .LBB29_266
; %bb.265:
	scratch_load_dwordx4 v[10:13], v8, off
	s_waitcnt vmcnt(0) lgkmcnt(0)
	v_mul_f64 v[6:7], v[4:5], v[12:13]
	v_mul_f64 v[12:13], v[2:3], v[12:13]
	v_fmac_f64_e32 v[12:13], v[4:5], v[10:11]
	v_fma_f64 v[2:3], v[2:3], v[10:11], -v[6:7]
	v_mov_b64_e32 v[4:5], v[12:13]
.LBB29_266:
	v_cmp_ne_u32_e32 vcc, 4, v0
	s_and_saveexec_b64 s[6:7], vcc
	s_cbranch_execz .LBB29_270
; %bb.267:
	v_mov_b32_e32 v7, 0
	v_add_u32_e32 v6, 0x1f0, v60
	v_add3_u32 v7, v60, v7, 24
	s_mov_b64 s[8:9], 0
	v_mov_b32_e32 v10, v0
.LBB29_268:                             ; =>This Inner Loop Header: Depth=1
	v_add_u32_e32 v11, -8, v7
	scratch_load_dwordx4 v[104:107], v11, off
	ds_read_b128 v[108:111], v6
	v_add_u32_e32 v10, 1, v10
	v_cmp_lt_u32_e32 vcc, 3, v10
	v_add_u32_e32 v6, 16, v6
	v_add_u32_e32 v7, 16, v7
	s_or_b64 s[8:9], vcc, s[8:9]
	s_waitcnt vmcnt(0) lgkmcnt(0)
	v_mul_f64 v[12:13], v[110:111], v[106:107]
	v_mul_f64 v[106:107], v[108:109], v[106:107]
	v_fma_f64 v[12:13], v[108:109], v[104:105], -v[12:13]
	v_fmac_f64_e32 v[106:107], v[110:111], v[104:105]
	v_add_f64 v[2:3], v[2:3], v[12:13]
	v_add_f64 v[4:5], v[4:5], v[106:107]
	s_andn2_b64 exec, exec, s[8:9]
	s_cbranch_execnz .LBB29_268
; %bb.269:
	s_or_b64 exec, exec, s[8:9]
.LBB29_270:
	s_or_b64 exec, exec, s[6:7]
	v_mov_b32_e32 v6, 0
	ds_read_b128 v[10:13], v6 offset:80
	s_waitcnt lgkmcnt(0)
	v_mul_f64 v[6:7], v[4:5], v[12:13]
	v_mul_f64 v[106:107], v[2:3], v[12:13]
	v_fma_f64 v[104:105], v[2:3], v[10:11], -v[6:7]
	v_fmac_f64_e32 v[106:107], v[4:5], v[10:11]
	scratch_store_dwordx4 off, v[104:107], off offset:80
.LBB29_271:
	;; [unrolled: 63-line block ×24, first 2 shown]
	s_or_b64 exec, exec, s[2:3]
	scratch_load_dwordx4 v[2:5], v1, off
	v_cmp_gt_u32_e64 s[2:3], 28, v0
	s_waitcnt vmcnt(0)
	ds_write_b128 v9, v[2:5]
	s_waitcnt lgkmcnt(0)
	; wave barrier
	s_waitcnt lgkmcnt(0)
	s_and_saveexec_b64 s[6:7], s[2:3]
	s_cbranch_execz .LBB29_455
; %bb.448:
	ds_read_b128 v[2:5], v9
	s_and_b64 vcc, exec, s[0:1]
	s_cbranch_vccnz .LBB29_450
; %bb.449:
	scratch_load_dwordx4 v[10:13], v8, off
	s_waitcnt vmcnt(0) lgkmcnt(0)
	v_mul_f64 v[6:7], v[4:5], v[12:13]
	v_mul_f64 v[12:13], v[2:3], v[12:13]
	v_fmac_f64_e32 v[12:13], v[4:5], v[10:11]
	v_fma_f64 v[2:3], v[2:3], v[10:11], -v[6:7]
	v_mov_b64_e32 v[4:5], v[12:13]
.LBB29_450:
	v_cmp_ne_u32_e32 vcc, 27, v0
	s_and_saveexec_b64 s[8:9], vcc
	s_cbranch_execz .LBB29_454
; %bb.451:
	v_mov_b32_e32 v7, 0
	v_add_u32_e32 v6, 0x1f0, v60
	v_add3_u32 v7, v60, v7, 24
	s_mov_b64 s[10:11], 0
	v_mov_b32_e32 v10, v0
.LBB29_452:                             ; =>This Inner Loop Header: Depth=1
	v_add_u32_e32 v11, -8, v7
	scratch_load_dwordx4 v[104:107], v11, off
	ds_read_b128 v[108:111], v6
	v_add_u32_e32 v10, 1, v10
	v_cmp_lt_u32_e32 vcc, 26, v10
	v_add_u32_e32 v6, 16, v6
	v_add_u32_e32 v7, 16, v7
	s_or_b64 s[10:11], vcc, s[10:11]
	s_waitcnt vmcnt(0) lgkmcnt(0)
	v_mul_f64 v[12:13], v[110:111], v[106:107]
	v_mul_f64 v[106:107], v[108:109], v[106:107]
	v_fma_f64 v[12:13], v[108:109], v[104:105], -v[12:13]
	v_fmac_f64_e32 v[106:107], v[110:111], v[104:105]
	v_add_f64 v[2:3], v[2:3], v[12:13]
	v_add_f64 v[4:5], v[4:5], v[106:107]
	s_andn2_b64 exec, exec, s[10:11]
	s_cbranch_execnz .LBB29_452
; %bb.453:
	s_or_b64 exec, exec, s[10:11]
.LBB29_454:
	s_or_b64 exec, exec, s[8:9]
	v_mov_b32_e32 v6, 0
	ds_read_b128 v[10:13], v6 offset:448
	s_waitcnt lgkmcnt(0)
	v_mul_f64 v[6:7], v[4:5], v[12:13]
	v_mul_f64 v[106:107], v[2:3], v[12:13]
	v_fma_f64 v[104:105], v[2:3], v[10:11], -v[6:7]
	v_fmac_f64_e32 v[106:107], v[4:5], v[10:11]
	scratch_store_dwordx4 off, v[104:107], off offset:448
.LBB29_455:
	s_or_b64 exec, exec, s[6:7]
	scratch_load_dwordx4 v[2:5], v61, off
	v_cmp_ne_u32_e32 vcc, 29, v0
                                        ; implicit-def: $vgpr6_vgpr7
                                        ; implicit-def: $vgpr10
	s_waitcnt vmcnt(0)
	ds_write_b128 v9, v[2:5]
	s_waitcnt lgkmcnt(0)
	; wave barrier
	s_waitcnt lgkmcnt(0)
	s_and_saveexec_b64 s[6:7], vcc
	s_cbranch_execz .LBB29_463
; %bb.456:
	ds_read_b128 v[2:5], v9
	s_and_b64 vcc, exec, s[0:1]
	s_cbranch_vccnz .LBB29_458
; %bb.457:
	scratch_load_dwordx4 v[6:9], v8, off
	s_waitcnt vmcnt(0) lgkmcnt(0)
	v_mul_f64 v[10:11], v[4:5], v[8:9]
	v_mul_f64 v[8:9], v[2:3], v[8:9]
	v_fmac_f64_e32 v[8:9], v[4:5], v[6:7]
	v_fma_f64 v[2:3], v[2:3], v[6:7], -v[10:11]
	v_mov_b64_e32 v[4:5], v[8:9]
.LBB29_458:
	s_and_saveexec_b64 s[0:1], s[2:3]
	s_cbranch_execz .LBB29_462
; %bb.459:
	v_mov_b32_e32 v7, 0
	v_add_u32_e32 v6, 0x1f0, v60
	v_add3_u32 v7, v60, v7, 24
	s_mov_b64 s[2:3], 0
.LBB29_460:                             ; =>This Inner Loop Header: Depth=1
	v_add_u32_e32 v8, -8, v7
	scratch_load_dwordx4 v[8:11], v8, off
	ds_read_b128 v[104:107], v6
	v_add_u32_e32 v0, 1, v0
	v_cmp_lt_u32_e32 vcc, 27, v0
	v_add_u32_e32 v6, 16, v6
	v_add_u32_e32 v7, 16, v7
	s_or_b64 s[2:3], vcc, s[2:3]
	s_waitcnt vmcnt(0) lgkmcnt(0)
	v_mul_f64 v[12:13], v[106:107], v[10:11]
	v_mul_f64 v[10:11], v[104:105], v[10:11]
	v_fma_f64 v[12:13], v[104:105], v[8:9], -v[12:13]
	v_fmac_f64_e32 v[10:11], v[106:107], v[8:9]
	v_add_f64 v[2:3], v[2:3], v[12:13]
	v_add_f64 v[4:5], v[4:5], v[10:11]
	s_andn2_b64 exec, exec, s[2:3]
	s_cbranch_execnz .LBB29_460
; %bb.461:
	s_or_b64 exec, exec, s[2:3]
.LBB29_462:
	s_or_b64 exec, exec, s[0:1]
	v_mov_b32_e32 v0, 0
	ds_read_b128 v[104:107], v0 offset:464
	v_mov_b32_e32 v0, 0
	v_add_u32_e32 v10, 0x1d8, v0
	s_or_b64 s[4:5], s[4:5], exec
	s_waitcnt lgkmcnt(0)
	v_mul_f64 v[8:9], v[4:5], v[106:107]
	v_mul_f64 v[6:7], v[2:3], v[106:107]
	v_fma_f64 v[2:3], v[2:3], v[104:105], -v[8:9]
	v_fmac_f64_e32 v[6:7], v[4:5], v[104:105]
	scratch_store_dwordx2 off, v[2:3], off offset:464
.LBB29_463:
	s_or_b64 exec, exec, s[6:7]
.LBB29_464:
	s_and_saveexec_b64 s[0:1], s[4:5]
	s_cbranch_execz .LBB29_466
; %bb.465:
	scratch_store_dwordx2 v10, v[6:7], off
.LBB29_466:
	s_or_b64 exec, exec, s[0:1]
	scratch_load_dwordx4 v[2:5], off, off
	scratch_load_dwordx4 v[6:9], v96, off
	scratch_load_dwordx4 v[10:13], v93, off
	;; [unrolled: 1-line block ×8, first 2 shown]
                                        ; kill: killed $vgpr100
                                        ; kill: killed $vgpr102
                                        ; kill: killed $vgpr96
                                        ; kill: killed $vgpr101
                                        ; kill: killed $vgpr95
                                        ; kill: killed $vgpr98
                                        ; kill: killed $vgpr99
                                        ; kill: killed $vgpr93
	s_nop 0
	scratch_load_dwordx4 v[96:99], v97, off
	s_waitcnt vmcnt(9)
	global_store_dwordx4 v[32:33], v[2:5], off
	scratch_load_dwordx4 v[2:5], v92, off
	s_nop 0
	scratch_load_dwordx4 v[100:103], v94, off
	s_waitcnt vmcnt(11)
	global_store_dwordx4 v[30:31], v[6:9], off
	scratch_load_dwordx4 v[6:9], v90, off
	;; [unrolled: 5-line block ×10, first 2 shown]
	s_nop 0
	scratch_load_dwordx4 v[94:97], v61, off
	s_waitcnt vmcnt(28)
	global_store_dwordx4 v[50:51], v[2:5], off
	s_waitcnt vmcnt(28)
	global_store_dwordx4 v[52:53], v[100:103], off
	;; [unrolled: 2-line block ×20, first 2 shown]
.LBB29_467:
	s_endpgm
	.section	.rodata,"a",@progbits
	.p2align	6, 0x0
	.amdhsa_kernel _ZN9rocsolver6v33100L18trti2_kernel_smallILi30E19rocblas_complex_numIdEPS3_EEv13rocblas_fill_17rocblas_diagonal_T1_iil
		.amdhsa_group_segment_fixed_size 960
		.amdhsa_private_segment_fixed_size 496
		.amdhsa_kernarg_size 32
		.amdhsa_user_sgpr_count 2
		.amdhsa_user_sgpr_dispatch_ptr 0
		.amdhsa_user_sgpr_queue_ptr 0
		.amdhsa_user_sgpr_kernarg_segment_ptr 1
		.amdhsa_user_sgpr_dispatch_id 0
		.amdhsa_user_sgpr_kernarg_preload_length 0
		.amdhsa_user_sgpr_kernarg_preload_offset 0
		.amdhsa_user_sgpr_private_segment_size 0
		.amdhsa_uses_dynamic_stack 0
		.amdhsa_enable_private_segment 1
		.amdhsa_system_sgpr_workgroup_id_x 1
		.amdhsa_system_sgpr_workgroup_id_y 0
		.amdhsa_system_sgpr_workgroup_id_z 0
		.amdhsa_system_sgpr_workgroup_info 0
		.amdhsa_system_vgpr_workitem_id 0
		.amdhsa_next_free_vgpr 128
		.amdhsa_next_free_sgpr 12
		.amdhsa_accum_offset 128
		.amdhsa_reserve_vcc 1
		.amdhsa_float_round_mode_32 0
		.amdhsa_float_round_mode_16_64 0
		.amdhsa_float_denorm_mode_32 3
		.amdhsa_float_denorm_mode_16_64 3
		.amdhsa_dx10_clamp 1
		.amdhsa_ieee_mode 1
		.amdhsa_fp16_overflow 0
		.amdhsa_tg_split 0
		.amdhsa_exception_fp_ieee_invalid_op 0
		.amdhsa_exception_fp_denorm_src 0
		.amdhsa_exception_fp_ieee_div_zero 0
		.amdhsa_exception_fp_ieee_overflow 0
		.amdhsa_exception_fp_ieee_underflow 0
		.amdhsa_exception_fp_ieee_inexact 0
		.amdhsa_exception_int_div_zero 0
	.end_amdhsa_kernel
	.section	.text._ZN9rocsolver6v33100L18trti2_kernel_smallILi30E19rocblas_complex_numIdEPS3_EEv13rocblas_fill_17rocblas_diagonal_T1_iil,"axG",@progbits,_ZN9rocsolver6v33100L18trti2_kernel_smallILi30E19rocblas_complex_numIdEPS3_EEv13rocblas_fill_17rocblas_diagonal_T1_iil,comdat
.Lfunc_end29:
	.size	_ZN9rocsolver6v33100L18trti2_kernel_smallILi30E19rocblas_complex_numIdEPS3_EEv13rocblas_fill_17rocblas_diagonal_T1_iil, .Lfunc_end29-_ZN9rocsolver6v33100L18trti2_kernel_smallILi30E19rocblas_complex_numIdEPS3_EEv13rocblas_fill_17rocblas_diagonal_T1_iil
                                        ; -- End function
	.section	.AMDGPU.csdata,"",@progbits
; Kernel info:
; codeLenInByte = 19668
; NumSgprs: 18
; NumVgprs: 128
; NumAgprs: 0
; TotalNumVgprs: 128
; ScratchSize: 496
; MemoryBound: 0
; FloatMode: 240
; IeeeMode: 1
; LDSByteSize: 960 bytes/workgroup (compile time only)
; SGPRBlocks: 2
; VGPRBlocks: 15
; NumSGPRsForWavesPerEU: 18
; NumVGPRsForWavesPerEU: 128
; AccumOffset: 128
; Occupancy: 4
; WaveLimiterHint : 0
; COMPUTE_PGM_RSRC2:SCRATCH_EN: 1
; COMPUTE_PGM_RSRC2:USER_SGPR: 2
; COMPUTE_PGM_RSRC2:TRAP_HANDLER: 0
; COMPUTE_PGM_RSRC2:TGID_X_EN: 1
; COMPUTE_PGM_RSRC2:TGID_Y_EN: 0
; COMPUTE_PGM_RSRC2:TGID_Z_EN: 0
; COMPUTE_PGM_RSRC2:TIDIG_COMP_CNT: 0
; COMPUTE_PGM_RSRC3_GFX90A:ACCUM_OFFSET: 31
; COMPUTE_PGM_RSRC3_GFX90A:TG_SPLIT: 0
	.section	.text._ZN9rocsolver6v33100L18trti2_kernel_smallILi31E19rocblas_complex_numIdEPS3_EEv13rocblas_fill_17rocblas_diagonal_T1_iil,"axG",@progbits,_ZN9rocsolver6v33100L18trti2_kernel_smallILi31E19rocblas_complex_numIdEPS3_EEv13rocblas_fill_17rocblas_diagonal_T1_iil,comdat
	.globl	_ZN9rocsolver6v33100L18trti2_kernel_smallILi31E19rocblas_complex_numIdEPS3_EEv13rocblas_fill_17rocblas_diagonal_T1_iil ; -- Begin function _ZN9rocsolver6v33100L18trti2_kernel_smallILi31E19rocblas_complex_numIdEPS3_EEv13rocblas_fill_17rocblas_diagonal_T1_iil
	.p2align	8
	.type	_ZN9rocsolver6v33100L18trti2_kernel_smallILi31E19rocblas_complex_numIdEPS3_EEv13rocblas_fill_17rocblas_diagonal_T1_iil,@function
_ZN9rocsolver6v33100L18trti2_kernel_smallILi31E19rocblas_complex_numIdEPS3_EEv13rocblas_fill_17rocblas_diagonal_T1_iil: ; @_ZN9rocsolver6v33100L18trti2_kernel_smallILi31E19rocblas_complex_numIdEPS3_EEv13rocblas_fill_17rocblas_diagonal_T1_iil
; %bb.0:
	v_cmp_gt_u32_e32 vcc, 31, v0
	s_and_saveexec_b64 s[4:5], vcc
	s_cbranch_execz .LBB30_483
; %bb.1:
	s_load_dwordx8 s[4:11], s[0:1], 0x0
	s_ashr_i32 s3, s2, 31
	v_lshlrev_b32_e32 v64, 4, v0
	v_mov_b32_e32 v65, 0
	s_waitcnt lgkmcnt(0)
	s_ashr_i32 s1, s8, 31
	s_mov_b32 s0, s8
	s_mul_i32 s8, s2, s11
	s_mul_hi_u32 s11, s2, s10
	s_add_i32 s8, s11, s8
	s_mul_i32 s3, s3, s10
	s_add_i32 s3, s8, s3
	s_mul_i32 s2, s2, s10
	s_lshl_b64 s[2:3], s[2:3], 4
	s_add_u32 s2, s6, s2
	s_addc_u32 s3, s7, s3
	s_lshl_b64 s[0:1], s[0:1], 4
	s_add_u32 s0, s2, s0
	s_addc_u32 s1, s3, s1
	v_lshl_add_u64 v[14:15], s[0:1], 0, v[64:65]
	s_ashr_i32 s3, s9, 31
	s_mov_b32 s2, s9
	v_lshl_add_u64 v[16:17], s[2:3], 4, v[14:15]
	s_add_i32 s2, s9, s9
	v_add_u32_e32 v20, s2, v0
	v_add_u32_e32 v22, s9, v20
	;; [unrolled: 1-line block ×6, first 2 shown]
	v_ashrrev_i32_e32 v21, 31, v20
	v_ashrrev_i32_e32 v23, 31, v22
	;; [unrolled: 1-line block ×6, first 2 shown]
	v_lshl_add_u64 v[18:19], v[20:21], 4, s[0:1]
	v_lshl_add_u64 v[20:21], v[22:23], 4, s[0:1]
	v_lshl_add_u64 v[22:23], v[24:25], 4, s[0:1]
	v_lshl_add_u64 v[24:25], v[26:27], 4, s[0:1]
	v_lshl_add_u64 v[26:27], v[28:29], 4, s[0:1]
	v_lshl_add_u64 v[28:29], v[30:31], 4, s[0:1]
	v_add_u32_e32 v30, s9, v30
	v_add_u32_e32 v32, s9, v30
	;; [unrolled: 1-line block ×6, first 2 shown]
	v_ashrrev_i32_e32 v43, 31, v42
	v_lshl_add_u64 v[40:41], v[42:43], 4, s[0:1]
	v_add_u32_e32 v42, s9, v42
	v_add_u32_e32 v44, s9, v42
	v_ashrrev_i32_e32 v33, 31, v32
	v_ashrrev_i32_e32 v37, 31, v36
	;; [unrolled: 1-line block ×3, first 2 shown]
	v_add_u32_e32 v48, s9, v44
	v_ashrrev_i32_e32 v31, 31, v30
	v_lshl_add_u64 v[32:33], v[32:33], 4, s[0:1]
	v_ashrrev_i32_e32 v35, 31, v34
	v_lshl_add_u64 v[36:37], v[36:37], 4, s[0:1]
	v_ashrrev_i32_e32 v39, 31, v38
	v_ashrrev_i32_e32 v43, 31, v42
	v_lshl_add_u64 v[44:45], v[44:45], 4, s[0:1]
	v_ashrrev_i32_e32 v49, 31, v48
	global_load_dwordx4 v[2:5], v64, s[0:1]
	global_load_dwordx4 v[6:9], v[16:17], off
	global_load_dwordx4 v[10:13], v[18:19], off
	;; [unrolled: 1-line block ×6, first 2 shown]
	v_lshl_add_u64 v[30:31], v[30:31], 4, s[0:1]
	global_load_dwordx4 v[70:73], v[28:29], off
	global_load_dwordx4 v[74:77], v[30:31], off
	v_lshl_add_u64 v[34:35], v[34:35], 4, s[0:1]
	global_load_dwordx4 v[78:81], v[32:33], off
	global_load_dwordx4 v[82:85], v[34:35], off
	;; [unrolled: 3-line block ×5, first 2 shown]
	v_add_u32_e32 v48, s9, v48
	v_ashrrev_i32_e32 v49, 31, v48
	v_add_u32_e32 v50, s9, v48
	v_lshl_add_u64 v[48:49], v[48:49], 4, s[0:1]
	v_ashrrev_i32_e32 v51, 31, v50
	v_add_u32_e32 v118, s9, v50
	v_lshl_add_u64 v[50:51], v[50:51], 4, s[0:1]
	global_load_dwordx4 v[110:113], v[48:49], off
	global_load_dwordx4 v[114:117], v[50:51], off
	v_ashrrev_i32_e32 v119, 31, v118
	s_cmpk_lg_i32 s5, 0x84
	s_cselect_b64 s[6:7], -1, 0
	s_cmpk_eq_i32 s5, 0x84
	s_waitcnt vmcnt(18)
	scratch_store_dwordx4 off, v[2:5], off
	s_waitcnt vmcnt(18)
	scratch_store_dwordx4 off, v[6:9], off offset:16
	s_waitcnt vmcnt(18)
	scratch_store_dwordx4 off, v[10:13], off offset:32
	;; [unrolled: 2-line block ×16, first 2 shown]
	v_add_u32_e32 v10, s9, v118
	v_ashrrev_i32_e32 v11, 31, v10
	v_lshl_add_u64 v[54:55], v[10:11], 4, s[0:1]
	v_add_u32_e32 v10, s9, v10
	v_add_u32_e32 v60, s9, v10
	;; [unrolled: 1-line block ×9, first 2 shown]
	v_ashrrev_i32_e32 v61, 31, v60
	v_ashrrev_i32_e32 v63, 31, v62
	;; [unrolled: 1-line block ×9, first 2 shown]
	v_lshl_add_u64 v[58:59], v[60:61], 4, s[0:1]
	v_lshl_add_u64 v[60:61], v[62:63], 4, s[0:1]
	;; [unrolled: 1-line block ×8, first 2 shown]
	v_add_u32_e32 v76, s9, v76
	v_lshl_add_u64 v[52:53], v[118:119], 4, s[0:1]
	v_lshl_add_u64 v[56:57], v[10:11], 4, s[0:1]
	v_ashrrev_i32_e32 v77, 31, v76
	global_load_dwordx4 v[2:5], v[52:53], off
	global_load_dwordx4 v[6:9], v[54:55], off
	;; [unrolled: 1-line block ×10, first 2 shown]
	v_lshl_add_u64 v[76:77], v[76:77], 4, s[0:1]
	global_load_dwordx4 v[106:109], v[74:75], off
	global_load_dwordx4 v[118:121], v[76:77], off
	s_waitcnt vmcnt(30)
	scratch_store_dwordx4 off, v[110:113], off offset:272
	s_waitcnt vmcnt(30)
	scratch_store_dwordx4 off, v[114:117], off offset:288
	s_waitcnt vmcnt(13)
	scratch_store_dwordx4 off, v[2:5], off offset:304
	s_waitcnt vmcnt(13)
	scratch_store_dwordx4 off, v[6:9], off offset:320
	s_waitcnt vmcnt(13)
	scratch_store_dwordx4 off, v[10:13], off offset:336
	s_waitcnt vmcnt(13)
	scratch_store_dwordx4 off, v[78:81], off offset:352
	s_waitcnt vmcnt(13)
	scratch_store_dwordx4 off, v[82:85], off offset:368
	s_waitcnt vmcnt(13)
	scratch_store_dwordx4 off, v[86:89], off offset:384
	s_waitcnt vmcnt(13)
	scratch_store_dwordx4 off, v[90:93], off offset:400
	s_waitcnt vmcnt(13)
	scratch_store_dwordx4 off, v[94:97], off offset:416
	s_waitcnt vmcnt(13)
	scratch_store_dwordx4 off, v[98:101], off offset:432
	s_waitcnt vmcnt(13)
	scratch_store_dwordx4 off, v[102:105], off offset:448
	s_waitcnt vmcnt(13)
	scratch_store_dwordx4 off, v[106:109], off offset:464
	s_waitcnt vmcnt(13)
	scratch_store_dwordx4 off, v[118:121], off offset:480
	v_mov_b32_e32 v12, 0
	s_cbranch_scc1 .LBB30_7
; %bb.2:
	scratch_load_dwordx4 v[2:5], v64, off
                                        ; implicit-def: $vgpr10_vgpr11
	s_waitcnt vmcnt(0)
	v_xor_b32_e32 v1, 0x80000000, v3
	v_cmp_gt_f64_e32 vcc, 0, v[2:3]
	v_xor_b32_e32 v8, 0x80000000, v5
	v_mov_b32_e32 v6, v2
	v_cndmask_b32_e32 v7, v3, v1, vcc
	v_cmp_gt_f64_e32 vcc, 0, v[4:5]
	s_nop 1
	v_cndmask_b32_e32 v9, v5, v8, vcc
	v_mov_b32_e32 v8, v4
	v_cmp_ngt_f64_e32 vcc, v[6:7], v[8:9]
                                        ; implicit-def: $vgpr6_vgpr7
	s_and_saveexec_b64 s[0:1], vcc
	s_xor_b64 s[0:1], exec, s[0:1]
	s_cbranch_execz .LBB30_4
; %bb.3:
	v_div_scale_f64 v[6:7], s[2:3], v[4:5], v[4:5], v[2:3]
	v_rcp_f64_e32 v[8:9], v[6:7]
	v_div_scale_f64 v[10:11], vcc, v[2:3], v[4:5], v[2:3]
	v_fma_f64 v[78:79], -v[6:7], v[8:9], 1.0
	v_fmac_f64_e32 v[8:9], v[8:9], v[78:79]
	v_fma_f64 v[78:79], -v[6:7], v[8:9], 1.0
	v_fmac_f64_e32 v[8:9], v[8:9], v[78:79]
	v_mul_f64 v[78:79], v[10:11], v[8:9]
	v_fma_f64 v[6:7], -v[6:7], v[78:79], v[10:11]
	v_div_fmas_f64 v[6:7], v[6:7], v[8:9], v[78:79]
	v_div_fixup_f64 v[6:7], v[6:7], v[4:5], v[2:3]
	v_fmac_f64_e32 v[4:5], v[2:3], v[6:7]
	v_div_scale_f64 v[2:3], s[2:3], v[4:5], v[4:5], 1.0
	v_rcp_f64_e32 v[8:9], v[2:3]
	s_nop 0
	v_fma_f64 v[10:11], -v[2:3], v[8:9], 1.0
	v_fmac_f64_e32 v[8:9], v[8:9], v[10:11]
	v_fma_f64 v[10:11], -v[2:3], v[8:9], 1.0
	v_fmac_f64_e32 v[8:9], v[8:9], v[10:11]
	v_div_scale_f64 v[10:11], vcc, 1.0, v[4:5], 1.0
	v_mul_f64 v[78:79], v[10:11], v[8:9]
	v_fma_f64 v[2:3], -v[2:3], v[78:79], v[10:11]
	s_nop 1
	v_div_fmas_f64 v[2:3], v[2:3], v[8:9], v[78:79]
	v_div_fixup_f64 v[8:9], v[2:3], v[4:5], 1.0
	v_mul_f64 v[6:7], v[6:7], v[8:9]
	v_xor_b32_e32 v9, 0x80000000, v9
	v_xor_b32_e32 v11, 0x80000000, v7
	v_mov_b32_e32 v10, v6
                                        ; implicit-def: $vgpr2_vgpr3
.LBB30_4:
	s_or_saveexec_b64 s[0:1], s[0:1]
	v_add_u32_e32 v1, 0, v64
	s_xor_b64 exec, exec, s[0:1]
	s_cbranch_execz .LBB30_6
; %bb.5:
	v_div_scale_f64 v[6:7], s[2:3], v[2:3], v[2:3], v[4:5]
	v_rcp_f64_e32 v[8:9], v[6:7]
	v_div_scale_f64 v[10:11], vcc, v[4:5], v[2:3], v[4:5]
	v_fma_f64 v[78:79], -v[6:7], v[8:9], 1.0
	v_fmac_f64_e32 v[8:9], v[8:9], v[78:79]
	v_fma_f64 v[78:79], -v[6:7], v[8:9], 1.0
	v_fmac_f64_e32 v[8:9], v[8:9], v[78:79]
	v_mul_f64 v[78:79], v[10:11], v[8:9]
	v_fma_f64 v[6:7], -v[6:7], v[78:79], v[10:11]
	v_div_fmas_f64 v[6:7], v[6:7], v[8:9], v[78:79]
	v_div_fixup_f64 v[8:9], v[6:7], v[2:3], v[4:5]
	v_fmac_f64_e32 v[2:3], v[4:5], v[8:9]
	v_div_scale_f64 v[4:5], s[2:3], v[2:3], v[2:3], 1.0
	v_rcp_f64_e32 v[6:7], v[4:5]
	s_nop 0
	v_fma_f64 v[10:11], -v[4:5], v[6:7], 1.0
	v_fmac_f64_e32 v[6:7], v[6:7], v[10:11]
	v_fma_f64 v[10:11], -v[4:5], v[6:7], 1.0
	v_fmac_f64_e32 v[6:7], v[6:7], v[10:11]
	v_div_scale_f64 v[10:11], vcc, 1.0, v[2:3], 1.0
	v_mul_f64 v[78:79], v[10:11], v[6:7]
	v_fma_f64 v[4:5], -v[4:5], v[78:79], v[10:11]
	s_nop 1
	v_div_fmas_f64 v[4:5], v[4:5], v[6:7], v[78:79]
	v_div_fixup_f64 v[6:7], v[4:5], v[2:3], 1.0
	v_xor_b32_e32 v11, 0x80000000, v7
	v_mov_b32_e32 v10, v6
	v_mul_f64 v[8:9], v[8:9], -v[6:7]
.LBB30_6:
	s_or_b64 exec, exec, s[0:1]
	scratch_store_dwordx4 v1, v[6:9], off
	s_nop 1
	v_xor_b32_e32 v9, 0x80000000, v9
	s_branch .LBB30_8
.LBB30_7:
	v_mov_b64_e32 v[8:9], 0
	v_mov_b64_e32 v[10:11], -1.0
.LBB30_8:
	v_add_u32_e32 v97, 16, v12
	v_add_u32_e32 v101, 32, v12
	;; [unrolled: 1-line block ×30, first 2 shown]
	v_mov_b32_e32 v12, v8
	v_mov_b32_e32 v13, v9
	s_cmpk_eq_i32 s4, 0x79
	v_add_u32_e32 v9, 0x1f0, v64
	v_add_u32_e32 v8, 0, v64
	ds_write_b128 v64, v[10:13]
	s_cbranch_scc1 .LBB30_244
; %bb.9:
	scratch_load_dwordx4 v[2:5], v1, off
	v_cmp_eq_u32_e64 s[0:1], 30, v0
	s_waitcnt vmcnt(0)
	ds_write_b128 v9, v[2:5]
	s_waitcnt lgkmcnt(0)
	; wave barrier
	s_waitcnt lgkmcnt(0)
	s_and_saveexec_b64 s[2:3], s[0:1]
	s_cbranch_execz .LBB30_13
; %bb.10:
	ds_read_b128 v[2:5], v9
	s_andn2_b64 vcc, exec, s[6:7]
	s_cbranch_vccnz .LBB30_12
; %bb.11:
	scratch_load_dwordx4 v[10:13], v8, off
	s_waitcnt vmcnt(0) lgkmcnt(0)
	v_mul_f64 v[6:7], v[4:5], v[12:13]
	v_mul_f64 v[12:13], v[2:3], v[12:13]
	v_fmac_f64_e32 v[12:13], v[4:5], v[10:11]
	v_fma_f64 v[2:3], v[2:3], v[10:11], -v[6:7]
	v_mov_b64_e32 v[4:5], v[12:13]
.LBB30_12:
	v_mov_b32_e32 v6, 0
	ds_read_b128 v[10:13], v6 offset:464
	s_waitcnt lgkmcnt(0)
	v_mul_f64 v[6:7], v[4:5], v[12:13]
	v_mul_f64 v[108:109], v[2:3], v[12:13]
	v_fma_f64 v[106:107], v[2:3], v[10:11], -v[6:7]
	v_fmac_f64_e32 v[108:109], v[4:5], v[10:11]
	scratch_store_dwordx4 off, v[106:109], off offset:464
.LBB30_13:
	s_or_b64 exec, exec, s[2:3]
	scratch_load_dwordx4 v[2:5], v79, off
	v_cmp_lt_u32_e64 s[2:3], 28, v0
	s_waitcnt vmcnt(0)
	ds_write_b128 v9, v[2:5]
	s_waitcnt lgkmcnt(0)
	; wave barrier
	s_waitcnt lgkmcnt(0)
	s_and_saveexec_b64 s[4:5], s[2:3]
	s_cbranch_execz .LBB30_19
; %bb.14:
	ds_read_b128 v[2:5], v9
	s_andn2_b64 vcc, exec, s[6:7]
	s_cbranch_vccnz .LBB30_16
; %bb.15:
	scratch_load_dwordx4 v[10:13], v8, off
	s_waitcnt vmcnt(0) lgkmcnt(0)
	v_mul_f64 v[6:7], v[4:5], v[12:13]
	v_mul_f64 v[12:13], v[2:3], v[12:13]
	v_fmac_f64_e32 v[12:13], v[4:5], v[10:11]
	v_fma_f64 v[2:3], v[2:3], v[10:11], -v[6:7]
	v_mov_b64_e32 v[4:5], v[12:13]
.LBB30_16:
	s_and_saveexec_b64 s[8:9], s[0:1]
	s_cbranch_execz .LBB30_18
; %bb.17:
	scratch_load_dwordx4 v[10:13], off, off offset:464
	v_mov_b32_e32 v6, 0
	ds_read_b128 v[106:109], v6 offset:960
	s_waitcnt vmcnt(0) lgkmcnt(0)
	v_mul_f64 v[6:7], v[106:107], v[12:13]
	v_mul_f64 v[12:13], v[108:109], v[12:13]
	v_fmac_f64_e32 v[6:7], v[108:109], v[10:11]
	v_fma_f64 v[10:11], v[106:107], v[10:11], -v[12:13]
	v_add_f64 v[4:5], v[4:5], v[6:7]
	v_add_f64 v[2:3], v[2:3], v[10:11]
.LBB30_18:
	s_or_b64 exec, exec, s[8:9]
	v_mov_b32_e32 v6, 0
	ds_read_b128 v[10:13], v6 offset:448
	s_waitcnt lgkmcnt(0)
	v_mul_f64 v[6:7], v[4:5], v[12:13]
	v_mul_f64 v[108:109], v[2:3], v[12:13]
	v_fma_f64 v[106:107], v[2:3], v[10:11], -v[6:7]
	v_fmac_f64_e32 v[108:109], v[4:5], v[10:11]
	scratch_store_dwordx4 off, v[106:109], off offset:448
.LBB30_19:
	s_or_b64 exec, exec, s[4:5]
	scratch_load_dwordx4 v[2:5], v78, off
	v_cmp_lt_u32_e64 s[0:1], 27, v0
	s_waitcnt vmcnt(0)
	ds_write_b128 v9, v[2:5]
	s_waitcnt lgkmcnt(0)
	; wave barrier
	s_waitcnt lgkmcnt(0)
	s_and_saveexec_b64 s[4:5], s[0:1]
	s_cbranch_execz .LBB30_27
; %bb.20:
	ds_read_b128 v[2:5], v9
	s_andn2_b64 vcc, exec, s[6:7]
	s_cbranch_vccnz .LBB30_22
; %bb.21:
	scratch_load_dwordx4 v[10:13], v8, off
	s_waitcnt vmcnt(0) lgkmcnt(0)
	v_mul_f64 v[6:7], v[4:5], v[12:13]
	v_mul_f64 v[12:13], v[2:3], v[12:13]
	v_fmac_f64_e32 v[12:13], v[4:5], v[10:11]
	v_fma_f64 v[2:3], v[2:3], v[10:11], -v[6:7]
	v_mov_b64_e32 v[4:5], v[12:13]
.LBB30_22:
	s_and_saveexec_b64 s[8:9], s[2:3]
	s_cbranch_execz .LBB30_26
; %bb.23:
	v_mov_b32_e32 v7, 0
	v_subrev_u32_e32 v6, 28, v0
	v_add_u32_e32 v7, 0x1c8, v7
	s_movk_i32 s10, 0x3b0
	s_mov_b64 s[2:3], 0
.LBB30_24:                              ; =>This Inner Loop Header: Depth=1
	v_add_u32_e32 v10, -8, v7
	scratch_load_dwordx4 v[10:13], v10, off
	v_mov_b32_e32 v106, s10
	ds_read_b128 v[106:109], v106
	v_add_u32_e32 v6, -1, v6
	s_add_i32 s10, s10, 16
	v_cmp_eq_u32_e32 vcc, 0, v6
	v_add_u32_e32 v7, 16, v7
	s_or_b64 s[2:3], vcc, s[2:3]
	s_waitcnt vmcnt(0) lgkmcnt(0)
	v_mul_f64 v[110:111], v[108:109], v[12:13]
	v_mul_f64 v[12:13], v[106:107], v[12:13]
	v_fma_f64 v[106:107], v[106:107], v[10:11], -v[110:111]
	v_fmac_f64_e32 v[12:13], v[108:109], v[10:11]
	v_add_f64 v[2:3], v[2:3], v[106:107]
	v_add_f64 v[4:5], v[4:5], v[12:13]
	s_andn2_b64 exec, exec, s[2:3]
	s_cbranch_execnz .LBB30_24
; %bb.25:
	s_or_b64 exec, exec, s[2:3]
.LBB30_26:
	s_or_b64 exec, exec, s[8:9]
	v_mov_b32_e32 v6, 0
	ds_read_b128 v[10:13], v6 offset:432
	s_waitcnt lgkmcnt(0)
	v_mul_f64 v[6:7], v[4:5], v[12:13]
	v_mul_f64 v[108:109], v[2:3], v[12:13]
	v_fma_f64 v[106:107], v[2:3], v[10:11], -v[6:7]
	v_fmac_f64_e32 v[108:109], v[4:5], v[10:11]
	scratch_store_dwordx4 off, v[106:109], off offset:432
.LBB30_27:
	s_or_b64 exec, exec, s[4:5]
	scratch_load_dwordx4 v[2:5], v81, off
	v_cmp_lt_u32_e64 s[2:3], 26, v0
	s_waitcnt vmcnt(0)
	ds_write_b128 v9, v[2:5]
	s_waitcnt lgkmcnt(0)
	; wave barrier
	s_waitcnt lgkmcnt(0)
	s_and_saveexec_b64 s[4:5], s[2:3]
	s_cbranch_execz .LBB30_35
; %bb.28:
	ds_read_b128 v[2:5], v9
	s_andn2_b64 vcc, exec, s[6:7]
	s_cbranch_vccnz .LBB30_30
; %bb.29:
	scratch_load_dwordx4 v[10:13], v8, off
	s_waitcnt vmcnt(0) lgkmcnt(0)
	v_mul_f64 v[6:7], v[4:5], v[12:13]
	v_mul_f64 v[12:13], v[2:3], v[12:13]
	v_fmac_f64_e32 v[12:13], v[4:5], v[10:11]
	v_fma_f64 v[2:3], v[2:3], v[10:11], -v[6:7]
	v_mov_b64_e32 v[4:5], v[12:13]
.LBB30_30:
	s_and_saveexec_b64 s[8:9], s[0:1]
	s_cbranch_execz .LBB30_34
; %bb.31:
	v_mov_b32_e32 v7, 0
	v_subrev_u32_e32 v6, 27, v0
	v_add_u32_e32 v7, 0x1b8, v7
	s_movk_i32 s10, 0x3a0
	s_mov_b64 s[0:1], 0
.LBB30_32:                              ; =>This Inner Loop Header: Depth=1
	v_add_u32_e32 v10, -8, v7
	scratch_load_dwordx4 v[10:13], v10, off
	v_mov_b32_e32 v106, s10
	ds_read_b128 v[106:109], v106
	v_add_u32_e32 v6, -1, v6
	s_add_i32 s10, s10, 16
	v_cmp_eq_u32_e32 vcc, 0, v6
	v_add_u32_e32 v7, 16, v7
	s_or_b64 s[0:1], vcc, s[0:1]
	s_waitcnt vmcnt(0) lgkmcnt(0)
	v_mul_f64 v[110:111], v[108:109], v[12:13]
	v_mul_f64 v[12:13], v[106:107], v[12:13]
	v_fma_f64 v[106:107], v[106:107], v[10:11], -v[110:111]
	v_fmac_f64_e32 v[12:13], v[108:109], v[10:11]
	v_add_f64 v[2:3], v[2:3], v[106:107]
	v_add_f64 v[4:5], v[4:5], v[12:13]
	s_andn2_b64 exec, exec, s[0:1]
	s_cbranch_execnz .LBB30_32
; %bb.33:
	s_or_b64 exec, exec, s[0:1]
.LBB30_34:
	s_or_b64 exec, exec, s[8:9]
	v_mov_b32_e32 v6, 0
	ds_read_b128 v[10:13], v6 offset:416
	s_waitcnt lgkmcnt(0)
	v_mul_f64 v[6:7], v[4:5], v[12:13]
	v_mul_f64 v[108:109], v[2:3], v[12:13]
	v_fma_f64 v[106:107], v[2:3], v[10:11], -v[6:7]
	v_fmac_f64_e32 v[108:109], v[4:5], v[10:11]
	scratch_store_dwordx4 off, v[106:109], off offset:416
.LBB30_35:
	;; [unrolled: 63-line block ×10, first 2 shown]
	s_or_b64 exec, exec, s[4:5]
	scratch_load_dwordx4 v[2:5], v88, off
	v_cmp_lt_u32_e64 s[0:1], 17, v0
	s_waitcnt vmcnt(0)
	ds_write_b128 v9, v[2:5]
	s_waitcnt lgkmcnt(0)
	; wave barrier
	s_waitcnt lgkmcnt(0)
	s_and_saveexec_b64 s[4:5], s[0:1]
	s_cbranch_execz .LBB30_107
; %bb.100:
	ds_read_b128 v[2:5], v9
	s_andn2_b64 vcc, exec, s[6:7]
	s_cbranch_vccnz .LBB30_102
; %bb.101:
	scratch_load_dwordx4 v[10:13], v8, off
	s_waitcnt vmcnt(0) lgkmcnt(0)
	v_mul_f64 v[6:7], v[4:5], v[12:13]
	v_mul_f64 v[12:13], v[2:3], v[12:13]
	v_fmac_f64_e32 v[12:13], v[4:5], v[10:11]
	v_fma_f64 v[2:3], v[2:3], v[10:11], -v[6:7]
	v_mov_b64_e32 v[4:5], v[12:13]
.LBB30_102:
	s_and_saveexec_b64 s[8:9], s[2:3]
	s_cbranch_execz .LBB30_106
; %bb.103:
	v_mov_b32_e32 v7, 0
	v_subrev_u32_e32 v6, 18, v0
	v_add_u32_e32 v7, 0x128, v7
	s_movk_i32 s10, 0x310
	s_mov_b64 s[2:3], 0
.LBB30_104:                             ; =>This Inner Loop Header: Depth=1
	v_add_u32_e32 v10, -8, v7
	scratch_load_dwordx4 v[10:13], v10, off
	v_mov_b32_e32 v106, s10
	ds_read_b128 v[106:109], v106
	v_add_u32_e32 v6, -1, v6
	s_add_i32 s10, s10, 16
	v_cmp_eq_u32_e32 vcc, 0, v6
	v_add_u32_e32 v7, 16, v7
	s_or_b64 s[2:3], vcc, s[2:3]
	s_waitcnt vmcnt(0) lgkmcnt(0)
	v_mul_f64 v[110:111], v[108:109], v[12:13]
	v_mul_f64 v[12:13], v[106:107], v[12:13]
	v_fma_f64 v[106:107], v[106:107], v[10:11], -v[110:111]
	v_fmac_f64_e32 v[12:13], v[108:109], v[10:11]
	v_add_f64 v[2:3], v[2:3], v[106:107]
	v_add_f64 v[4:5], v[4:5], v[12:13]
	s_andn2_b64 exec, exec, s[2:3]
	s_cbranch_execnz .LBB30_104
; %bb.105:
	s_or_b64 exec, exec, s[2:3]
.LBB30_106:
	s_or_b64 exec, exec, s[8:9]
	v_mov_b32_e32 v6, 0
	ds_read_b128 v[10:13], v6 offset:272
	s_waitcnt lgkmcnt(0)
	v_mul_f64 v[6:7], v[4:5], v[12:13]
	v_mul_f64 v[108:109], v[2:3], v[12:13]
	v_fma_f64 v[106:107], v[2:3], v[10:11], -v[6:7]
	v_fmac_f64_e32 v[108:109], v[4:5], v[10:11]
	scratch_store_dwordx4 off, v[106:109], off offset:272
.LBB30_107:
	s_or_b64 exec, exec, s[4:5]
	scratch_load_dwordx4 v[2:5], v91, off
	v_cmp_lt_u32_e64 s[2:3], 16, v0
	s_waitcnt vmcnt(0)
	ds_write_b128 v9, v[2:5]
	s_waitcnt lgkmcnt(0)
	; wave barrier
	s_waitcnt lgkmcnt(0)
	s_and_saveexec_b64 s[4:5], s[2:3]
	s_cbranch_execz .LBB30_115
; %bb.108:
	ds_read_b128 v[2:5], v9
	s_andn2_b64 vcc, exec, s[6:7]
	s_cbranch_vccnz .LBB30_110
; %bb.109:
	scratch_load_dwordx4 v[10:13], v8, off
	s_waitcnt vmcnt(0) lgkmcnt(0)
	v_mul_f64 v[6:7], v[4:5], v[12:13]
	v_mul_f64 v[12:13], v[2:3], v[12:13]
	v_fmac_f64_e32 v[12:13], v[4:5], v[10:11]
	v_fma_f64 v[2:3], v[2:3], v[10:11], -v[6:7]
	v_mov_b64_e32 v[4:5], v[12:13]
.LBB30_110:
	s_and_saveexec_b64 s[8:9], s[0:1]
	s_cbranch_execz .LBB30_114
; %bb.111:
	v_mov_b32_e32 v7, 0
	v_subrev_u32_e32 v6, 17, v0
	v_add_u32_e32 v7, 0x118, v7
	s_movk_i32 s10, 0x300
	s_mov_b64 s[0:1], 0
.LBB30_112:                             ; =>This Inner Loop Header: Depth=1
	v_add_u32_e32 v10, -8, v7
	scratch_load_dwordx4 v[10:13], v10, off
	v_mov_b32_e32 v106, s10
	ds_read_b128 v[106:109], v106
	v_add_u32_e32 v6, -1, v6
	s_add_i32 s10, s10, 16
	v_cmp_eq_u32_e32 vcc, 0, v6
	v_add_u32_e32 v7, 16, v7
	s_or_b64 s[0:1], vcc, s[0:1]
	s_waitcnt vmcnt(0) lgkmcnt(0)
	v_mul_f64 v[110:111], v[108:109], v[12:13]
	v_mul_f64 v[12:13], v[106:107], v[12:13]
	v_fma_f64 v[106:107], v[106:107], v[10:11], -v[110:111]
	v_fmac_f64_e32 v[12:13], v[108:109], v[10:11]
	v_add_f64 v[2:3], v[2:3], v[106:107]
	v_add_f64 v[4:5], v[4:5], v[12:13]
	s_andn2_b64 exec, exec, s[0:1]
	s_cbranch_execnz .LBB30_112
; %bb.113:
	s_or_b64 exec, exec, s[0:1]
.LBB30_114:
	s_or_b64 exec, exec, s[8:9]
	v_mov_b32_e32 v6, 0
	ds_read_b128 v[10:13], v6 offset:256
	s_waitcnt lgkmcnt(0)
	v_mul_f64 v[6:7], v[4:5], v[12:13]
	v_mul_f64 v[108:109], v[2:3], v[12:13]
	v_fma_f64 v[106:107], v[2:3], v[10:11], -v[6:7]
	v_fmac_f64_e32 v[108:109], v[4:5], v[10:11]
	scratch_store_dwordx4 off, v[106:109], off offset:256
.LBB30_115:
	s_or_b64 exec, exec, s[4:5]
	scratch_load_dwordx4 v[2:5], v90, off
	v_cmp_lt_u32_e64 s[0:1], 15, v0
	s_waitcnt vmcnt(0)
	ds_write_b128 v9, v[2:5]
	s_waitcnt lgkmcnt(0)
	; wave barrier
	s_waitcnt lgkmcnt(0)
	s_and_saveexec_b64 s[4:5], s[0:1]
	s_cbranch_execz .LBB30_123
; %bb.116:
	ds_read_b128 v[2:5], v9
	s_andn2_b64 vcc, exec, s[6:7]
	s_cbranch_vccnz .LBB30_118
; %bb.117:
	scratch_load_dwordx4 v[10:13], v8, off
	s_waitcnt vmcnt(0) lgkmcnt(0)
	v_mul_f64 v[6:7], v[4:5], v[12:13]
	v_mul_f64 v[12:13], v[2:3], v[12:13]
	v_fmac_f64_e32 v[12:13], v[4:5], v[10:11]
	v_fma_f64 v[2:3], v[2:3], v[10:11], -v[6:7]
	v_mov_b64_e32 v[4:5], v[12:13]
.LBB30_118:
	s_and_saveexec_b64 s[8:9], s[2:3]
	s_cbranch_execz .LBB30_122
; %bb.119:
	v_mov_b32_e32 v7, 0
	v_add_u32_e32 v6, -16, v0
	v_add_u32_e32 v7, 0x108, v7
	s_movk_i32 s10, 0x2f0
	s_mov_b64 s[2:3], 0
.LBB30_120:                             ; =>This Inner Loop Header: Depth=1
	v_add_u32_e32 v10, -8, v7
	scratch_load_dwordx4 v[10:13], v10, off
	v_mov_b32_e32 v106, s10
	ds_read_b128 v[106:109], v106
	v_add_u32_e32 v6, -1, v6
	s_add_i32 s10, s10, 16
	v_cmp_eq_u32_e32 vcc, 0, v6
	v_add_u32_e32 v7, 16, v7
	s_or_b64 s[2:3], vcc, s[2:3]
	s_waitcnt vmcnt(0) lgkmcnt(0)
	v_mul_f64 v[110:111], v[108:109], v[12:13]
	v_mul_f64 v[12:13], v[106:107], v[12:13]
	v_fma_f64 v[106:107], v[106:107], v[10:11], -v[110:111]
	v_fmac_f64_e32 v[12:13], v[108:109], v[10:11]
	v_add_f64 v[2:3], v[2:3], v[106:107]
	v_add_f64 v[4:5], v[4:5], v[12:13]
	s_andn2_b64 exec, exec, s[2:3]
	s_cbranch_execnz .LBB30_120
; %bb.121:
	s_or_b64 exec, exec, s[2:3]
.LBB30_122:
	s_or_b64 exec, exec, s[8:9]
	v_mov_b32_e32 v6, 0
	ds_read_b128 v[10:13], v6 offset:240
	s_waitcnt lgkmcnt(0)
	v_mul_f64 v[6:7], v[4:5], v[12:13]
	v_mul_f64 v[108:109], v[2:3], v[12:13]
	v_fma_f64 v[106:107], v[2:3], v[10:11], -v[6:7]
	v_fmac_f64_e32 v[108:109], v[4:5], v[10:11]
	scratch_store_dwordx4 off, v[106:109], off offset:240
.LBB30_123:
	s_or_b64 exec, exec, s[4:5]
	scratch_load_dwordx4 v[2:5], v93, off
	v_cmp_lt_u32_e64 s[2:3], 14, v0
	s_waitcnt vmcnt(0)
	ds_write_b128 v9, v[2:5]
	s_waitcnt lgkmcnt(0)
	; wave barrier
	s_waitcnt lgkmcnt(0)
	s_and_saveexec_b64 s[4:5], s[2:3]
	s_cbranch_execz .LBB30_131
; %bb.124:
	ds_read_b128 v[2:5], v9
	s_andn2_b64 vcc, exec, s[6:7]
	s_cbranch_vccnz .LBB30_126
; %bb.125:
	scratch_load_dwordx4 v[10:13], v8, off
	s_waitcnt vmcnt(0) lgkmcnt(0)
	v_mul_f64 v[6:7], v[4:5], v[12:13]
	v_mul_f64 v[12:13], v[2:3], v[12:13]
	v_fmac_f64_e32 v[12:13], v[4:5], v[10:11]
	v_fma_f64 v[2:3], v[2:3], v[10:11], -v[6:7]
	v_mov_b64_e32 v[4:5], v[12:13]
.LBB30_126:
	s_and_saveexec_b64 s[8:9], s[0:1]
	s_cbranch_execz .LBB30_130
; %bb.127:
	v_mov_b32_e32 v7, 0
	v_add_u32_e32 v6, -15, v0
	v_add_u32_e32 v7, 0xf8, v7
	s_movk_i32 s10, 0x2e0
	s_mov_b64 s[0:1], 0
.LBB30_128:                             ; =>This Inner Loop Header: Depth=1
	v_add_u32_e32 v10, -8, v7
	scratch_load_dwordx4 v[10:13], v10, off
	v_mov_b32_e32 v106, s10
	ds_read_b128 v[106:109], v106
	v_add_u32_e32 v6, -1, v6
	s_add_i32 s10, s10, 16
	v_cmp_eq_u32_e32 vcc, 0, v6
	v_add_u32_e32 v7, 16, v7
	s_or_b64 s[0:1], vcc, s[0:1]
	s_waitcnt vmcnt(0) lgkmcnt(0)
	v_mul_f64 v[110:111], v[108:109], v[12:13]
	v_mul_f64 v[12:13], v[106:107], v[12:13]
	v_fma_f64 v[106:107], v[106:107], v[10:11], -v[110:111]
	v_fmac_f64_e32 v[12:13], v[108:109], v[10:11]
	v_add_f64 v[2:3], v[2:3], v[106:107]
	v_add_f64 v[4:5], v[4:5], v[12:13]
	s_andn2_b64 exec, exec, s[0:1]
	s_cbranch_execnz .LBB30_128
; %bb.129:
	s_or_b64 exec, exec, s[0:1]
.LBB30_130:
	s_or_b64 exec, exec, s[8:9]
	v_mov_b32_e32 v6, 0
	ds_read_b128 v[10:13], v6 offset:224
	s_waitcnt lgkmcnt(0)
	v_mul_f64 v[6:7], v[4:5], v[12:13]
	v_mul_f64 v[108:109], v[2:3], v[12:13]
	v_fma_f64 v[106:107], v[2:3], v[10:11], -v[6:7]
	v_fmac_f64_e32 v[108:109], v[4:5], v[10:11]
	scratch_store_dwordx4 off, v[106:109], off offset:224
.LBB30_131:
	;; [unrolled: 63-line block ×15, first 2 shown]
	s_or_b64 exec, exec, s[4:5]
	scratch_load_dwordx4 v[2:5], off, off
	v_cmp_ne_u32_e32 vcc, 0, v0
	s_mov_b64 s[2:3], 0
	s_mov_b64 s[4:5], 0
                                        ; implicit-def: $vgpr6_vgpr7
                                        ; implicit-def: $vgpr10
	s_waitcnt vmcnt(0)
	ds_write_b128 v9, v[2:5]
	s_waitcnt lgkmcnt(0)
	; wave barrier
	s_waitcnt lgkmcnt(0)
	s_and_saveexec_b64 s[8:9], vcc
	s_cbranch_execz .LBB30_243
; %bb.236:
	ds_read_b128 v[2:5], v9
	s_andn2_b64 vcc, exec, s[6:7]
	s_cbranch_vccnz .LBB30_238
; %bb.237:
	scratch_load_dwordx4 v[10:13], v8, off
	s_waitcnt vmcnt(0) lgkmcnt(0)
	v_mul_f64 v[6:7], v[4:5], v[12:13]
	v_mul_f64 v[12:13], v[2:3], v[12:13]
	v_fmac_f64_e32 v[12:13], v[4:5], v[10:11]
	v_fma_f64 v[2:3], v[2:3], v[10:11], -v[6:7]
	v_mov_b64_e32 v[4:5], v[12:13]
.LBB30_238:
	s_and_saveexec_b64 s[4:5], s[0:1]
	s_cbranch_execz .LBB30_242
; %bb.239:
	v_mov_b32_e32 v7, 0
	v_add_u32_e32 v6, -1, v0
	v_add_u32_e32 v7, 24, v7
	s_movk_i32 s10, 0x200
	s_mov_b64 s[0:1], 0
.LBB30_240:                             ; =>This Inner Loop Header: Depth=1
	v_add_u32_e32 v10, -8, v7
	scratch_load_dwordx4 v[10:13], v10, off
	v_mov_b32_e32 v106, s10
	ds_read_b128 v[106:109], v106
	v_add_u32_e32 v6, -1, v6
	s_add_i32 s10, s10, 16
	v_cmp_eq_u32_e32 vcc, 0, v6
	v_add_u32_e32 v7, 16, v7
	s_or_b64 s[0:1], vcc, s[0:1]
	s_waitcnt vmcnt(0) lgkmcnt(0)
	v_mul_f64 v[110:111], v[108:109], v[12:13]
	v_mul_f64 v[12:13], v[106:107], v[12:13]
	v_fma_f64 v[106:107], v[106:107], v[10:11], -v[110:111]
	v_fmac_f64_e32 v[12:13], v[108:109], v[10:11]
	v_add_f64 v[2:3], v[2:3], v[106:107]
	v_add_f64 v[4:5], v[4:5], v[12:13]
	s_andn2_b64 exec, exec, s[0:1]
	s_cbranch_execnz .LBB30_240
; %bb.241:
	s_or_b64 exec, exec, s[0:1]
.LBB30_242:
	s_or_b64 exec, exec, s[4:5]
	v_mov_b32_e32 v6, 0
	ds_read_b128 v[106:109], v6
	v_mov_b32_e32 v6, 0
	v_or_b32_e32 v10, 8, v6
	s_mov_b64 s[4:5], exec
	s_waitcnt lgkmcnt(0)
	v_mul_f64 v[12:13], v[4:5], v[108:109]
	v_mul_f64 v[6:7], v[2:3], v[108:109]
	v_fma_f64 v[2:3], v[2:3], v[106:107], -v[12:13]
	v_fmac_f64_e32 v[6:7], v[4:5], v[106:107]
	scratch_store_dwordx2 off, v[2:3], off
.LBB30_243:
	s_or_b64 exec, exec, s[8:9]
	s_and_b64 vcc, exec, s[2:3]
	s_cbranch_vccnz .LBB30_245
	s_branch .LBB30_480
.LBB30_244:
	s_mov_b64 s[4:5], 0
                                        ; implicit-def: $vgpr6_vgpr7
                                        ; implicit-def: $vgpr10
	s_cbranch_execz .LBB30_480
.LBB30_245:
	scratch_load_dwordx4 v[2:5], v97, off
	v_cndmask_b32_e64 v6, 0, 1, s[6:7]
	v_cmp_eq_u32_e64 s[2:3], 0, v0
	v_cmp_ne_u32_e64 s[0:1], 1, v6
	s_waitcnt vmcnt(0)
	ds_write_b128 v9, v[2:5]
	s_waitcnt lgkmcnt(0)
	; wave barrier
	s_waitcnt lgkmcnt(0)
	s_and_saveexec_b64 s[6:7], s[2:3]
	s_cbranch_execz .LBB30_249
; %bb.246:
	ds_read_b128 v[2:5], v9
	s_and_b64 vcc, exec, s[0:1]
	s_cbranch_vccnz .LBB30_248
; %bb.247:
	scratch_load_dwordx4 v[10:13], v8, off
	s_waitcnt vmcnt(0) lgkmcnt(0)
	v_mul_f64 v[6:7], v[4:5], v[12:13]
	v_mul_f64 v[12:13], v[2:3], v[12:13]
	v_fmac_f64_e32 v[12:13], v[4:5], v[10:11]
	v_fma_f64 v[2:3], v[2:3], v[10:11], -v[6:7]
	v_mov_b64_e32 v[4:5], v[12:13]
.LBB30_248:
	v_mov_b32_e32 v6, 0
	ds_read_b128 v[10:13], v6 offset:16
	s_waitcnt lgkmcnt(0)
	v_mul_f64 v[6:7], v[4:5], v[12:13]
	v_mul_f64 v[108:109], v[2:3], v[12:13]
	v_fma_f64 v[106:107], v[2:3], v[10:11], -v[6:7]
	v_fmac_f64_e32 v[108:109], v[4:5], v[10:11]
	scratch_store_dwordx4 off, v[106:109], off offset:16
.LBB30_249:
	s_or_b64 exec, exec, s[6:7]
	scratch_load_dwordx4 v[2:5], v101, off
	v_cmp_gt_u32_e32 vcc, 2, v0
	s_waitcnt vmcnt(0)
	ds_write_b128 v9, v[2:5]
	s_waitcnt lgkmcnt(0)
	; wave barrier
	s_waitcnt lgkmcnt(0)
	s_and_saveexec_b64 s[6:7], vcc
	s_cbranch_execz .LBB30_255
; %bb.250:
	ds_read_b128 v[2:5], v9
	s_and_b64 vcc, exec, s[0:1]
	s_cbranch_vccnz .LBB30_252
; %bb.251:
	scratch_load_dwordx4 v[10:13], v8, off
	s_waitcnt vmcnt(0) lgkmcnt(0)
	v_mul_f64 v[6:7], v[4:5], v[12:13]
	v_mul_f64 v[12:13], v[2:3], v[12:13]
	v_fmac_f64_e32 v[12:13], v[4:5], v[10:11]
	v_fma_f64 v[2:3], v[2:3], v[10:11], -v[6:7]
	v_mov_b64_e32 v[4:5], v[12:13]
.LBB30_252:
	s_and_saveexec_b64 s[8:9], s[2:3]
	s_cbranch_execz .LBB30_254
; %bb.253:
	scratch_load_dwordx4 v[10:13], v8, off offset:16
	ds_read_b128 v[106:109], v9 offset:16
	s_waitcnt vmcnt(0) lgkmcnt(0)
	v_mul_f64 v[6:7], v[108:109], v[12:13]
	v_mul_f64 v[12:13], v[106:107], v[12:13]
	v_fma_f64 v[6:7], v[106:107], v[10:11], -v[6:7]
	v_fmac_f64_e32 v[12:13], v[108:109], v[10:11]
	v_add_f64 v[2:3], v[2:3], v[6:7]
	v_add_f64 v[4:5], v[4:5], v[12:13]
.LBB30_254:
	s_or_b64 exec, exec, s[8:9]
	v_mov_b32_e32 v6, 0
	ds_read_b128 v[10:13], v6 offset:32
	s_waitcnt lgkmcnt(0)
	v_mul_f64 v[6:7], v[4:5], v[12:13]
	v_mul_f64 v[108:109], v[2:3], v[12:13]
	v_fma_f64 v[106:107], v[2:3], v[10:11], -v[6:7]
	v_fmac_f64_e32 v[108:109], v[4:5], v[10:11]
	scratch_store_dwordx4 off, v[106:109], off offset:32
.LBB30_255:
	s_or_b64 exec, exec, s[6:7]
	scratch_load_dwordx4 v[2:5], v96, off
	v_cmp_gt_u32_e32 vcc, 3, v0
	s_waitcnt vmcnt(0)
	ds_write_b128 v9, v[2:5]
	s_waitcnt lgkmcnt(0)
	; wave barrier
	s_waitcnt lgkmcnt(0)
	s_and_saveexec_b64 s[6:7], vcc
	s_cbranch_execz .LBB30_263
; %bb.256:
	ds_read_b128 v[2:5], v9
	s_and_b64 vcc, exec, s[0:1]
	s_cbranch_vccnz .LBB30_258
; %bb.257:
	scratch_load_dwordx4 v[10:13], v8, off
	s_waitcnt vmcnt(0) lgkmcnt(0)
	v_mul_f64 v[6:7], v[4:5], v[12:13]
	v_mul_f64 v[12:13], v[2:3], v[12:13]
	v_fmac_f64_e32 v[12:13], v[4:5], v[10:11]
	v_fma_f64 v[2:3], v[2:3], v[10:11], -v[6:7]
	v_mov_b64_e32 v[4:5], v[12:13]
.LBB30_258:
	v_cmp_ne_u32_e32 vcc, 2, v0
	s_and_saveexec_b64 s[8:9], vcc
	s_cbranch_execz .LBB30_262
; %bb.259:
	scratch_load_dwordx4 v[10:13], v8, off offset:16
	ds_read_b128 v[106:109], v9 offset:16
	s_waitcnt vmcnt(0) lgkmcnt(0)
	v_mul_f64 v[6:7], v[108:109], v[12:13]
	v_mul_f64 v[12:13], v[106:107], v[12:13]
	v_fma_f64 v[6:7], v[106:107], v[10:11], -v[6:7]
	v_fmac_f64_e32 v[12:13], v[108:109], v[10:11]
	v_add_f64 v[2:3], v[2:3], v[6:7]
	v_add_f64 v[4:5], v[4:5], v[12:13]
	s_and_saveexec_b64 s[10:11], s[2:3]
	s_cbranch_execz .LBB30_261
; %bb.260:
	scratch_load_dwordx4 v[10:13], off, off offset:32
	v_mov_b32_e32 v6, 0
	ds_read_b128 v[106:109], v6 offset:528
	s_waitcnt vmcnt(0) lgkmcnt(0)
	v_mul_f64 v[6:7], v[106:107], v[12:13]
	v_mul_f64 v[12:13], v[108:109], v[12:13]
	v_fmac_f64_e32 v[6:7], v[108:109], v[10:11]
	v_fma_f64 v[10:11], v[106:107], v[10:11], -v[12:13]
	v_add_f64 v[4:5], v[4:5], v[6:7]
	v_add_f64 v[2:3], v[2:3], v[10:11]
.LBB30_261:
	s_or_b64 exec, exec, s[10:11]
.LBB30_262:
	s_or_b64 exec, exec, s[8:9]
	v_mov_b32_e32 v6, 0
	ds_read_b128 v[10:13], v6 offset:48
	s_waitcnt lgkmcnt(0)
	v_mul_f64 v[6:7], v[4:5], v[12:13]
	v_mul_f64 v[108:109], v[2:3], v[12:13]
	v_fma_f64 v[106:107], v[2:3], v[10:11], -v[6:7]
	v_fmac_f64_e32 v[108:109], v[4:5], v[10:11]
	scratch_store_dwordx4 off, v[106:109], off offset:48
.LBB30_263:
	s_or_b64 exec, exec, s[6:7]
	scratch_load_dwordx4 v[2:5], v102, off
	v_cmp_gt_u32_e32 vcc, 4, v0
	s_waitcnt vmcnt(0)
	ds_write_b128 v9, v[2:5]
	s_waitcnt lgkmcnt(0)
	; wave barrier
	s_waitcnt lgkmcnt(0)
	s_and_saveexec_b64 s[2:3], vcc
	s_cbranch_execz .LBB30_271
; %bb.264:
	ds_read_b128 v[2:5], v9
	s_and_b64 vcc, exec, s[0:1]
	s_cbranch_vccnz .LBB30_266
; %bb.265:
	scratch_load_dwordx4 v[10:13], v8, off
	s_waitcnt vmcnt(0) lgkmcnt(0)
	v_mul_f64 v[6:7], v[4:5], v[12:13]
	v_mul_f64 v[12:13], v[2:3], v[12:13]
	v_fmac_f64_e32 v[12:13], v[4:5], v[10:11]
	v_fma_f64 v[2:3], v[2:3], v[10:11], -v[6:7]
	v_mov_b64_e32 v[4:5], v[12:13]
.LBB30_266:
	v_cmp_ne_u32_e32 vcc, 3, v0
	s_and_saveexec_b64 s[6:7], vcc
	s_cbranch_execz .LBB30_270
; %bb.267:
	v_mov_b32_e32 v7, 0
	v_add_u32_e32 v6, 0x200, v64
	v_add3_u32 v7, v64, v7, 24
	s_mov_b64 s[8:9], 0
	v_mov_b32_e32 v10, v0
.LBB30_268:                             ; =>This Inner Loop Header: Depth=1
	v_add_u32_e32 v11, -8, v7
	scratch_load_dwordx4 v[106:109], v11, off
	ds_read_b128 v[110:113], v6
	v_add_u32_e32 v10, 1, v10
	v_cmp_lt_u32_e32 vcc, 2, v10
	v_add_u32_e32 v6, 16, v6
	v_add_u32_e32 v7, 16, v7
	s_or_b64 s[8:9], vcc, s[8:9]
	s_waitcnt vmcnt(0) lgkmcnt(0)
	v_mul_f64 v[12:13], v[112:113], v[108:109]
	v_mul_f64 v[108:109], v[110:111], v[108:109]
	v_fma_f64 v[12:13], v[110:111], v[106:107], -v[12:13]
	v_fmac_f64_e32 v[108:109], v[112:113], v[106:107]
	v_add_f64 v[2:3], v[2:3], v[12:13]
	v_add_f64 v[4:5], v[4:5], v[108:109]
	s_andn2_b64 exec, exec, s[8:9]
	s_cbranch_execnz .LBB30_268
; %bb.269:
	s_or_b64 exec, exec, s[8:9]
.LBB30_270:
	s_or_b64 exec, exec, s[6:7]
	v_mov_b32_e32 v6, 0
	ds_read_b128 v[10:13], v6 offset:64
	s_waitcnt lgkmcnt(0)
	v_mul_f64 v[6:7], v[4:5], v[12:13]
	v_mul_f64 v[108:109], v[2:3], v[12:13]
	v_fma_f64 v[106:107], v[2:3], v[10:11], -v[6:7]
	v_fmac_f64_e32 v[108:109], v[4:5], v[10:11]
	scratch_store_dwordx4 off, v[106:109], off offset:64
.LBB30_271:
	s_or_b64 exec, exec, s[2:3]
	scratch_load_dwordx4 v[2:5], v99, off
	v_cmp_gt_u32_e32 vcc, 5, v0
	s_waitcnt vmcnt(0)
	ds_write_b128 v9, v[2:5]
	s_waitcnt lgkmcnt(0)
	; wave barrier
	s_waitcnt lgkmcnt(0)
	s_and_saveexec_b64 s[2:3], vcc
	s_cbranch_execz .LBB30_279
; %bb.272:
	ds_read_b128 v[2:5], v9
	s_and_b64 vcc, exec, s[0:1]
	s_cbranch_vccnz .LBB30_274
; %bb.273:
	scratch_load_dwordx4 v[10:13], v8, off
	s_waitcnt vmcnt(0) lgkmcnt(0)
	v_mul_f64 v[6:7], v[4:5], v[12:13]
	v_mul_f64 v[12:13], v[2:3], v[12:13]
	v_fmac_f64_e32 v[12:13], v[4:5], v[10:11]
	v_fma_f64 v[2:3], v[2:3], v[10:11], -v[6:7]
	v_mov_b64_e32 v[4:5], v[12:13]
.LBB30_274:
	v_cmp_ne_u32_e32 vcc, 4, v0
	s_and_saveexec_b64 s[6:7], vcc
	s_cbranch_execz .LBB30_278
; %bb.275:
	v_mov_b32_e32 v7, 0
	v_add_u32_e32 v6, 0x200, v64
	v_add3_u32 v7, v64, v7, 24
	s_mov_b64 s[8:9], 0
	v_mov_b32_e32 v10, v0
.LBB30_276:                             ; =>This Inner Loop Header: Depth=1
	v_add_u32_e32 v11, -8, v7
	scratch_load_dwordx4 v[106:109], v11, off
	ds_read_b128 v[110:113], v6
	v_add_u32_e32 v10, 1, v10
	v_cmp_lt_u32_e32 vcc, 3, v10
	v_add_u32_e32 v6, 16, v6
	v_add_u32_e32 v7, 16, v7
	s_or_b64 s[8:9], vcc, s[8:9]
	s_waitcnt vmcnt(0) lgkmcnt(0)
	v_mul_f64 v[12:13], v[112:113], v[108:109]
	v_mul_f64 v[108:109], v[110:111], v[108:109]
	v_fma_f64 v[12:13], v[110:111], v[106:107], -v[12:13]
	v_fmac_f64_e32 v[108:109], v[112:113], v[106:107]
	v_add_f64 v[2:3], v[2:3], v[12:13]
	v_add_f64 v[4:5], v[4:5], v[108:109]
	s_andn2_b64 exec, exec, s[8:9]
	s_cbranch_execnz .LBB30_276
; %bb.277:
	s_or_b64 exec, exec, s[8:9]
.LBB30_278:
	s_or_b64 exec, exec, s[6:7]
	v_mov_b32_e32 v6, 0
	ds_read_b128 v[10:13], v6 offset:80
	s_waitcnt lgkmcnt(0)
	v_mul_f64 v[6:7], v[4:5], v[12:13]
	v_mul_f64 v[108:109], v[2:3], v[12:13]
	v_fma_f64 v[106:107], v[2:3], v[10:11], -v[6:7]
	v_fmac_f64_e32 v[108:109], v[4:5], v[10:11]
	scratch_store_dwordx4 off, v[106:109], off offset:80
.LBB30_279:
	;; [unrolled: 63-line block ×25, first 2 shown]
	s_or_b64 exec, exec, s[2:3]
	scratch_load_dwordx4 v[2:5], v1, off
	v_cmp_gt_u32_e64 s[2:3], 29, v0
	s_waitcnt vmcnt(0)
	ds_write_b128 v9, v[2:5]
	s_waitcnt lgkmcnt(0)
	; wave barrier
	s_waitcnt lgkmcnt(0)
	s_and_saveexec_b64 s[6:7], s[2:3]
	s_cbranch_execz .LBB30_471
; %bb.464:
	ds_read_b128 v[2:5], v9
	s_and_b64 vcc, exec, s[0:1]
	s_cbranch_vccnz .LBB30_466
; %bb.465:
	scratch_load_dwordx4 v[10:13], v8, off
	s_waitcnt vmcnt(0) lgkmcnt(0)
	v_mul_f64 v[6:7], v[4:5], v[12:13]
	v_mul_f64 v[12:13], v[2:3], v[12:13]
	v_fmac_f64_e32 v[12:13], v[4:5], v[10:11]
	v_fma_f64 v[2:3], v[2:3], v[10:11], -v[6:7]
	v_mov_b64_e32 v[4:5], v[12:13]
.LBB30_466:
	v_cmp_ne_u32_e32 vcc, 28, v0
	s_and_saveexec_b64 s[8:9], vcc
	s_cbranch_execz .LBB30_470
; %bb.467:
	v_mov_b32_e32 v7, 0
	v_add_u32_e32 v6, 0x200, v64
	v_add3_u32 v7, v64, v7, 24
	s_mov_b64 s[10:11], 0
	v_mov_b32_e32 v10, v0
.LBB30_468:                             ; =>This Inner Loop Header: Depth=1
	v_add_u32_e32 v11, -8, v7
	scratch_load_dwordx4 v[106:109], v11, off
	ds_read_b128 v[110:113], v6
	v_add_u32_e32 v10, 1, v10
	v_cmp_lt_u32_e32 vcc, 27, v10
	v_add_u32_e32 v6, 16, v6
	v_add_u32_e32 v7, 16, v7
	s_or_b64 s[10:11], vcc, s[10:11]
	s_waitcnt vmcnt(0) lgkmcnt(0)
	v_mul_f64 v[12:13], v[112:113], v[108:109]
	v_mul_f64 v[108:109], v[110:111], v[108:109]
	v_fma_f64 v[12:13], v[110:111], v[106:107], -v[12:13]
	v_fmac_f64_e32 v[108:109], v[112:113], v[106:107]
	v_add_f64 v[2:3], v[2:3], v[12:13]
	v_add_f64 v[4:5], v[4:5], v[108:109]
	s_andn2_b64 exec, exec, s[10:11]
	s_cbranch_execnz .LBB30_468
; %bb.469:
	s_or_b64 exec, exec, s[10:11]
.LBB30_470:
	s_or_b64 exec, exec, s[8:9]
	v_mov_b32_e32 v6, 0
	ds_read_b128 v[10:13], v6 offset:464
	s_waitcnt lgkmcnt(0)
	v_mul_f64 v[6:7], v[4:5], v[12:13]
	v_mul_f64 v[108:109], v[2:3], v[12:13]
	v_fma_f64 v[106:107], v[2:3], v[10:11], -v[6:7]
	v_fmac_f64_e32 v[108:109], v[4:5], v[10:11]
	scratch_store_dwordx4 off, v[106:109], off offset:464
.LBB30_471:
	s_or_b64 exec, exec, s[6:7]
	scratch_load_dwordx4 v[2:5], v65, off
	v_cmp_ne_u32_e32 vcc, 30, v0
                                        ; implicit-def: $vgpr6_vgpr7
                                        ; implicit-def: $vgpr10
	s_waitcnt vmcnt(0)
	ds_write_b128 v9, v[2:5]
	s_waitcnt lgkmcnt(0)
	; wave barrier
	s_waitcnt lgkmcnt(0)
	s_and_saveexec_b64 s[6:7], vcc
	s_cbranch_execz .LBB30_479
; %bb.472:
	ds_read_b128 v[2:5], v9
	s_and_b64 vcc, exec, s[0:1]
	s_cbranch_vccnz .LBB30_474
; %bb.473:
	scratch_load_dwordx4 v[6:9], v8, off
	s_waitcnt vmcnt(0) lgkmcnt(0)
	v_mul_f64 v[10:11], v[4:5], v[8:9]
	v_mul_f64 v[8:9], v[2:3], v[8:9]
	v_fmac_f64_e32 v[8:9], v[4:5], v[6:7]
	v_fma_f64 v[2:3], v[2:3], v[6:7], -v[10:11]
	v_mov_b64_e32 v[4:5], v[8:9]
.LBB30_474:
	s_and_saveexec_b64 s[0:1], s[2:3]
	s_cbranch_execz .LBB30_478
; %bb.475:
	v_mov_b32_e32 v7, 0
	v_add_u32_e32 v6, 0x200, v64
	v_add3_u32 v7, v64, v7, 24
	s_mov_b64 s[2:3], 0
.LBB30_476:                             ; =>This Inner Loop Header: Depth=1
	v_add_u32_e32 v8, -8, v7
	scratch_load_dwordx4 v[8:11], v8, off
	ds_read_b128 v[106:109], v6
	v_add_u32_e32 v0, 1, v0
	v_cmp_lt_u32_e32 vcc, 28, v0
	v_add_u32_e32 v6, 16, v6
	v_add_u32_e32 v7, 16, v7
	s_or_b64 s[2:3], vcc, s[2:3]
	s_waitcnt vmcnt(0) lgkmcnt(0)
	v_mul_f64 v[12:13], v[108:109], v[10:11]
	v_mul_f64 v[10:11], v[106:107], v[10:11]
	v_fma_f64 v[12:13], v[106:107], v[8:9], -v[12:13]
	v_fmac_f64_e32 v[10:11], v[108:109], v[8:9]
	v_add_f64 v[2:3], v[2:3], v[12:13]
	v_add_f64 v[4:5], v[4:5], v[10:11]
	s_andn2_b64 exec, exec, s[2:3]
	s_cbranch_execnz .LBB30_476
; %bb.477:
	s_or_b64 exec, exec, s[2:3]
.LBB30_478:
	s_or_b64 exec, exec, s[0:1]
	v_mov_b32_e32 v0, 0
	ds_read_b128 v[106:109], v0 offset:480
	v_mov_b32_e32 v0, 0
	v_add_u32_e32 v10, 0x1e8, v0
	s_or_b64 s[4:5], s[4:5], exec
	s_waitcnt lgkmcnt(0)
	v_mul_f64 v[8:9], v[4:5], v[108:109]
	v_mul_f64 v[6:7], v[2:3], v[108:109]
	v_fma_f64 v[2:3], v[2:3], v[106:107], -v[8:9]
	v_fmac_f64_e32 v[6:7], v[4:5], v[106:107]
	scratch_store_dwordx2 off, v[2:3], off offset:480
.LBB30_479:
	s_or_b64 exec, exec, s[6:7]
.LBB30_480:
	s_and_saveexec_b64 s[0:1], s[4:5]
	s_cbranch_execz .LBB30_482
; %bb.481:
	scratch_store_dwordx2 v10, v[6:7], off
.LBB30_482:
	s_or_b64 exec, exec, s[0:1]
	scratch_load_dwordx4 v[2:5], off, off
	scratch_load_dwordx4 v[6:9], v97, off
	scratch_load_dwordx4 v[10:13], v101, off
	;; [unrolled: 1-line block ×8, first 2 shown]
                                        ; kill: killed $vgpr105
                                        ; kill: killed $vgpr101
                                        ; kill: killed $vgpr102
                                        ; kill: killed $vgpr104
                                        ; kill: killed $vgpr97
                                        ; kill: killed $vgpr103
                                        ; kill: killed $vgpr96
                                        ; kill: killed $vgpr99
	s_nop 0
	scratch_load_dwordx4 v[100:103], v100, off
	s_waitcnt vmcnt(9)
	global_store_dwordx4 v[14:15], v[2:5], off
	scratch_load_dwordx4 v[2:5], v98, off
	s_waitcnt vmcnt(10)
	global_store_dwordx4 v[16:17], v[6:9], off
	scratch_load_dwordx4 v[6:9], v95, off
	s_nop 0
	scratch_load_dwordx4 v[14:17], v94, off
	s_waitcnt vmcnt(12)
	global_store_dwordx4 v[18:19], v[10:13], off
	scratch_load_dwordx4 v[10:13], v92, off
	s_nop 0
	;; [unrolled: 5-line block ×10, first 2 shown]
	scratch_load_dwordx4 v[78:81], v65, off
	s_waitcnt vmcnt(28)
	global_store_dwordx4 v[36:37], v[6:9], off
	s_waitcnt vmcnt(28)
	global_store_dwordx4 v[38:39], v[14:17], off
	;; [unrolled: 2-line block ×20, first 2 shown]
.LBB30_483:
	s_endpgm
	.section	.rodata,"a",@progbits
	.p2align	6, 0x0
	.amdhsa_kernel _ZN9rocsolver6v33100L18trti2_kernel_smallILi31E19rocblas_complex_numIdEPS3_EEv13rocblas_fill_17rocblas_diagonal_T1_iil
		.amdhsa_group_segment_fixed_size 992
		.amdhsa_private_segment_fixed_size 512
		.amdhsa_kernarg_size 32
		.amdhsa_user_sgpr_count 2
		.amdhsa_user_sgpr_dispatch_ptr 0
		.amdhsa_user_sgpr_queue_ptr 0
		.amdhsa_user_sgpr_kernarg_segment_ptr 1
		.amdhsa_user_sgpr_dispatch_id 0
		.amdhsa_user_sgpr_kernarg_preload_length 0
		.amdhsa_user_sgpr_kernarg_preload_offset 0
		.amdhsa_user_sgpr_private_segment_size 0
		.amdhsa_uses_dynamic_stack 0
		.amdhsa_enable_private_segment 1
		.amdhsa_system_sgpr_workgroup_id_x 1
		.amdhsa_system_sgpr_workgroup_id_y 0
		.amdhsa_system_sgpr_workgroup_id_z 0
		.amdhsa_system_sgpr_workgroup_info 0
		.amdhsa_system_vgpr_workitem_id 0
		.amdhsa_next_free_vgpr 130
		.amdhsa_next_free_sgpr 12
		.amdhsa_accum_offset 132
		.amdhsa_reserve_vcc 1
		.amdhsa_float_round_mode_32 0
		.amdhsa_float_round_mode_16_64 0
		.amdhsa_float_denorm_mode_32 3
		.amdhsa_float_denorm_mode_16_64 3
		.amdhsa_dx10_clamp 1
		.amdhsa_ieee_mode 1
		.amdhsa_fp16_overflow 0
		.amdhsa_tg_split 0
		.amdhsa_exception_fp_ieee_invalid_op 0
		.amdhsa_exception_fp_denorm_src 0
		.amdhsa_exception_fp_ieee_div_zero 0
		.amdhsa_exception_fp_ieee_overflow 0
		.amdhsa_exception_fp_ieee_underflow 0
		.amdhsa_exception_fp_ieee_inexact 0
		.amdhsa_exception_int_div_zero 0
	.end_amdhsa_kernel
	.section	.text._ZN9rocsolver6v33100L18trti2_kernel_smallILi31E19rocblas_complex_numIdEPS3_EEv13rocblas_fill_17rocblas_diagonal_T1_iil,"axG",@progbits,_ZN9rocsolver6v33100L18trti2_kernel_smallILi31E19rocblas_complex_numIdEPS3_EEv13rocblas_fill_17rocblas_diagonal_T1_iil,comdat
.Lfunc_end30:
	.size	_ZN9rocsolver6v33100L18trti2_kernel_smallILi31E19rocblas_complex_numIdEPS3_EEv13rocblas_fill_17rocblas_diagonal_T1_iil, .Lfunc_end30-_ZN9rocsolver6v33100L18trti2_kernel_smallILi31E19rocblas_complex_numIdEPS3_EEv13rocblas_fill_17rocblas_diagonal_T1_iil
                                        ; -- End function
	.section	.AMDGPU.csdata,"",@progbits
; Kernel info:
; codeLenInByte = 20332
; NumSgprs: 18
; NumVgprs: 130
; NumAgprs: 0
; TotalNumVgprs: 130
; ScratchSize: 512
; MemoryBound: 0
; FloatMode: 240
; IeeeMode: 1
; LDSByteSize: 992 bytes/workgroup (compile time only)
; SGPRBlocks: 2
; VGPRBlocks: 16
; NumSGPRsForWavesPerEU: 18
; NumVGPRsForWavesPerEU: 130
; AccumOffset: 132
; Occupancy: 3
; WaveLimiterHint : 0
; COMPUTE_PGM_RSRC2:SCRATCH_EN: 1
; COMPUTE_PGM_RSRC2:USER_SGPR: 2
; COMPUTE_PGM_RSRC2:TRAP_HANDLER: 0
; COMPUTE_PGM_RSRC2:TGID_X_EN: 1
; COMPUTE_PGM_RSRC2:TGID_Y_EN: 0
; COMPUTE_PGM_RSRC2:TGID_Z_EN: 0
; COMPUTE_PGM_RSRC2:TIDIG_COMP_CNT: 0
; COMPUTE_PGM_RSRC3_GFX90A:ACCUM_OFFSET: 32
; COMPUTE_PGM_RSRC3_GFX90A:TG_SPLIT: 0
	.section	.text._ZN9rocsolver6v33100L18trti2_kernel_smallILi32E19rocblas_complex_numIdEPS3_EEv13rocblas_fill_17rocblas_diagonal_T1_iil,"axG",@progbits,_ZN9rocsolver6v33100L18trti2_kernel_smallILi32E19rocblas_complex_numIdEPS3_EEv13rocblas_fill_17rocblas_diagonal_T1_iil,comdat
	.globl	_ZN9rocsolver6v33100L18trti2_kernel_smallILi32E19rocblas_complex_numIdEPS3_EEv13rocblas_fill_17rocblas_diagonal_T1_iil ; -- Begin function _ZN9rocsolver6v33100L18trti2_kernel_smallILi32E19rocblas_complex_numIdEPS3_EEv13rocblas_fill_17rocblas_diagonal_T1_iil
	.p2align	8
	.type	_ZN9rocsolver6v33100L18trti2_kernel_smallILi32E19rocblas_complex_numIdEPS3_EEv13rocblas_fill_17rocblas_diagonal_T1_iil,@function
_ZN9rocsolver6v33100L18trti2_kernel_smallILi32E19rocblas_complex_numIdEPS3_EEv13rocblas_fill_17rocblas_diagonal_T1_iil: ; @_ZN9rocsolver6v33100L18trti2_kernel_smallILi32E19rocblas_complex_numIdEPS3_EEv13rocblas_fill_17rocblas_diagonal_T1_iil
; %bb.0:
	v_cmp_gt_u32_e32 vcc, 32, v0
	s_and_saveexec_b64 s[4:5], vcc
	s_cbranch_execz .LBB31_499
; %bb.1:
	s_load_dwordx8 s[4:11], s[0:1], 0x0
	s_ashr_i32 s3, s2, 31
	v_lshlrev_b32_e32 v66, 4, v0
	v_mov_b32_e32 v67, 0
	s_waitcnt lgkmcnt(0)
	s_ashr_i32 s1, s8, 31
	s_mov_b32 s0, s8
	s_mul_i32 s8, s2, s11
	s_mul_hi_u32 s11, s2, s10
	s_add_i32 s8, s11, s8
	s_mul_i32 s3, s3, s10
	s_add_i32 s3, s8, s3
	s_mul_i32 s2, s2, s10
	s_lshl_b64 s[2:3], s[2:3], 4
	s_add_u32 s2, s6, s2
	s_addc_u32 s3, s7, s3
	s_lshl_b64 s[0:1], s[0:1], 4
	s_add_u32 s0, s2, s0
	s_addc_u32 s1, s3, s1
	v_lshl_add_u64 v[40:41], s[0:1], 0, v[66:67]
	s_ashr_i32 s3, s9, 31
	s_mov_b32 s2, s9
	v_lshl_add_u64 v[38:39], s[2:3], 4, v[40:41]
	s_add_i32 s2, s9, s9
	v_add_u32_e32 v14, s2, v0
	v_add_u32_e32 v18, s9, v14
	v_add_u32_e32 v22, s9, v18
	v_ashrrev_i32_e32 v15, 31, v14
	v_ashrrev_i32_e32 v19, 31, v18
	;; [unrolled: 1-line block ×3, first 2 shown]
	global_load_dwordx4 v[2:5], v66, s[0:1]
	v_lshl_add_u64 v[42:43], v[14:15], 4, s[0:1]
	global_load_dwordx4 v[6:9], v[38:39], off
	global_load_dwordx4 v[10:13], v[42:43], off
	v_lshl_add_u64 v[44:45], v[18:19], 4, s[0:1]
	v_lshl_add_u64 v[46:47], v[22:23], 4, s[0:1]
	global_load_dwordx4 v[14:17], v[44:45], off
	global_load_dwordx4 v[18:21], v[46:47], off
	v_add_u32_e32 v22, s9, v22
	v_add_u32_e32 v24, s9, v22
	;; [unrolled: 1-line block ×27, first 2 shown]
	v_ashrrev_i32_e32 v23, 31, v22
	v_ashrrev_i32_e32 v31, 31, v30
	;; [unrolled: 1-line block ×5, first 2 shown]
	v_lshl_add_u64 v[48:49], v[22:23], 4, s[0:1]
	v_ashrrev_i32_e32 v25, 31, v24
	v_lshl_add_u64 v[52:53], v[30:31], 4, s[0:1]
	v_ashrrev_i32_e32 v33, 31, v32
	;; [unrolled: 2-line block ×4, first 2 shown]
	v_ashrrev_i32_e32 v65, 31, v64
	v_lshl_add_u64 v[68:69], v[68:69], 4, s[0:1]
	v_ashrrev_i32_e32 v93, 31, v92
	v_lshl_add_u64 v[50:51], v[24:25], 4, s[0:1]
	global_load_dwordx4 v[22:25], v[48:49], off
	global_load_dwordx4 v[26:29], v[50:51], off
	v_lshl_add_u64 v[54:55], v[32:33], 4, s[0:1]
	global_load_dwordx4 v[30:33], v[52:53], off
	global_load_dwordx4 v[34:37], v[54:55], off
	;; [unrolled: 3-line block ×4, first 2 shown]
	v_lshl_add_u64 v[64:65], v[64:65], 4, s[0:1]
	v_ashrrev_i32_e32 v71, 31, v70
	global_load_dwordx4 v[88:91], v[68:69], off
	v_ashrrev_i32_e32 v95, 31, v94
	v_ashrrev_i32_e32 v97, 31, v96
	;; [unrolled: 1-line block ×6, first 2 shown]
	s_waitcnt vmcnt(13)
	scratch_store_dwordx4 off, v[2:5], off
	s_waitcnt vmcnt(13)
	scratch_store_dwordx4 off, v[6:9], off offset:16
	s_waitcnt vmcnt(13)
	scratch_store_dwordx4 off, v[10:13], off offset:32
	;; [unrolled: 2-line block ×3, first 2 shown]
	s_nop 1
	v_lshl_add_u64 v[16:17], v[92:93], 4, s[0:1]
	v_lshl_add_u64 v[14:15], v[70:71], 4, s[0:1]
	global_load_dwordx4 v[2:5], v[64:65], off
	global_load_dwordx4 v[6:9], v[14:15], off
	v_lshl_add_u64 v[70:71], v[94:95], 4, s[0:1]
	global_load_dwordx4 v[10:13], v[16:17], off
	global_load_dwordx4 v[92:95], v[70:71], off
	v_ashrrev_i32_e32 v115, 31, v114
	s_waitcnt vmcnt(17)
	scratch_store_dwordx4 off, v[18:21], off offset:64
	v_ashrrev_i32_e32 v119, 31, v118
	v_ashrrev_i32_e32 v123, 31, v122
	v_lshl_add_u64 v[18:19], v[96:97], 4, s[0:1]
	global_load_dwordx4 v[96:99], v[18:19], off
	v_lshl_add_u64 v[20:21], v[100:101], 4, s[0:1]
	v_ashrrev_i32_e32 v105, 31, v104
	v_ashrrev_i32_e32 v109, 31, v108
	;; [unrolled: 1-line block ×6, first 2 shown]
	s_cmpk_lg_i32 s5, 0x84
	s_cselect_b64 s[6:7], -1, 0
	s_cmpk_eq_i32 s5, 0x84
	s_waitcnt vmcnt(18)
	scratch_store_dwordx4 off, v[22:25], off offset:80
	s_waitcnt vmcnt(18)
	scratch_store_dwordx4 off, v[26:29], off offset:96
	;; [unrolled: 2-line block ×12, first 2 shown]
	v_lshl_add_u64 v[22:23], v[102:103], 4, s[0:1]
	v_lshl_add_u64 v[26:27], v[106:107], 4, s[0:1]
	;; [unrolled: 1-line block ×5, first 2 shown]
	s_waitcnt vmcnt(12)
	scratch_store_dwordx4 off, v[96:99], off offset:272
	v_lshl_add_u64 v[76:77], v[122:123], 4, s[0:1]
	global_load_dwordx4 v[2:5], v[20:21], off
	v_lshl_add_u64 v[24:25], v[104:105], 4, s[0:1]
	global_load_dwordx4 v[6:9], v[22:23], off
	global_load_dwordx4 v[80:83], v[24:25], off
	v_lshl_add_u64 v[28:29], v[108:109], 4, s[0:1]
	global_load_dwordx4 v[84:87], v[26:27], off
	global_load_dwordx4 v[92:95], v[28:29], off
	v_lshl_add_u64 v[32:33], v[112:113], 4, s[0:1]
	global_load_dwordx4 v[96:99], v[30:31], off
	global_load_dwordx4 v[100:103], v[32:33], off
	v_lshl_add_u64 v[36:37], v[116:117], 4, s[0:1]
	global_load_dwordx4 v[104:107], v[34:35], off
	global_load_dwordx4 v[108:111], v[36:37], off
	v_lshl_add_u64 v[74:75], v[120:121], 4, s[0:1]
	global_load_dwordx4 v[112:115], v[72:73], off
	global_load_dwordx4 v[116:119], v[74:75], off
	v_lshl_add_u64 v[78:79], v[124:125], 4, s[0:1]
	global_load_dwordx4 v[120:123], v[76:77], off
	global_load_dwordx4 v[124:127], v[78:79], off
	v_mov_b32_e32 v12, 0
	s_waitcnt vmcnt(12)
	scratch_store_dwordx4 off, v[2:5], off offset:288
	s_waitcnt vmcnt(12)
	scratch_store_dwordx4 off, v[6:9], off offset:304
	;; [unrolled: 2-line block ×13, first 2 shown]
	scratch_store_dwordx4 off, v[88:91], off offset:496
	s_cbranch_scc1 .LBB31_7
; %bb.2:
	scratch_load_dwordx4 v[2:5], v66, off
                                        ; implicit-def: $vgpr10_vgpr11
	s_waitcnt vmcnt(0)
	v_xor_b32_e32 v1, 0x80000000, v3
	v_cmp_gt_f64_e32 vcc, 0, v[2:3]
	v_xor_b32_e32 v8, 0x80000000, v5
	v_mov_b32_e32 v6, v2
	v_cndmask_b32_e32 v7, v3, v1, vcc
	v_cmp_gt_f64_e32 vcc, 0, v[4:5]
	s_nop 1
	v_cndmask_b32_e32 v9, v5, v8, vcc
	v_mov_b32_e32 v8, v4
	v_cmp_ngt_f64_e32 vcc, v[6:7], v[8:9]
                                        ; implicit-def: $vgpr6_vgpr7
	s_and_saveexec_b64 s[0:1], vcc
	s_xor_b64 s[0:1], exec, s[0:1]
	s_cbranch_execz .LBB31_4
; %bb.3:
	v_div_scale_f64 v[6:7], s[2:3], v[4:5], v[4:5], v[2:3]
	v_rcp_f64_e32 v[8:9], v[6:7]
	v_div_scale_f64 v[10:11], vcc, v[2:3], v[4:5], v[2:3]
	v_fma_f64 v[80:81], -v[6:7], v[8:9], 1.0
	v_fmac_f64_e32 v[8:9], v[8:9], v[80:81]
	v_fma_f64 v[80:81], -v[6:7], v[8:9], 1.0
	v_fmac_f64_e32 v[8:9], v[8:9], v[80:81]
	v_mul_f64 v[80:81], v[10:11], v[8:9]
	v_fma_f64 v[6:7], -v[6:7], v[80:81], v[10:11]
	v_div_fmas_f64 v[6:7], v[6:7], v[8:9], v[80:81]
	v_div_fixup_f64 v[6:7], v[6:7], v[4:5], v[2:3]
	v_fmac_f64_e32 v[4:5], v[2:3], v[6:7]
	v_div_scale_f64 v[2:3], s[2:3], v[4:5], v[4:5], 1.0
	v_rcp_f64_e32 v[8:9], v[2:3]
	s_nop 0
	v_fma_f64 v[10:11], -v[2:3], v[8:9], 1.0
	v_fmac_f64_e32 v[8:9], v[8:9], v[10:11]
	v_fma_f64 v[10:11], -v[2:3], v[8:9], 1.0
	v_fmac_f64_e32 v[8:9], v[8:9], v[10:11]
	v_div_scale_f64 v[10:11], vcc, 1.0, v[4:5], 1.0
	v_mul_f64 v[80:81], v[10:11], v[8:9]
	v_fma_f64 v[2:3], -v[2:3], v[80:81], v[10:11]
	s_nop 1
	v_div_fmas_f64 v[2:3], v[2:3], v[8:9], v[80:81]
	v_div_fixup_f64 v[8:9], v[2:3], v[4:5], 1.0
	v_mul_f64 v[6:7], v[6:7], v[8:9]
	v_xor_b32_e32 v9, 0x80000000, v9
	v_xor_b32_e32 v11, 0x80000000, v7
	v_mov_b32_e32 v10, v6
                                        ; implicit-def: $vgpr2_vgpr3
.LBB31_4:
	s_or_saveexec_b64 s[0:1], s[0:1]
	v_add_u32_e32 v1, 0, v66
	s_xor_b64 exec, exec, s[0:1]
	s_cbranch_execz .LBB31_6
; %bb.5:
	v_div_scale_f64 v[6:7], s[2:3], v[2:3], v[2:3], v[4:5]
	v_rcp_f64_e32 v[8:9], v[6:7]
	v_div_scale_f64 v[10:11], vcc, v[4:5], v[2:3], v[4:5]
	v_fma_f64 v[80:81], -v[6:7], v[8:9], 1.0
	v_fmac_f64_e32 v[8:9], v[8:9], v[80:81]
	v_fma_f64 v[80:81], -v[6:7], v[8:9], 1.0
	v_fmac_f64_e32 v[8:9], v[8:9], v[80:81]
	v_mul_f64 v[80:81], v[10:11], v[8:9]
	v_fma_f64 v[6:7], -v[6:7], v[80:81], v[10:11]
	v_div_fmas_f64 v[6:7], v[6:7], v[8:9], v[80:81]
	v_div_fixup_f64 v[8:9], v[6:7], v[2:3], v[4:5]
	v_fmac_f64_e32 v[2:3], v[4:5], v[8:9]
	v_div_scale_f64 v[4:5], s[2:3], v[2:3], v[2:3], 1.0
	v_rcp_f64_e32 v[6:7], v[4:5]
	s_nop 0
	v_fma_f64 v[10:11], -v[4:5], v[6:7], 1.0
	v_fmac_f64_e32 v[6:7], v[6:7], v[10:11]
	v_fma_f64 v[10:11], -v[4:5], v[6:7], 1.0
	v_fmac_f64_e32 v[6:7], v[6:7], v[10:11]
	v_div_scale_f64 v[10:11], vcc, 1.0, v[2:3], 1.0
	v_mul_f64 v[80:81], v[10:11], v[6:7]
	v_fma_f64 v[4:5], -v[4:5], v[80:81], v[10:11]
	s_nop 1
	v_div_fmas_f64 v[4:5], v[4:5], v[6:7], v[80:81]
	v_div_fixup_f64 v[6:7], v[4:5], v[2:3], 1.0
	v_xor_b32_e32 v11, 0x80000000, v7
	v_mov_b32_e32 v10, v6
	v_mul_f64 v[8:9], v[8:9], -v[6:7]
.LBB31_6:
	s_or_b64 exec, exec, s[0:1]
	scratch_store_dwordx4 v1, v[6:9], off
	s_nop 1
	v_xor_b32_e32 v9, 0x80000000, v9
	s_branch .LBB31_8
.LBB31_7:
	v_mov_b64_e32 v[8:9], 0
	v_mov_b64_e32 v[10:11], -1.0
.LBB31_8:
	v_add_u32_e32 v100, 16, v12
	v_add_u32_e32 v102, 32, v12
	;; [unrolled: 1-line block ×31, first 2 shown]
	v_mov_b32_e32 v12, v8
	v_mov_b32_e32 v13, v9
	s_cmpk_eq_i32 s4, 0x79
	v_add_u32_e32 v9, 0x200, v66
	v_add_u32_e32 v8, 0, v66
	ds_write_b128 v66, v[10:13]
	s_cbranch_scc1 .LBB31_252
; %bb.9:
	scratch_load_dwordx4 v[2:5], v1, off
	v_cmp_eq_u32_e64 s[0:1], 31, v0
	s_waitcnt vmcnt(0)
	ds_write_b128 v9, v[2:5]
	s_waitcnt lgkmcnt(0)
	; wave barrier
	s_waitcnt lgkmcnt(0)
	s_and_saveexec_b64 s[2:3], s[0:1]
	s_cbranch_execz .LBB31_13
; %bb.10:
	ds_read_b128 v[2:5], v9
	s_andn2_b64 vcc, exec, s[6:7]
	s_cbranch_vccnz .LBB31_12
; %bb.11:
	scratch_load_dwordx4 v[10:13], v8, off
	s_waitcnt vmcnt(0) lgkmcnt(0)
	v_mul_f64 v[6:7], v[4:5], v[12:13]
	v_mul_f64 v[12:13], v[2:3], v[12:13]
	v_fmac_f64_e32 v[12:13], v[4:5], v[10:11]
	v_fma_f64 v[2:3], v[2:3], v[10:11], -v[6:7]
	v_mov_b64_e32 v[4:5], v[12:13]
.LBB31_12:
	v_mov_b32_e32 v6, 0
	ds_read_b128 v[10:13], v6 offset:480
	s_waitcnt lgkmcnt(0)
	v_mul_f64 v[6:7], v[4:5], v[12:13]
	v_mul_f64 v[112:113], v[2:3], v[12:13]
	v_fma_f64 v[110:111], v[2:3], v[10:11], -v[6:7]
	v_fmac_f64_e32 v[112:113], v[4:5], v[10:11]
	scratch_store_dwordx4 off, v[110:113], off offset:480
.LBB31_13:
	s_or_b64 exec, exec, s[2:3]
	scratch_load_dwordx4 v[2:5], v81, off
	v_cmp_lt_u32_e64 s[2:3], 29, v0
	s_waitcnt vmcnt(0)
	ds_write_b128 v9, v[2:5]
	s_waitcnt lgkmcnt(0)
	; wave barrier
	s_waitcnt lgkmcnt(0)
	s_and_saveexec_b64 s[4:5], s[2:3]
	s_cbranch_execz .LBB31_19
; %bb.14:
	ds_read_b128 v[2:5], v9
	s_andn2_b64 vcc, exec, s[6:7]
	s_cbranch_vccnz .LBB31_16
; %bb.15:
	scratch_load_dwordx4 v[10:13], v8, off
	s_waitcnt vmcnt(0) lgkmcnt(0)
	v_mul_f64 v[6:7], v[4:5], v[12:13]
	v_mul_f64 v[12:13], v[2:3], v[12:13]
	v_fmac_f64_e32 v[12:13], v[4:5], v[10:11]
	v_fma_f64 v[2:3], v[2:3], v[10:11], -v[6:7]
	v_mov_b64_e32 v[4:5], v[12:13]
.LBB31_16:
	s_and_saveexec_b64 s[8:9], s[0:1]
	s_cbranch_execz .LBB31_18
; %bb.17:
	scratch_load_dwordx4 v[10:13], off, off offset:480
	v_mov_b32_e32 v6, 0
	ds_read_b128 v[110:113], v6 offset:992
	s_waitcnt vmcnt(0) lgkmcnt(0)
	v_mul_f64 v[6:7], v[110:111], v[12:13]
	v_mul_f64 v[12:13], v[112:113], v[12:13]
	v_fmac_f64_e32 v[6:7], v[112:113], v[10:11]
	v_fma_f64 v[10:11], v[110:111], v[10:11], -v[12:13]
	v_add_f64 v[4:5], v[4:5], v[6:7]
	v_add_f64 v[2:3], v[2:3], v[10:11]
.LBB31_18:
	s_or_b64 exec, exec, s[8:9]
	v_mov_b32_e32 v6, 0
	ds_read_b128 v[10:13], v6 offset:464
	s_waitcnt lgkmcnt(0)
	v_mul_f64 v[6:7], v[4:5], v[12:13]
	v_mul_f64 v[112:113], v[2:3], v[12:13]
	v_fma_f64 v[110:111], v[2:3], v[10:11], -v[6:7]
	v_fmac_f64_e32 v[112:113], v[4:5], v[10:11]
	scratch_store_dwordx4 off, v[110:113], off offset:464
.LBB31_19:
	s_or_b64 exec, exec, s[4:5]
	scratch_load_dwordx4 v[2:5], v80, off
	v_cmp_lt_u32_e64 s[0:1], 28, v0
	s_waitcnt vmcnt(0)
	ds_write_b128 v9, v[2:5]
	s_waitcnt lgkmcnt(0)
	; wave barrier
	s_waitcnt lgkmcnt(0)
	s_and_saveexec_b64 s[4:5], s[0:1]
	s_cbranch_execz .LBB31_27
; %bb.20:
	ds_read_b128 v[2:5], v9
	s_andn2_b64 vcc, exec, s[6:7]
	s_cbranch_vccnz .LBB31_22
; %bb.21:
	scratch_load_dwordx4 v[10:13], v8, off
	s_waitcnt vmcnt(0) lgkmcnt(0)
	v_mul_f64 v[6:7], v[4:5], v[12:13]
	v_mul_f64 v[12:13], v[2:3], v[12:13]
	v_fmac_f64_e32 v[12:13], v[4:5], v[10:11]
	v_fma_f64 v[2:3], v[2:3], v[10:11], -v[6:7]
	v_mov_b64_e32 v[4:5], v[12:13]
.LBB31_22:
	s_and_saveexec_b64 s[8:9], s[2:3]
	s_cbranch_execz .LBB31_26
; %bb.23:
	v_mov_b32_e32 v7, 0
	v_subrev_u32_e32 v6, 29, v0
	v_add_u32_e32 v7, 0x1d8, v7
	s_movk_i32 s10, 0x3d0
	s_mov_b64 s[2:3], 0
.LBB31_24:                              ; =>This Inner Loop Header: Depth=1
	v_add_u32_e32 v10, -8, v7
	scratch_load_dwordx4 v[10:13], v10, off
	v_mov_b32_e32 v109, s10
	ds_read_b128 v[110:113], v109
	v_add_u32_e32 v6, -1, v6
	s_add_i32 s10, s10, 16
	v_cmp_eq_u32_e32 vcc, 0, v6
	v_add_u32_e32 v7, 16, v7
	s_or_b64 s[2:3], vcc, s[2:3]
	s_waitcnt vmcnt(0) lgkmcnt(0)
	v_mul_f64 v[114:115], v[112:113], v[12:13]
	v_mul_f64 v[12:13], v[110:111], v[12:13]
	v_fma_f64 v[110:111], v[110:111], v[10:11], -v[114:115]
	v_fmac_f64_e32 v[12:13], v[112:113], v[10:11]
	v_add_f64 v[2:3], v[2:3], v[110:111]
	v_add_f64 v[4:5], v[4:5], v[12:13]
	s_andn2_b64 exec, exec, s[2:3]
	s_cbranch_execnz .LBB31_24
; %bb.25:
	s_or_b64 exec, exec, s[2:3]
.LBB31_26:
	s_or_b64 exec, exec, s[8:9]
	v_mov_b32_e32 v6, 0
	ds_read_b128 v[10:13], v6 offset:448
	s_waitcnt lgkmcnt(0)
	v_mul_f64 v[6:7], v[4:5], v[12:13]
	v_mul_f64 v[112:113], v[2:3], v[12:13]
	v_fma_f64 v[110:111], v[2:3], v[10:11], -v[6:7]
	v_fmac_f64_e32 v[112:113], v[4:5], v[10:11]
	scratch_store_dwordx4 off, v[110:113], off offset:448
.LBB31_27:
	s_or_b64 exec, exec, s[4:5]
	scratch_load_dwordx4 v[2:5], v83, off
	v_cmp_lt_u32_e64 s[2:3], 27, v0
	s_waitcnt vmcnt(0)
	ds_write_b128 v9, v[2:5]
	s_waitcnt lgkmcnt(0)
	; wave barrier
	s_waitcnt lgkmcnt(0)
	s_and_saveexec_b64 s[4:5], s[2:3]
	s_cbranch_execz .LBB31_35
; %bb.28:
	ds_read_b128 v[2:5], v9
	s_andn2_b64 vcc, exec, s[6:7]
	s_cbranch_vccnz .LBB31_30
; %bb.29:
	scratch_load_dwordx4 v[10:13], v8, off
	s_waitcnt vmcnt(0) lgkmcnt(0)
	v_mul_f64 v[6:7], v[4:5], v[12:13]
	v_mul_f64 v[12:13], v[2:3], v[12:13]
	v_fmac_f64_e32 v[12:13], v[4:5], v[10:11]
	v_fma_f64 v[2:3], v[2:3], v[10:11], -v[6:7]
	v_mov_b64_e32 v[4:5], v[12:13]
.LBB31_30:
	s_and_saveexec_b64 s[8:9], s[0:1]
	s_cbranch_execz .LBB31_34
; %bb.31:
	v_mov_b32_e32 v7, 0
	v_subrev_u32_e32 v6, 28, v0
	v_add_u32_e32 v7, 0x1c8, v7
	s_movk_i32 s10, 0x3c0
	s_mov_b64 s[0:1], 0
.LBB31_32:                              ; =>This Inner Loop Header: Depth=1
	v_add_u32_e32 v10, -8, v7
	scratch_load_dwordx4 v[10:13], v10, off
	v_mov_b32_e32 v109, s10
	ds_read_b128 v[110:113], v109
	v_add_u32_e32 v6, -1, v6
	s_add_i32 s10, s10, 16
	v_cmp_eq_u32_e32 vcc, 0, v6
	v_add_u32_e32 v7, 16, v7
	s_or_b64 s[0:1], vcc, s[0:1]
	s_waitcnt vmcnt(0) lgkmcnt(0)
	v_mul_f64 v[114:115], v[112:113], v[12:13]
	v_mul_f64 v[12:13], v[110:111], v[12:13]
	v_fma_f64 v[110:111], v[110:111], v[10:11], -v[114:115]
	v_fmac_f64_e32 v[12:13], v[112:113], v[10:11]
	v_add_f64 v[2:3], v[2:3], v[110:111]
	v_add_f64 v[4:5], v[4:5], v[12:13]
	s_andn2_b64 exec, exec, s[0:1]
	s_cbranch_execnz .LBB31_32
; %bb.33:
	s_or_b64 exec, exec, s[0:1]
.LBB31_34:
	s_or_b64 exec, exec, s[8:9]
	v_mov_b32_e32 v6, 0
	ds_read_b128 v[10:13], v6 offset:432
	s_waitcnt lgkmcnt(0)
	v_mul_f64 v[6:7], v[4:5], v[12:13]
	v_mul_f64 v[112:113], v[2:3], v[12:13]
	v_fma_f64 v[110:111], v[2:3], v[10:11], -v[6:7]
	v_fmac_f64_e32 v[112:113], v[4:5], v[10:11]
	scratch_store_dwordx4 off, v[110:113], off offset:432
.LBB31_35:
	;; [unrolled: 63-line block ×10, first 2 shown]
	s_or_b64 exec, exec, s[4:5]
	scratch_load_dwordx4 v[2:5], v90, off
	v_cmp_lt_u32_e64 s[0:1], 18, v0
	s_waitcnt vmcnt(0)
	ds_write_b128 v9, v[2:5]
	s_waitcnt lgkmcnt(0)
	; wave barrier
	s_waitcnt lgkmcnt(0)
	s_and_saveexec_b64 s[4:5], s[0:1]
	s_cbranch_execz .LBB31_107
; %bb.100:
	ds_read_b128 v[2:5], v9
	s_andn2_b64 vcc, exec, s[6:7]
	s_cbranch_vccnz .LBB31_102
; %bb.101:
	scratch_load_dwordx4 v[10:13], v8, off
	s_waitcnt vmcnt(0) lgkmcnt(0)
	v_mul_f64 v[6:7], v[4:5], v[12:13]
	v_mul_f64 v[12:13], v[2:3], v[12:13]
	v_fmac_f64_e32 v[12:13], v[4:5], v[10:11]
	v_fma_f64 v[2:3], v[2:3], v[10:11], -v[6:7]
	v_mov_b64_e32 v[4:5], v[12:13]
.LBB31_102:
	s_and_saveexec_b64 s[8:9], s[2:3]
	s_cbranch_execz .LBB31_106
; %bb.103:
	v_mov_b32_e32 v7, 0
	v_subrev_u32_e32 v6, 19, v0
	v_add_u32_e32 v7, 0x138, v7
	s_movk_i32 s10, 0x330
	s_mov_b64 s[2:3], 0
.LBB31_104:                             ; =>This Inner Loop Header: Depth=1
	v_add_u32_e32 v10, -8, v7
	scratch_load_dwordx4 v[10:13], v10, off
	v_mov_b32_e32 v109, s10
	ds_read_b128 v[110:113], v109
	v_add_u32_e32 v6, -1, v6
	s_add_i32 s10, s10, 16
	v_cmp_eq_u32_e32 vcc, 0, v6
	v_add_u32_e32 v7, 16, v7
	s_or_b64 s[2:3], vcc, s[2:3]
	s_waitcnt vmcnt(0) lgkmcnt(0)
	v_mul_f64 v[114:115], v[112:113], v[12:13]
	v_mul_f64 v[12:13], v[110:111], v[12:13]
	v_fma_f64 v[110:111], v[110:111], v[10:11], -v[114:115]
	v_fmac_f64_e32 v[12:13], v[112:113], v[10:11]
	v_add_f64 v[2:3], v[2:3], v[110:111]
	v_add_f64 v[4:5], v[4:5], v[12:13]
	s_andn2_b64 exec, exec, s[2:3]
	s_cbranch_execnz .LBB31_104
; %bb.105:
	s_or_b64 exec, exec, s[2:3]
.LBB31_106:
	s_or_b64 exec, exec, s[8:9]
	v_mov_b32_e32 v6, 0
	ds_read_b128 v[10:13], v6 offset:288
	s_waitcnt lgkmcnt(0)
	v_mul_f64 v[6:7], v[4:5], v[12:13]
	v_mul_f64 v[112:113], v[2:3], v[12:13]
	v_fma_f64 v[110:111], v[2:3], v[10:11], -v[6:7]
	v_fmac_f64_e32 v[112:113], v[4:5], v[10:11]
	scratch_store_dwordx4 off, v[110:113], off offset:288
.LBB31_107:
	s_or_b64 exec, exec, s[4:5]
	scratch_load_dwordx4 v[2:5], v93, off
	v_cmp_lt_u32_e64 s[2:3], 17, v0
	s_waitcnt vmcnt(0)
	ds_write_b128 v9, v[2:5]
	s_waitcnt lgkmcnt(0)
	; wave barrier
	s_waitcnt lgkmcnt(0)
	s_and_saveexec_b64 s[4:5], s[2:3]
	s_cbranch_execz .LBB31_115
; %bb.108:
	ds_read_b128 v[2:5], v9
	s_andn2_b64 vcc, exec, s[6:7]
	s_cbranch_vccnz .LBB31_110
; %bb.109:
	scratch_load_dwordx4 v[10:13], v8, off
	s_waitcnt vmcnt(0) lgkmcnt(0)
	v_mul_f64 v[6:7], v[4:5], v[12:13]
	v_mul_f64 v[12:13], v[2:3], v[12:13]
	v_fmac_f64_e32 v[12:13], v[4:5], v[10:11]
	v_fma_f64 v[2:3], v[2:3], v[10:11], -v[6:7]
	v_mov_b64_e32 v[4:5], v[12:13]
.LBB31_110:
	s_and_saveexec_b64 s[8:9], s[0:1]
	s_cbranch_execz .LBB31_114
; %bb.111:
	v_mov_b32_e32 v7, 0
	v_subrev_u32_e32 v6, 18, v0
	v_add_u32_e32 v7, 0x128, v7
	s_movk_i32 s10, 0x320
	s_mov_b64 s[0:1], 0
.LBB31_112:                             ; =>This Inner Loop Header: Depth=1
	v_add_u32_e32 v10, -8, v7
	scratch_load_dwordx4 v[10:13], v10, off
	v_mov_b32_e32 v109, s10
	ds_read_b128 v[110:113], v109
	v_add_u32_e32 v6, -1, v6
	s_add_i32 s10, s10, 16
	v_cmp_eq_u32_e32 vcc, 0, v6
	v_add_u32_e32 v7, 16, v7
	s_or_b64 s[0:1], vcc, s[0:1]
	s_waitcnt vmcnt(0) lgkmcnt(0)
	v_mul_f64 v[114:115], v[112:113], v[12:13]
	v_mul_f64 v[12:13], v[110:111], v[12:13]
	v_fma_f64 v[110:111], v[110:111], v[10:11], -v[114:115]
	v_fmac_f64_e32 v[12:13], v[112:113], v[10:11]
	v_add_f64 v[2:3], v[2:3], v[110:111]
	v_add_f64 v[4:5], v[4:5], v[12:13]
	s_andn2_b64 exec, exec, s[0:1]
	s_cbranch_execnz .LBB31_112
; %bb.113:
	s_or_b64 exec, exec, s[0:1]
.LBB31_114:
	s_or_b64 exec, exec, s[8:9]
	v_mov_b32_e32 v6, 0
	ds_read_b128 v[10:13], v6 offset:272
	s_waitcnt lgkmcnt(0)
	v_mul_f64 v[6:7], v[4:5], v[12:13]
	v_mul_f64 v[112:113], v[2:3], v[12:13]
	v_fma_f64 v[110:111], v[2:3], v[10:11], -v[6:7]
	v_fmac_f64_e32 v[112:113], v[4:5], v[10:11]
	scratch_store_dwordx4 off, v[110:113], off offset:272
.LBB31_115:
	;; [unrolled: 63-line block ×3, first 2 shown]
	s_or_b64 exec, exec, s[4:5]
	scratch_load_dwordx4 v[2:5], v95, off
	v_cmp_lt_u32_e64 s[2:3], 15, v0
	s_waitcnt vmcnt(0)
	ds_write_b128 v9, v[2:5]
	s_waitcnt lgkmcnt(0)
	; wave barrier
	s_waitcnt lgkmcnt(0)
	s_and_saveexec_b64 s[4:5], s[2:3]
	s_cbranch_execz .LBB31_131
; %bb.124:
	ds_read_b128 v[2:5], v9
	s_andn2_b64 vcc, exec, s[6:7]
	s_cbranch_vccnz .LBB31_126
; %bb.125:
	scratch_load_dwordx4 v[10:13], v8, off
	s_waitcnt vmcnt(0) lgkmcnt(0)
	v_mul_f64 v[6:7], v[4:5], v[12:13]
	v_mul_f64 v[12:13], v[2:3], v[12:13]
	v_fmac_f64_e32 v[12:13], v[4:5], v[10:11]
	v_fma_f64 v[2:3], v[2:3], v[10:11], -v[6:7]
	v_mov_b64_e32 v[4:5], v[12:13]
.LBB31_126:
	s_and_saveexec_b64 s[8:9], s[0:1]
	s_cbranch_execz .LBB31_130
; %bb.127:
	v_mov_b32_e32 v7, 0
	v_add_u32_e32 v6, -16, v0
	v_add_u32_e32 v7, 0x108, v7
	s_movk_i32 s10, 0x300
	s_mov_b64 s[0:1], 0
.LBB31_128:                             ; =>This Inner Loop Header: Depth=1
	v_add_u32_e32 v10, -8, v7
	scratch_load_dwordx4 v[10:13], v10, off
	v_mov_b32_e32 v109, s10
	ds_read_b128 v[110:113], v109
	v_add_u32_e32 v6, -1, v6
	s_add_i32 s10, s10, 16
	v_cmp_eq_u32_e32 vcc, 0, v6
	v_add_u32_e32 v7, 16, v7
	s_or_b64 s[0:1], vcc, s[0:1]
	s_waitcnt vmcnt(0) lgkmcnt(0)
	v_mul_f64 v[114:115], v[112:113], v[12:13]
	v_mul_f64 v[12:13], v[110:111], v[12:13]
	v_fma_f64 v[110:111], v[110:111], v[10:11], -v[114:115]
	v_fmac_f64_e32 v[12:13], v[112:113], v[10:11]
	v_add_f64 v[2:3], v[2:3], v[110:111]
	v_add_f64 v[4:5], v[4:5], v[12:13]
	s_andn2_b64 exec, exec, s[0:1]
	s_cbranch_execnz .LBB31_128
; %bb.129:
	s_or_b64 exec, exec, s[0:1]
.LBB31_130:
	s_or_b64 exec, exec, s[8:9]
	v_mov_b32_e32 v6, 0
	ds_read_b128 v[10:13], v6 offset:240
	s_waitcnt lgkmcnt(0)
	v_mul_f64 v[6:7], v[4:5], v[12:13]
	v_mul_f64 v[112:113], v[2:3], v[12:13]
	v_fma_f64 v[110:111], v[2:3], v[10:11], -v[6:7]
	v_fmac_f64_e32 v[112:113], v[4:5], v[10:11]
	scratch_store_dwordx4 off, v[110:113], off offset:240
.LBB31_131:
	s_or_b64 exec, exec, s[4:5]
	scratch_load_dwordx4 v[2:5], v94, off
	v_cmp_lt_u32_e64 s[0:1], 14, v0
	s_waitcnt vmcnt(0)
	ds_write_b128 v9, v[2:5]
	s_waitcnt lgkmcnt(0)
	; wave barrier
	s_waitcnt lgkmcnt(0)
	s_and_saveexec_b64 s[4:5], s[0:1]
	s_cbranch_execz .LBB31_139
; %bb.132:
	ds_read_b128 v[2:5], v9
	s_andn2_b64 vcc, exec, s[6:7]
	s_cbranch_vccnz .LBB31_134
; %bb.133:
	scratch_load_dwordx4 v[10:13], v8, off
	s_waitcnt vmcnt(0) lgkmcnt(0)
	v_mul_f64 v[6:7], v[4:5], v[12:13]
	v_mul_f64 v[12:13], v[2:3], v[12:13]
	v_fmac_f64_e32 v[12:13], v[4:5], v[10:11]
	v_fma_f64 v[2:3], v[2:3], v[10:11], -v[6:7]
	v_mov_b64_e32 v[4:5], v[12:13]
.LBB31_134:
	s_and_saveexec_b64 s[8:9], s[2:3]
	s_cbranch_execz .LBB31_138
; %bb.135:
	v_mov_b32_e32 v7, 0
	v_add_u32_e32 v6, -15, v0
	v_add_u32_e32 v7, 0xf8, v7
	s_movk_i32 s10, 0x2f0
	s_mov_b64 s[2:3], 0
.LBB31_136:                             ; =>This Inner Loop Header: Depth=1
	v_add_u32_e32 v10, -8, v7
	scratch_load_dwordx4 v[10:13], v10, off
	v_mov_b32_e32 v109, s10
	ds_read_b128 v[110:113], v109
	v_add_u32_e32 v6, -1, v6
	s_add_i32 s10, s10, 16
	v_cmp_eq_u32_e32 vcc, 0, v6
	v_add_u32_e32 v7, 16, v7
	s_or_b64 s[2:3], vcc, s[2:3]
	s_waitcnt vmcnt(0) lgkmcnt(0)
	v_mul_f64 v[114:115], v[112:113], v[12:13]
	v_mul_f64 v[12:13], v[110:111], v[12:13]
	v_fma_f64 v[110:111], v[110:111], v[10:11], -v[114:115]
	v_fmac_f64_e32 v[12:13], v[112:113], v[10:11]
	v_add_f64 v[2:3], v[2:3], v[110:111]
	v_add_f64 v[4:5], v[4:5], v[12:13]
	s_andn2_b64 exec, exec, s[2:3]
	s_cbranch_execnz .LBB31_136
; %bb.137:
	s_or_b64 exec, exec, s[2:3]
.LBB31_138:
	s_or_b64 exec, exec, s[8:9]
	v_mov_b32_e32 v6, 0
	ds_read_b128 v[10:13], v6 offset:224
	s_waitcnt lgkmcnt(0)
	v_mul_f64 v[6:7], v[4:5], v[12:13]
	v_mul_f64 v[112:113], v[2:3], v[12:13]
	v_fma_f64 v[110:111], v[2:3], v[10:11], -v[6:7]
	v_fmac_f64_e32 v[112:113], v[4:5], v[10:11]
	scratch_store_dwordx4 off, v[110:113], off offset:224
.LBB31_139:
	;; [unrolled: 63-line block ×15, first 2 shown]
	s_or_b64 exec, exec, s[2:3]
	scratch_load_dwordx4 v[2:5], off, off
	v_cmp_ne_u32_e32 vcc, 0, v0
	s_mov_b64 s[2:3], 0
	s_mov_b64 s[4:5], 0
                                        ; implicit-def: $vgpr6_vgpr7
                                        ; implicit-def: $vgpr10
	s_waitcnt vmcnt(0)
	ds_write_b128 v9, v[2:5]
	s_waitcnt lgkmcnt(0)
	; wave barrier
	s_waitcnt lgkmcnt(0)
	s_and_saveexec_b64 s[8:9], vcc
	s_cbranch_execz .LBB31_251
; %bb.244:
	ds_read_b128 v[2:5], v9
	s_andn2_b64 vcc, exec, s[6:7]
	s_cbranch_vccnz .LBB31_246
; %bb.245:
	scratch_load_dwordx4 v[10:13], v8, off
	s_waitcnt vmcnt(0) lgkmcnt(0)
	v_mul_f64 v[6:7], v[4:5], v[12:13]
	v_mul_f64 v[12:13], v[2:3], v[12:13]
	v_fmac_f64_e32 v[12:13], v[4:5], v[10:11]
	v_fma_f64 v[2:3], v[2:3], v[10:11], -v[6:7]
	v_mov_b64_e32 v[4:5], v[12:13]
.LBB31_246:
	s_and_saveexec_b64 s[4:5], s[0:1]
	s_cbranch_execz .LBB31_250
; %bb.247:
	v_mov_b32_e32 v7, 0
	v_add_u32_e32 v6, -1, v0
	v_add_u32_e32 v7, 24, v7
	s_movk_i32 s10, 0x210
	s_mov_b64 s[0:1], 0
.LBB31_248:                             ; =>This Inner Loop Header: Depth=1
	v_add_u32_e32 v10, -8, v7
	scratch_load_dwordx4 v[10:13], v10, off
	v_mov_b32_e32 v109, s10
	ds_read_b128 v[110:113], v109
	v_add_u32_e32 v6, -1, v6
	s_add_i32 s10, s10, 16
	v_cmp_eq_u32_e32 vcc, 0, v6
	v_add_u32_e32 v7, 16, v7
	s_or_b64 s[0:1], vcc, s[0:1]
	s_waitcnt vmcnt(0) lgkmcnt(0)
	v_mul_f64 v[114:115], v[112:113], v[12:13]
	v_mul_f64 v[12:13], v[110:111], v[12:13]
	v_fma_f64 v[110:111], v[110:111], v[10:11], -v[114:115]
	v_fmac_f64_e32 v[12:13], v[112:113], v[10:11]
	v_add_f64 v[2:3], v[2:3], v[110:111]
	v_add_f64 v[4:5], v[4:5], v[12:13]
	s_andn2_b64 exec, exec, s[0:1]
	s_cbranch_execnz .LBB31_248
; %bb.249:
	s_or_b64 exec, exec, s[0:1]
.LBB31_250:
	s_or_b64 exec, exec, s[4:5]
	v_mov_b32_e32 v6, 0
	ds_read_b128 v[110:113], v6
	v_mov_b32_e32 v6, 0
	v_or_b32_e32 v10, 8, v6
	s_mov_b64 s[4:5], exec
	s_waitcnt lgkmcnt(0)
	v_mul_f64 v[12:13], v[4:5], v[112:113]
	v_mul_f64 v[6:7], v[2:3], v[112:113]
	v_fma_f64 v[2:3], v[2:3], v[110:111], -v[12:13]
	v_fmac_f64_e32 v[6:7], v[4:5], v[110:111]
	scratch_store_dwordx2 off, v[2:3], off
.LBB31_251:
	s_or_b64 exec, exec, s[8:9]
	s_and_b64 vcc, exec, s[2:3]
	s_cbranch_vccnz .LBB31_253
	s_branch .LBB31_496
.LBB31_252:
	s_mov_b64 s[4:5], 0
                                        ; implicit-def: $vgpr6_vgpr7
                                        ; implicit-def: $vgpr10
	s_cbranch_execz .LBB31_496
.LBB31_253:
	scratch_load_dwordx4 v[2:5], v100, off
	v_cndmask_b32_e64 v6, 0, 1, s[6:7]
	v_cmp_eq_u32_e64 s[2:3], 0, v0
	v_cmp_ne_u32_e64 s[0:1], 1, v6
	s_waitcnt vmcnt(0)
	ds_write_b128 v9, v[2:5]
	s_waitcnt lgkmcnt(0)
	; wave barrier
	s_waitcnt lgkmcnt(0)
	s_and_saveexec_b64 s[6:7], s[2:3]
	s_cbranch_execz .LBB31_257
; %bb.254:
	ds_read_b128 v[2:5], v9
	s_and_b64 vcc, exec, s[0:1]
	s_cbranch_vccnz .LBB31_256
; %bb.255:
	scratch_load_dwordx4 v[10:13], v8, off
	s_waitcnt vmcnt(0) lgkmcnt(0)
	v_mul_f64 v[6:7], v[4:5], v[12:13]
	v_mul_f64 v[12:13], v[2:3], v[12:13]
	v_fmac_f64_e32 v[12:13], v[4:5], v[10:11]
	v_fma_f64 v[2:3], v[2:3], v[10:11], -v[6:7]
	v_mov_b64_e32 v[4:5], v[12:13]
.LBB31_256:
	v_mov_b32_e32 v6, 0
	ds_read_b128 v[10:13], v6 offset:16
	s_waitcnt lgkmcnt(0)
	v_mul_f64 v[6:7], v[4:5], v[12:13]
	v_mul_f64 v[112:113], v[2:3], v[12:13]
	v_fma_f64 v[110:111], v[2:3], v[10:11], -v[6:7]
	v_fmac_f64_e32 v[112:113], v[4:5], v[10:11]
	scratch_store_dwordx4 off, v[110:113], off offset:16
.LBB31_257:
	s_or_b64 exec, exec, s[6:7]
	scratch_load_dwordx4 v[2:5], v102, off
	v_cmp_gt_u32_e32 vcc, 2, v0
	s_waitcnt vmcnt(0)
	ds_write_b128 v9, v[2:5]
	s_waitcnt lgkmcnt(0)
	; wave barrier
	s_waitcnt lgkmcnt(0)
	s_and_saveexec_b64 s[6:7], vcc
	s_cbranch_execz .LBB31_263
; %bb.258:
	ds_read_b128 v[2:5], v9
	s_and_b64 vcc, exec, s[0:1]
	s_cbranch_vccnz .LBB31_260
; %bb.259:
	scratch_load_dwordx4 v[10:13], v8, off
	s_waitcnt vmcnt(0) lgkmcnt(0)
	v_mul_f64 v[6:7], v[4:5], v[12:13]
	v_mul_f64 v[12:13], v[2:3], v[12:13]
	v_fmac_f64_e32 v[12:13], v[4:5], v[10:11]
	v_fma_f64 v[2:3], v[2:3], v[10:11], -v[6:7]
	v_mov_b64_e32 v[4:5], v[12:13]
.LBB31_260:
	s_and_saveexec_b64 s[8:9], s[2:3]
	s_cbranch_execz .LBB31_262
; %bb.261:
	scratch_load_dwordx4 v[10:13], v8, off offset:16
	ds_read_b128 v[110:113], v9 offset:16
	s_waitcnt vmcnt(0) lgkmcnt(0)
	v_mul_f64 v[6:7], v[112:113], v[12:13]
	v_mul_f64 v[12:13], v[110:111], v[12:13]
	v_fma_f64 v[6:7], v[110:111], v[10:11], -v[6:7]
	v_fmac_f64_e32 v[12:13], v[112:113], v[10:11]
	v_add_f64 v[2:3], v[2:3], v[6:7]
	v_add_f64 v[4:5], v[4:5], v[12:13]
.LBB31_262:
	s_or_b64 exec, exec, s[8:9]
	v_mov_b32_e32 v6, 0
	ds_read_b128 v[10:13], v6 offset:32
	s_waitcnt lgkmcnt(0)
	v_mul_f64 v[6:7], v[4:5], v[12:13]
	v_mul_f64 v[112:113], v[2:3], v[12:13]
	v_fma_f64 v[110:111], v[2:3], v[10:11], -v[6:7]
	v_fmac_f64_e32 v[112:113], v[4:5], v[10:11]
	scratch_store_dwordx4 off, v[110:113], off offset:32
.LBB31_263:
	s_or_b64 exec, exec, s[6:7]
	scratch_load_dwordx4 v[2:5], v106, off
	v_cmp_gt_u32_e32 vcc, 3, v0
	s_waitcnt vmcnt(0)
	ds_write_b128 v9, v[2:5]
	s_waitcnt lgkmcnt(0)
	; wave barrier
	s_waitcnt lgkmcnt(0)
	s_and_saveexec_b64 s[6:7], vcc
	s_cbranch_execz .LBB31_271
; %bb.264:
	ds_read_b128 v[2:5], v9
	s_and_b64 vcc, exec, s[0:1]
	s_cbranch_vccnz .LBB31_266
; %bb.265:
	scratch_load_dwordx4 v[10:13], v8, off
	s_waitcnt vmcnt(0) lgkmcnt(0)
	v_mul_f64 v[6:7], v[4:5], v[12:13]
	v_mul_f64 v[12:13], v[2:3], v[12:13]
	v_fmac_f64_e32 v[12:13], v[4:5], v[10:11]
	v_fma_f64 v[2:3], v[2:3], v[10:11], -v[6:7]
	v_mov_b64_e32 v[4:5], v[12:13]
.LBB31_266:
	v_cmp_ne_u32_e32 vcc, 2, v0
	s_and_saveexec_b64 s[8:9], vcc
	s_cbranch_execz .LBB31_270
; %bb.267:
	scratch_load_dwordx4 v[10:13], v8, off offset:16
	ds_read_b128 v[110:113], v9 offset:16
	s_waitcnt vmcnt(0) lgkmcnt(0)
	v_mul_f64 v[6:7], v[112:113], v[12:13]
	v_mul_f64 v[12:13], v[110:111], v[12:13]
	v_fma_f64 v[6:7], v[110:111], v[10:11], -v[6:7]
	v_fmac_f64_e32 v[12:13], v[112:113], v[10:11]
	v_add_f64 v[2:3], v[2:3], v[6:7]
	v_add_f64 v[4:5], v[4:5], v[12:13]
	s_and_saveexec_b64 s[10:11], s[2:3]
	s_cbranch_execz .LBB31_269
; %bb.268:
	scratch_load_dwordx4 v[10:13], off, off offset:32
	v_mov_b32_e32 v6, 0
	ds_read_b128 v[110:113], v6 offset:544
	s_waitcnt vmcnt(0) lgkmcnt(0)
	v_mul_f64 v[6:7], v[110:111], v[12:13]
	v_mul_f64 v[12:13], v[112:113], v[12:13]
	v_fmac_f64_e32 v[6:7], v[112:113], v[10:11]
	v_fma_f64 v[10:11], v[110:111], v[10:11], -v[12:13]
	v_add_f64 v[4:5], v[4:5], v[6:7]
	v_add_f64 v[2:3], v[2:3], v[10:11]
.LBB31_269:
	s_or_b64 exec, exec, s[10:11]
.LBB31_270:
	s_or_b64 exec, exec, s[8:9]
	v_mov_b32_e32 v6, 0
	ds_read_b128 v[10:13], v6 offset:48
	s_waitcnt lgkmcnt(0)
	v_mul_f64 v[6:7], v[4:5], v[12:13]
	v_mul_f64 v[112:113], v[2:3], v[12:13]
	v_fma_f64 v[110:111], v[2:3], v[10:11], -v[6:7]
	v_fmac_f64_e32 v[112:113], v[4:5], v[10:11]
	scratch_store_dwordx4 off, v[110:113], off offset:48
.LBB31_271:
	s_or_b64 exec, exec, s[6:7]
	scratch_load_dwordx4 v[2:5], v104, off
	v_cmp_gt_u32_e32 vcc, 4, v0
	s_waitcnt vmcnt(0)
	ds_write_b128 v9, v[2:5]
	s_waitcnt lgkmcnt(0)
	; wave barrier
	s_waitcnt lgkmcnt(0)
	s_and_saveexec_b64 s[2:3], vcc
	s_cbranch_execz .LBB31_279
; %bb.272:
	ds_read_b128 v[2:5], v9
	s_and_b64 vcc, exec, s[0:1]
	s_cbranch_vccnz .LBB31_274
; %bb.273:
	scratch_load_dwordx4 v[10:13], v8, off
	s_waitcnt vmcnt(0) lgkmcnt(0)
	v_mul_f64 v[6:7], v[4:5], v[12:13]
	v_mul_f64 v[12:13], v[2:3], v[12:13]
	v_fmac_f64_e32 v[12:13], v[4:5], v[10:11]
	v_fma_f64 v[2:3], v[2:3], v[10:11], -v[6:7]
	v_mov_b64_e32 v[4:5], v[12:13]
.LBB31_274:
	v_cmp_ne_u32_e32 vcc, 3, v0
	s_and_saveexec_b64 s[6:7], vcc
	s_cbranch_execz .LBB31_278
; %bb.275:
	v_mov_b32_e32 v7, 0
	v_add_u32_e32 v6, 0x210, v66
	v_add3_u32 v7, v66, v7, 24
	s_mov_b64 s[8:9], 0
	v_mov_b32_e32 v10, v0
.LBB31_276:                             ; =>This Inner Loop Header: Depth=1
	v_add_u32_e32 v11, -8, v7
	scratch_load_dwordx4 v[110:113], v11, off
	ds_read_b128 v[114:117], v6
	v_add_u32_e32 v10, 1, v10
	v_cmp_lt_u32_e32 vcc, 2, v10
	v_add_u32_e32 v6, 16, v6
	v_add_u32_e32 v7, 16, v7
	s_or_b64 s[8:9], vcc, s[8:9]
	s_waitcnt vmcnt(0) lgkmcnt(0)
	v_mul_f64 v[12:13], v[116:117], v[112:113]
	v_mul_f64 v[112:113], v[114:115], v[112:113]
	v_fma_f64 v[12:13], v[114:115], v[110:111], -v[12:13]
	v_fmac_f64_e32 v[112:113], v[116:117], v[110:111]
	v_add_f64 v[2:3], v[2:3], v[12:13]
	v_add_f64 v[4:5], v[4:5], v[112:113]
	s_andn2_b64 exec, exec, s[8:9]
	s_cbranch_execnz .LBB31_276
; %bb.277:
	s_or_b64 exec, exec, s[8:9]
.LBB31_278:
	s_or_b64 exec, exec, s[6:7]
	v_mov_b32_e32 v6, 0
	ds_read_b128 v[10:13], v6 offset:64
	s_waitcnt lgkmcnt(0)
	v_mul_f64 v[6:7], v[4:5], v[12:13]
	v_mul_f64 v[112:113], v[2:3], v[12:13]
	v_fma_f64 v[110:111], v[2:3], v[10:11], -v[6:7]
	v_fmac_f64_e32 v[112:113], v[4:5], v[10:11]
	scratch_store_dwordx4 off, v[110:113], off offset:64
.LBB31_279:
	s_or_b64 exec, exec, s[2:3]
	scratch_load_dwordx4 v[2:5], v107, off
	v_cmp_gt_u32_e32 vcc, 5, v0
	s_waitcnt vmcnt(0)
	ds_write_b128 v9, v[2:5]
	s_waitcnt lgkmcnt(0)
	; wave barrier
	s_waitcnt lgkmcnt(0)
	s_and_saveexec_b64 s[2:3], vcc
	s_cbranch_execz .LBB31_287
; %bb.280:
	ds_read_b128 v[2:5], v9
	s_and_b64 vcc, exec, s[0:1]
	s_cbranch_vccnz .LBB31_282
; %bb.281:
	scratch_load_dwordx4 v[10:13], v8, off
	s_waitcnt vmcnt(0) lgkmcnt(0)
	v_mul_f64 v[6:7], v[4:5], v[12:13]
	v_mul_f64 v[12:13], v[2:3], v[12:13]
	v_fmac_f64_e32 v[12:13], v[4:5], v[10:11]
	v_fma_f64 v[2:3], v[2:3], v[10:11], -v[6:7]
	v_mov_b64_e32 v[4:5], v[12:13]
.LBB31_282:
	v_cmp_ne_u32_e32 vcc, 4, v0
	s_and_saveexec_b64 s[6:7], vcc
	s_cbranch_execz .LBB31_286
; %bb.283:
	v_mov_b32_e32 v7, 0
	v_add_u32_e32 v6, 0x210, v66
	v_add3_u32 v7, v66, v7, 24
	s_mov_b64 s[8:9], 0
	v_mov_b32_e32 v10, v0
.LBB31_284:                             ; =>This Inner Loop Header: Depth=1
	v_add_u32_e32 v11, -8, v7
	scratch_load_dwordx4 v[110:113], v11, off
	ds_read_b128 v[114:117], v6
	v_add_u32_e32 v10, 1, v10
	v_cmp_lt_u32_e32 vcc, 3, v10
	v_add_u32_e32 v6, 16, v6
	v_add_u32_e32 v7, 16, v7
	s_or_b64 s[8:9], vcc, s[8:9]
	s_waitcnt vmcnt(0) lgkmcnt(0)
	v_mul_f64 v[12:13], v[116:117], v[112:113]
	v_mul_f64 v[112:113], v[114:115], v[112:113]
	v_fma_f64 v[12:13], v[114:115], v[110:111], -v[12:13]
	v_fmac_f64_e32 v[112:113], v[116:117], v[110:111]
	v_add_f64 v[2:3], v[2:3], v[12:13]
	v_add_f64 v[4:5], v[4:5], v[112:113]
	s_andn2_b64 exec, exec, s[8:9]
	s_cbranch_execnz .LBB31_284
; %bb.285:
	s_or_b64 exec, exec, s[8:9]
.LBB31_286:
	s_or_b64 exec, exec, s[6:7]
	v_mov_b32_e32 v6, 0
	ds_read_b128 v[10:13], v6 offset:80
	s_waitcnt lgkmcnt(0)
	v_mul_f64 v[6:7], v[4:5], v[12:13]
	v_mul_f64 v[112:113], v[2:3], v[12:13]
	v_fma_f64 v[110:111], v[2:3], v[10:11], -v[6:7]
	v_fmac_f64_e32 v[112:113], v[4:5], v[10:11]
	scratch_store_dwordx4 off, v[110:113], off offset:80
.LBB31_287:
	s_or_b64 exec, exec, s[2:3]
	scratch_load_dwordx4 v[2:5], v105, off
	v_cmp_gt_u32_e32 vcc, 6, v0
	s_waitcnt vmcnt(0)
	ds_write_b128 v9, v[2:5]
	s_waitcnt lgkmcnt(0)
	; wave barrier
	s_waitcnt lgkmcnt(0)
	s_and_saveexec_b64 s[2:3], vcc
	s_cbranch_execz .LBB31_295
; %bb.288:
	ds_read_b128 v[2:5], v9
	s_and_b64 vcc, exec, s[0:1]
	s_cbranch_vccnz .LBB31_290
; %bb.289:
	scratch_load_dwordx4 v[10:13], v8, off
	s_waitcnt vmcnt(0) lgkmcnt(0)
	v_mul_f64 v[6:7], v[4:5], v[12:13]
	v_mul_f64 v[12:13], v[2:3], v[12:13]
	v_fmac_f64_e32 v[12:13], v[4:5], v[10:11]
	v_fma_f64 v[2:3], v[2:3], v[10:11], -v[6:7]
	v_mov_b64_e32 v[4:5], v[12:13]
.LBB31_290:
	v_cmp_ne_u32_e32 vcc, 5, v0
	s_and_saveexec_b64 s[6:7], vcc
	s_cbranch_execz .LBB31_294
; %bb.291:
	v_mov_b32_e32 v7, 0
	v_add_u32_e32 v6, 0x210, v66
	v_add3_u32 v7, v66, v7, 24
	s_mov_b64 s[8:9], 0
	v_mov_b32_e32 v10, v0
.LBB31_292:                             ; =>This Inner Loop Header: Depth=1
	v_add_u32_e32 v11, -8, v7
	scratch_load_dwordx4 v[110:113], v11, off
	ds_read_b128 v[114:117], v6
	v_add_u32_e32 v10, 1, v10
	v_cmp_lt_u32_e32 vcc, 4, v10
	v_add_u32_e32 v6, 16, v6
	v_add_u32_e32 v7, 16, v7
	s_or_b64 s[8:9], vcc, s[8:9]
	s_waitcnt vmcnt(0) lgkmcnt(0)
	v_mul_f64 v[12:13], v[116:117], v[112:113]
	v_mul_f64 v[112:113], v[114:115], v[112:113]
	v_fma_f64 v[12:13], v[114:115], v[110:111], -v[12:13]
	v_fmac_f64_e32 v[112:113], v[116:117], v[110:111]
	v_add_f64 v[2:3], v[2:3], v[12:13]
	v_add_f64 v[4:5], v[4:5], v[112:113]
	s_andn2_b64 exec, exec, s[8:9]
	s_cbranch_execnz .LBB31_292
; %bb.293:
	s_or_b64 exec, exec, s[8:9]
.LBB31_294:
	s_or_b64 exec, exec, s[6:7]
	v_mov_b32_e32 v6, 0
	ds_read_b128 v[10:13], v6 offset:96
	s_waitcnt lgkmcnt(0)
	v_mul_f64 v[6:7], v[4:5], v[12:13]
	v_mul_f64 v[112:113], v[2:3], v[12:13]
	v_fma_f64 v[110:111], v[2:3], v[10:11], -v[6:7]
	v_fmac_f64_e32 v[112:113], v[4:5], v[10:11]
	scratch_store_dwordx4 off, v[110:113], off offset:96
.LBB31_295:
	s_or_b64 exec, exec, s[2:3]
	scratch_load_dwordx4 v[2:5], v108, off
	v_cmp_gt_u32_e32 vcc, 7, v0
	s_waitcnt vmcnt(0)
	ds_write_b128 v9, v[2:5]
	s_waitcnt lgkmcnt(0)
	; wave barrier
	s_waitcnt lgkmcnt(0)
	s_and_saveexec_b64 s[2:3], vcc
	s_cbranch_execz .LBB31_303
; %bb.296:
	ds_read_b128 v[2:5], v9
	s_and_b64 vcc, exec, s[0:1]
	s_cbranch_vccnz .LBB31_298
; %bb.297:
	scratch_load_dwordx4 v[10:13], v8, off
	s_waitcnt vmcnt(0) lgkmcnt(0)
	v_mul_f64 v[6:7], v[4:5], v[12:13]
	v_mul_f64 v[12:13], v[2:3], v[12:13]
	v_fmac_f64_e32 v[12:13], v[4:5], v[10:11]
	v_fma_f64 v[2:3], v[2:3], v[10:11], -v[6:7]
	v_mov_b64_e32 v[4:5], v[12:13]
.LBB31_298:
	v_cmp_ne_u32_e32 vcc, 6, v0
	s_and_saveexec_b64 s[6:7], vcc
	s_cbranch_execz .LBB31_302
; %bb.299:
	v_mov_b32_e32 v7, 0
	v_add_u32_e32 v6, 0x210, v66
	v_add3_u32 v7, v66, v7, 24
	s_mov_b64 s[8:9], 0
	v_mov_b32_e32 v10, v0
.LBB31_300:                             ; =>This Inner Loop Header: Depth=1
	v_add_u32_e32 v11, -8, v7
	scratch_load_dwordx4 v[110:113], v11, off
	ds_read_b128 v[114:117], v6
	v_add_u32_e32 v10, 1, v10
	v_cmp_lt_u32_e32 vcc, 5, v10
	v_add_u32_e32 v6, 16, v6
	v_add_u32_e32 v7, 16, v7
	s_or_b64 s[8:9], vcc, s[8:9]
	s_waitcnt vmcnt(0) lgkmcnt(0)
	v_mul_f64 v[12:13], v[116:117], v[112:113]
	v_mul_f64 v[112:113], v[114:115], v[112:113]
	v_fma_f64 v[12:13], v[114:115], v[110:111], -v[12:13]
	v_fmac_f64_e32 v[112:113], v[116:117], v[110:111]
	v_add_f64 v[2:3], v[2:3], v[12:13]
	v_add_f64 v[4:5], v[4:5], v[112:113]
	s_andn2_b64 exec, exec, s[8:9]
	s_cbranch_execnz .LBB31_300
; %bb.301:
	s_or_b64 exec, exec, s[8:9]
.LBB31_302:
	s_or_b64 exec, exec, s[6:7]
	v_mov_b32_e32 v6, 0
	ds_read_b128 v[10:13], v6 offset:112
	s_waitcnt lgkmcnt(0)
	v_mul_f64 v[6:7], v[4:5], v[12:13]
	v_mul_f64 v[112:113], v[2:3], v[12:13]
	v_fma_f64 v[110:111], v[2:3], v[10:11], -v[6:7]
	v_fmac_f64_e32 v[112:113], v[4:5], v[10:11]
	scratch_store_dwordx4 off, v[110:113], off offset:112
.LBB31_303:
	s_or_b64 exec, exec, s[2:3]
	scratch_load_dwordx4 v[2:5], v103, off
	v_cmp_gt_u32_e32 vcc, 8, v0
	s_waitcnt vmcnt(0)
	ds_write_b128 v9, v[2:5]
	s_waitcnt lgkmcnt(0)
	; wave barrier
	s_waitcnt lgkmcnt(0)
	s_and_saveexec_b64 s[2:3], vcc
	s_cbranch_execz .LBB31_311
; %bb.304:
	ds_read_b128 v[2:5], v9
	s_and_b64 vcc, exec, s[0:1]
	s_cbranch_vccnz .LBB31_306
; %bb.305:
	scratch_load_dwordx4 v[10:13], v8, off
	s_waitcnt vmcnt(0) lgkmcnt(0)
	v_mul_f64 v[6:7], v[4:5], v[12:13]
	v_mul_f64 v[12:13], v[2:3], v[12:13]
	v_fmac_f64_e32 v[12:13], v[4:5], v[10:11]
	v_fma_f64 v[2:3], v[2:3], v[10:11], -v[6:7]
	v_mov_b64_e32 v[4:5], v[12:13]
.LBB31_306:
	v_cmp_ne_u32_e32 vcc, 7, v0
	s_and_saveexec_b64 s[6:7], vcc
	s_cbranch_execz .LBB31_310
; %bb.307:
	v_mov_b32_e32 v7, 0
	v_add_u32_e32 v6, 0x210, v66
	v_add3_u32 v7, v66, v7, 24
	s_mov_b64 s[8:9], 0
	v_mov_b32_e32 v10, v0
.LBB31_308:                             ; =>This Inner Loop Header: Depth=1
	v_add_u32_e32 v11, -8, v7
	scratch_load_dwordx4 v[110:113], v11, off
	ds_read_b128 v[114:117], v6
	v_add_u32_e32 v10, 1, v10
	v_cmp_lt_u32_e32 vcc, 6, v10
	v_add_u32_e32 v6, 16, v6
	v_add_u32_e32 v7, 16, v7
	s_or_b64 s[8:9], vcc, s[8:9]
	s_waitcnt vmcnt(0) lgkmcnt(0)
	v_mul_f64 v[12:13], v[116:117], v[112:113]
	v_mul_f64 v[112:113], v[114:115], v[112:113]
	v_fma_f64 v[12:13], v[114:115], v[110:111], -v[12:13]
	v_fmac_f64_e32 v[112:113], v[116:117], v[110:111]
	v_add_f64 v[2:3], v[2:3], v[12:13]
	v_add_f64 v[4:5], v[4:5], v[112:113]
	s_andn2_b64 exec, exec, s[8:9]
	s_cbranch_execnz .LBB31_308
; %bb.309:
	s_or_b64 exec, exec, s[8:9]
.LBB31_310:
	s_or_b64 exec, exec, s[6:7]
	v_mov_b32_e32 v6, 0
	ds_read_b128 v[10:13], v6 offset:128
	s_waitcnt lgkmcnt(0)
	v_mul_f64 v[6:7], v[4:5], v[12:13]
	v_mul_f64 v[112:113], v[2:3], v[12:13]
	v_fma_f64 v[110:111], v[2:3], v[10:11], -v[6:7]
	v_fmac_f64_e32 v[112:113], v[4:5], v[10:11]
	scratch_store_dwordx4 off, v[110:113], off offset:128
.LBB31_311:
	s_or_b64 exec, exec, s[2:3]
	scratch_load_dwordx4 v[2:5], v99, off
	v_cmp_gt_u32_e32 vcc, 9, v0
	s_waitcnt vmcnt(0)
	ds_write_b128 v9, v[2:5]
	s_waitcnt lgkmcnt(0)
	; wave barrier
	s_waitcnt lgkmcnt(0)
	s_and_saveexec_b64 s[2:3], vcc
	s_cbranch_execz .LBB31_319
; %bb.312:
	ds_read_b128 v[2:5], v9
	s_and_b64 vcc, exec, s[0:1]
	s_cbranch_vccnz .LBB31_314
; %bb.313:
	scratch_load_dwordx4 v[10:13], v8, off
	s_waitcnt vmcnt(0) lgkmcnt(0)
	v_mul_f64 v[6:7], v[4:5], v[12:13]
	v_mul_f64 v[12:13], v[2:3], v[12:13]
	v_fmac_f64_e32 v[12:13], v[4:5], v[10:11]
	v_fma_f64 v[2:3], v[2:3], v[10:11], -v[6:7]
	v_mov_b64_e32 v[4:5], v[12:13]
.LBB31_314:
	v_cmp_ne_u32_e32 vcc, 8, v0
	s_and_saveexec_b64 s[6:7], vcc
	s_cbranch_execz .LBB31_318
; %bb.315:
	v_mov_b32_e32 v7, 0
	v_add_u32_e32 v6, 0x210, v66
	v_add3_u32 v7, v66, v7, 24
	s_mov_b64 s[8:9], 0
	v_mov_b32_e32 v10, v0
.LBB31_316:                             ; =>This Inner Loop Header: Depth=1
	v_add_u32_e32 v11, -8, v7
	scratch_load_dwordx4 v[110:113], v11, off
	ds_read_b128 v[114:117], v6
	v_add_u32_e32 v10, 1, v10
	v_cmp_lt_u32_e32 vcc, 7, v10
	v_add_u32_e32 v6, 16, v6
	v_add_u32_e32 v7, 16, v7
	s_or_b64 s[8:9], vcc, s[8:9]
	s_waitcnt vmcnt(0) lgkmcnt(0)
	v_mul_f64 v[12:13], v[116:117], v[112:113]
	v_mul_f64 v[112:113], v[114:115], v[112:113]
	v_fma_f64 v[12:13], v[114:115], v[110:111], -v[12:13]
	v_fmac_f64_e32 v[112:113], v[116:117], v[110:111]
	v_add_f64 v[2:3], v[2:3], v[12:13]
	v_add_f64 v[4:5], v[4:5], v[112:113]
	s_andn2_b64 exec, exec, s[8:9]
	s_cbranch_execnz .LBB31_316
; %bb.317:
	s_or_b64 exec, exec, s[8:9]
.LBB31_318:
	s_or_b64 exec, exec, s[6:7]
	v_mov_b32_e32 v6, 0
	ds_read_b128 v[10:13], v6 offset:144
	s_waitcnt lgkmcnt(0)
	v_mul_f64 v[6:7], v[4:5], v[12:13]
	v_mul_f64 v[112:113], v[2:3], v[12:13]
	v_fma_f64 v[110:111], v[2:3], v[10:11], -v[6:7]
	v_fmac_f64_e32 v[112:113], v[4:5], v[10:11]
	scratch_store_dwordx4 off, v[110:113], off offset:144
.LBB31_319:
	s_or_b64 exec, exec, s[2:3]
	scratch_load_dwordx4 v[2:5], v101, off
	v_cmp_gt_u32_e32 vcc, 10, v0
	s_waitcnt vmcnt(0)
	ds_write_b128 v9, v[2:5]
	s_waitcnt lgkmcnt(0)
	; wave barrier
	s_waitcnt lgkmcnt(0)
	s_and_saveexec_b64 s[2:3], vcc
	s_cbranch_execz .LBB31_327
; %bb.320:
	ds_read_b128 v[2:5], v9
	s_and_b64 vcc, exec, s[0:1]
	s_cbranch_vccnz .LBB31_322
; %bb.321:
	scratch_load_dwordx4 v[10:13], v8, off
	s_waitcnt vmcnt(0) lgkmcnt(0)
	v_mul_f64 v[6:7], v[4:5], v[12:13]
	v_mul_f64 v[12:13], v[2:3], v[12:13]
	v_fmac_f64_e32 v[12:13], v[4:5], v[10:11]
	v_fma_f64 v[2:3], v[2:3], v[10:11], -v[6:7]
	v_mov_b64_e32 v[4:5], v[12:13]
.LBB31_322:
	v_cmp_ne_u32_e32 vcc, 9, v0
	s_and_saveexec_b64 s[6:7], vcc
	s_cbranch_execz .LBB31_326
; %bb.323:
	v_mov_b32_e32 v7, 0
	v_add_u32_e32 v6, 0x210, v66
	v_add3_u32 v7, v66, v7, 24
	s_mov_b64 s[8:9], 0
	v_mov_b32_e32 v10, v0
.LBB31_324:                             ; =>This Inner Loop Header: Depth=1
	v_add_u32_e32 v11, -8, v7
	scratch_load_dwordx4 v[110:113], v11, off
	ds_read_b128 v[114:117], v6
	v_add_u32_e32 v10, 1, v10
	v_cmp_lt_u32_e32 vcc, 8, v10
	v_add_u32_e32 v6, 16, v6
	v_add_u32_e32 v7, 16, v7
	s_or_b64 s[8:9], vcc, s[8:9]
	s_waitcnt vmcnt(0) lgkmcnt(0)
	v_mul_f64 v[12:13], v[116:117], v[112:113]
	v_mul_f64 v[112:113], v[114:115], v[112:113]
	v_fma_f64 v[12:13], v[114:115], v[110:111], -v[12:13]
	v_fmac_f64_e32 v[112:113], v[116:117], v[110:111]
	v_add_f64 v[2:3], v[2:3], v[12:13]
	v_add_f64 v[4:5], v[4:5], v[112:113]
	s_andn2_b64 exec, exec, s[8:9]
	s_cbranch_execnz .LBB31_324
; %bb.325:
	s_or_b64 exec, exec, s[8:9]
.LBB31_326:
	s_or_b64 exec, exec, s[6:7]
	v_mov_b32_e32 v6, 0
	ds_read_b128 v[10:13], v6 offset:160
	s_waitcnt lgkmcnt(0)
	v_mul_f64 v[6:7], v[4:5], v[12:13]
	v_mul_f64 v[112:113], v[2:3], v[12:13]
	v_fma_f64 v[110:111], v[2:3], v[10:11], -v[6:7]
	v_fmac_f64_e32 v[112:113], v[4:5], v[10:11]
	scratch_store_dwordx4 off, v[110:113], off offset:160
.LBB31_327:
	s_or_b64 exec, exec, s[2:3]
	scratch_load_dwordx4 v[2:5], v98, off
	v_cmp_gt_u32_e32 vcc, 11, v0
	s_waitcnt vmcnt(0)
	ds_write_b128 v9, v[2:5]
	s_waitcnt lgkmcnt(0)
	; wave barrier
	s_waitcnt lgkmcnt(0)
	s_and_saveexec_b64 s[2:3], vcc
	s_cbranch_execz .LBB31_335
; %bb.328:
	ds_read_b128 v[2:5], v9
	s_and_b64 vcc, exec, s[0:1]
	s_cbranch_vccnz .LBB31_330
; %bb.329:
	scratch_load_dwordx4 v[10:13], v8, off
	s_waitcnt vmcnt(0) lgkmcnt(0)
	v_mul_f64 v[6:7], v[4:5], v[12:13]
	v_mul_f64 v[12:13], v[2:3], v[12:13]
	v_fmac_f64_e32 v[12:13], v[4:5], v[10:11]
	v_fma_f64 v[2:3], v[2:3], v[10:11], -v[6:7]
	v_mov_b64_e32 v[4:5], v[12:13]
.LBB31_330:
	v_cmp_ne_u32_e32 vcc, 10, v0
	s_and_saveexec_b64 s[6:7], vcc
	s_cbranch_execz .LBB31_334
; %bb.331:
	v_mov_b32_e32 v7, 0
	v_add_u32_e32 v6, 0x210, v66
	v_add3_u32 v7, v66, v7, 24
	s_mov_b64 s[8:9], 0
	v_mov_b32_e32 v10, v0
.LBB31_332:                             ; =>This Inner Loop Header: Depth=1
	v_add_u32_e32 v11, -8, v7
	scratch_load_dwordx4 v[110:113], v11, off
	ds_read_b128 v[114:117], v6
	v_add_u32_e32 v10, 1, v10
	v_cmp_lt_u32_e32 vcc, 9, v10
	v_add_u32_e32 v6, 16, v6
	v_add_u32_e32 v7, 16, v7
	s_or_b64 s[8:9], vcc, s[8:9]
	s_waitcnt vmcnt(0) lgkmcnt(0)
	v_mul_f64 v[12:13], v[116:117], v[112:113]
	v_mul_f64 v[112:113], v[114:115], v[112:113]
	v_fma_f64 v[12:13], v[114:115], v[110:111], -v[12:13]
	v_fmac_f64_e32 v[112:113], v[116:117], v[110:111]
	v_add_f64 v[2:3], v[2:3], v[12:13]
	v_add_f64 v[4:5], v[4:5], v[112:113]
	s_andn2_b64 exec, exec, s[8:9]
	s_cbranch_execnz .LBB31_332
; %bb.333:
	s_or_b64 exec, exec, s[8:9]
.LBB31_334:
	s_or_b64 exec, exec, s[6:7]
	v_mov_b32_e32 v6, 0
	ds_read_b128 v[10:13], v6 offset:176
	s_waitcnt lgkmcnt(0)
	v_mul_f64 v[6:7], v[4:5], v[12:13]
	v_mul_f64 v[112:113], v[2:3], v[12:13]
	v_fma_f64 v[110:111], v[2:3], v[10:11], -v[6:7]
	v_fmac_f64_e32 v[112:113], v[4:5], v[10:11]
	scratch_store_dwordx4 off, v[110:113], off offset:176
.LBB31_335:
	s_or_b64 exec, exec, s[2:3]
	scratch_load_dwordx4 v[2:5], v97, off
	v_cmp_gt_u32_e32 vcc, 12, v0
	s_waitcnt vmcnt(0)
	ds_write_b128 v9, v[2:5]
	s_waitcnt lgkmcnt(0)
	; wave barrier
	s_waitcnt lgkmcnt(0)
	s_and_saveexec_b64 s[2:3], vcc
	s_cbranch_execz .LBB31_343
; %bb.336:
	ds_read_b128 v[2:5], v9
	s_and_b64 vcc, exec, s[0:1]
	s_cbranch_vccnz .LBB31_338
; %bb.337:
	scratch_load_dwordx4 v[10:13], v8, off
	s_waitcnt vmcnt(0) lgkmcnt(0)
	v_mul_f64 v[6:7], v[4:5], v[12:13]
	v_mul_f64 v[12:13], v[2:3], v[12:13]
	v_fmac_f64_e32 v[12:13], v[4:5], v[10:11]
	v_fma_f64 v[2:3], v[2:3], v[10:11], -v[6:7]
	v_mov_b64_e32 v[4:5], v[12:13]
.LBB31_338:
	v_cmp_ne_u32_e32 vcc, 11, v0
	s_and_saveexec_b64 s[6:7], vcc
	s_cbranch_execz .LBB31_342
; %bb.339:
	v_mov_b32_e32 v7, 0
	v_add_u32_e32 v6, 0x210, v66
	v_add3_u32 v7, v66, v7, 24
	s_mov_b64 s[8:9], 0
	v_mov_b32_e32 v10, v0
.LBB31_340:                             ; =>This Inner Loop Header: Depth=1
	v_add_u32_e32 v11, -8, v7
	scratch_load_dwordx4 v[110:113], v11, off
	ds_read_b128 v[114:117], v6
	v_add_u32_e32 v10, 1, v10
	v_cmp_lt_u32_e32 vcc, 10, v10
	v_add_u32_e32 v6, 16, v6
	v_add_u32_e32 v7, 16, v7
	s_or_b64 s[8:9], vcc, s[8:9]
	s_waitcnt vmcnt(0) lgkmcnt(0)
	v_mul_f64 v[12:13], v[116:117], v[112:113]
	v_mul_f64 v[112:113], v[114:115], v[112:113]
	v_fma_f64 v[12:13], v[114:115], v[110:111], -v[12:13]
	v_fmac_f64_e32 v[112:113], v[116:117], v[110:111]
	v_add_f64 v[2:3], v[2:3], v[12:13]
	v_add_f64 v[4:5], v[4:5], v[112:113]
	s_andn2_b64 exec, exec, s[8:9]
	s_cbranch_execnz .LBB31_340
; %bb.341:
	s_or_b64 exec, exec, s[8:9]
.LBB31_342:
	s_or_b64 exec, exec, s[6:7]
	v_mov_b32_e32 v6, 0
	ds_read_b128 v[10:13], v6 offset:192
	s_waitcnt lgkmcnt(0)
	v_mul_f64 v[6:7], v[4:5], v[12:13]
	v_mul_f64 v[112:113], v[2:3], v[12:13]
	v_fma_f64 v[110:111], v[2:3], v[10:11], -v[6:7]
	v_fmac_f64_e32 v[112:113], v[4:5], v[10:11]
	scratch_store_dwordx4 off, v[110:113], off offset:192
.LBB31_343:
	s_or_b64 exec, exec, s[2:3]
	scratch_load_dwordx4 v[2:5], v96, off
	v_cmp_gt_u32_e32 vcc, 13, v0
	s_waitcnt vmcnt(0)
	ds_write_b128 v9, v[2:5]
	s_waitcnt lgkmcnt(0)
	; wave barrier
	s_waitcnt lgkmcnt(0)
	s_and_saveexec_b64 s[2:3], vcc
	s_cbranch_execz .LBB31_351
; %bb.344:
	ds_read_b128 v[2:5], v9
	s_and_b64 vcc, exec, s[0:1]
	s_cbranch_vccnz .LBB31_346
; %bb.345:
	scratch_load_dwordx4 v[10:13], v8, off
	s_waitcnt vmcnt(0) lgkmcnt(0)
	v_mul_f64 v[6:7], v[4:5], v[12:13]
	v_mul_f64 v[12:13], v[2:3], v[12:13]
	v_fmac_f64_e32 v[12:13], v[4:5], v[10:11]
	v_fma_f64 v[2:3], v[2:3], v[10:11], -v[6:7]
	v_mov_b64_e32 v[4:5], v[12:13]
.LBB31_346:
	v_cmp_ne_u32_e32 vcc, 12, v0
	s_and_saveexec_b64 s[6:7], vcc
	s_cbranch_execz .LBB31_350
; %bb.347:
	v_mov_b32_e32 v7, 0
	v_add_u32_e32 v6, 0x210, v66
	v_add3_u32 v7, v66, v7, 24
	s_mov_b64 s[8:9], 0
	v_mov_b32_e32 v10, v0
.LBB31_348:                             ; =>This Inner Loop Header: Depth=1
	v_add_u32_e32 v11, -8, v7
	scratch_load_dwordx4 v[110:113], v11, off
	ds_read_b128 v[114:117], v6
	v_add_u32_e32 v10, 1, v10
	v_cmp_lt_u32_e32 vcc, 11, v10
	v_add_u32_e32 v6, 16, v6
	v_add_u32_e32 v7, 16, v7
	s_or_b64 s[8:9], vcc, s[8:9]
	s_waitcnt vmcnt(0) lgkmcnt(0)
	v_mul_f64 v[12:13], v[116:117], v[112:113]
	v_mul_f64 v[112:113], v[114:115], v[112:113]
	v_fma_f64 v[12:13], v[114:115], v[110:111], -v[12:13]
	v_fmac_f64_e32 v[112:113], v[116:117], v[110:111]
	v_add_f64 v[2:3], v[2:3], v[12:13]
	v_add_f64 v[4:5], v[4:5], v[112:113]
	s_andn2_b64 exec, exec, s[8:9]
	s_cbranch_execnz .LBB31_348
; %bb.349:
	s_or_b64 exec, exec, s[8:9]
.LBB31_350:
	s_or_b64 exec, exec, s[6:7]
	v_mov_b32_e32 v6, 0
	ds_read_b128 v[10:13], v6 offset:208
	s_waitcnt lgkmcnt(0)
	v_mul_f64 v[6:7], v[4:5], v[12:13]
	v_mul_f64 v[112:113], v[2:3], v[12:13]
	v_fma_f64 v[110:111], v[2:3], v[10:11], -v[6:7]
	v_fmac_f64_e32 v[112:113], v[4:5], v[10:11]
	scratch_store_dwordx4 off, v[110:113], off offset:208
.LBB31_351:
	s_or_b64 exec, exec, s[2:3]
	scratch_load_dwordx4 v[2:5], v94, off
	v_cmp_gt_u32_e32 vcc, 14, v0
	s_waitcnt vmcnt(0)
	ds_write_b128 v9, v[2:5]
	s_waitcnt lgkmcnt(0)
	; wave barrier
	s_waitcnt lgkmcnt(0)
	s_and_saveexec_b64 s[2:3], vcc
	s_cbranch_execz .LBB31_359
; %bb.352:
	ds_read_b128 v[2:5], v9
	s_and_b64 vcc, exec, s[0:1]
	s_cbranch_vccnz .LBB31_354
; %bb.353:
	scratch_load_dwordx4 v[10:13], v8, off
	s_waitcnt vmcnt(0) lgkmcnt(0)
	v_mul_f64 v[6:7], v[4:5], v[12:13]
	v_mul_f64 v[12:13], v[2:3], v[12:13]
	v_fmac_f64_e32 v[12:13], v[4:5], v[10:11]
	v_fma_f64 v[2:3], v[2:3], v[10:11], -v[6:7]
	v_mov_b64_e32 v[4:5], v[12:13]
.LBB31_354:
	v_cmp_ne_u32_e32 vcc, 13, v0
	s_and_saveexec_b64 s[6:7], vcc
	s_cbranch_execz .LBB31_358
; %bb.355:
	v_mov_b32_e32 v7, 0
	v_add_u32_e32 v6, 0x210, v66
	v_add3_u32 v7, v66, v7, 24
	s_mov_b64 s[8:9], 0
	v_mov_b32_e32 v10, v0
.LBB31_356:                             ; =>This Inner Loop Header: Depth=1
	v_add_u32_e32 v11, -8, v7
	scratch_load_dwordx4 v[110:113], v11, off
	ds_read_b128 v[114:117], v6
	v_add_u32_e32 v10, 1, v10
	v_cmp_lt_u32_e32 vcc, 12, v10
	v_add_u32_e32 v6, 16, v6
	v_add_u32_e32 v7, 16, v7
	s_or_b64 s[8:9], vcc, s[8:9]
	s_waitcnt vmcnt(0) lgkmcnt(0)
	v_mul_f64 v[12:13], v[116:117], v[112:113]
	v_mul_f64 v[112:113], v[114:115], v[112:113]
	v_fma_f64 v[12:13], v[114:115], v[110:111], -v[12:13]
	v_fmac_f64_e32 v[112:113], v[116:117], v[110:111]
	v_add_f64 v[2:3], v[2:3], v[12:13]
	v_add_f64 v[4:5], v[4:5], v[112:113]
	s_andn2_b64 exec, exec, s[8:9]
	s_cbranch_execnz .LBB31_356
; %bb.357:
	s_or_b64 exec, exec, s[8:9]
.LBB31_358:
	s_or_b64 exec, exec, s[6:7]
	v_mov_b32_e32 v6, 0
	ds_read_b128 v[10:13], v6 offset:224
	s_waitcnt lgkmcnt(0)
	v_mul_f64 v[6:7], v[4:5], v[12:13]
	v_mul_f64 v[112:113], v[2:3], v[12:13]
	v_fma_f64 v[110:111], v[2:3], v[10:11], -v[6:7]
	v_fmac_f64_e32 v[112:113], v[4:5], v[10:11]
	scratch_store_dwordx4 off, v[110:113], off offset:224
.LBB31_359:
	s_or_b64 exec, exec, s[2:3]
	scratch_load_dwordx4 v[2:5], v95, off
	v_cmp_gt_u32_e32 vcc, 15, v0
	s_waitcnt vmcnt(0)
	ds_write_b128 v9, v[2:5]
	s_waitcnt lgkmcnt(0)
	; wave barrier
	s_waitcnt lgkmcnt(0)
	s_and_saveexec_b64 s[2:3], vcc
	s_cbranch_execz .LBB31_367
; %bb.360:
	ds_read_b128 v[2:5], v9
	s_and_b64 vcc, exec, s[0:1]
	s_cbranch_vccnz .LBB31_362
; %bb.361:
	scratch_load_dwordx4 v[10:13], v8, off
	s_waitcnt vmcnt(0) lgkmcnt(0)
	v_mul_f64 v[6:7], v[4:5], v[12:13]
	v_mul_f64 v[12:13], v[2:3], v[12:13]
	v_fmac_f64_e32 v[12:13], v[4:5], v[10:11]
	v_fma_f64 v[2:3], v[2:3], v[10:11], -v[6:7]
	v_mov_b64_e32 v[4:5], v[12:13]
.LBB31_362:
	v_cmp_ne_u32_e32 vcc, 14, v0
	s_and_saveexec_b64 s[6:7], vcc
	s_cbranch_execz .LBB31_366
; %bb.363:
	v_mov_b32_e32 v7, 0
	v_add_u32_e32 v6, 0x210, v66
	v_add3_u32 v7, v66, v7, 24
	s_mov_b64 s[8:9], 0
	v_mov_b32_e32 v10, v0
.LBB31_364:                             ; =>This Inner Loop Header: Depth=1
	v_add_u32_e32 v11, -8, v7
	scratch_load_dwordx4 v[110:113], v11, off
	ds_read_b128 v[114:117], v6
	v_add_u32_e32 v10, 1, v10
	v_cmp_lt_u32_e32 vcc, 13, v10
	v_add_u32_e32 v6, 16, v6
	v_add_u32_e32 v7, 16, v7
	s_or_b64 s[8:9], vcc, s[8:9]
	s_waitcnt vmcnt(0) lgkmcnt(0)
	v_mul_f64 v[12:13], v[116:117], v[112:113]
	v_mul_f64 v[112:113], v[114:115], v[112:113]
	v_fma_f64 v[12:13], v[114:115], v[110:111], -v[12:13]
	v_fmac_f64_e32 v[112:113], v[116:117], v[110:111]
	v_add_f64 v[2:3], v[2:3], v[12:13]
	v_add_f64 v[4:5], v[4:5], v[112:113]
	s_andn2_b64 exec, exec, s[8:9]
	s_cbranch_execnz .LBB31_364
; %bb.365:
	s_or_b64 exec, exec, s[8:9]
.LBB31_366:
	s_or_b64 exec, exec, s[6:7]
	v_mov_b32_e32 v6, 0
	ds_read_b128 v[10:13], v6 offset:240
	s_waitcnt lgkmcnt(0)
	v_mul_f64 v[6:7], v[4:5], v[12:13]
	v_mul_f64 v[112:113], v[2:3], v[12:13]
	v_fma_f64 v[110:111], v[2:3], v[10:11], -v[6:7]
	v_fmac_f64_e32 v[112:113], v[4:5], v[10:11]
	scratch_store_dwordx4 off, v[110:113], off offset:240
.LBB31_367:
	s_or_b64 exec, exec, s[2:3]
	scratch_load_dwordx4 v[2:5], v92, off
	v_cmp_gt_u32_e32 vcc, 16, v0
	s_waitcnt vmcnt(0)
	ds_write_b128 v9, v[2:5]
	s_waitcnt lgkmcnt(0)
	; wave barrier
	s_waitcnt lgkmcnt(0)
	s_and_saveexec_b64 s[2:3], vcc
	s_cbranch_execz .LBB31_375
; %bb.368:
	ds_read_b128 v[2:5], v9
	s_and_b64 vcc, exec, s[0:1]
	s_cbranch_vccnz .LBB31_370
; %bb.369:
	scratch_load_dwordx4 v[10:13], v8, off
	s_waitcnt vmcnt(0) lgkmcnt(0)
	v_mul_f64 v[6:7], v[4:5], v[12:13]
	v_mul_f64 v[12:13], v[2:3], v[12:13]
	v_fmac_f64_e32 v[12:13], v[4:5], v[10:11]
	v_fma_f64 v[2:3], v[2:3], v[10:11], -v[6:7]
	v_mov_b64_e32 v[4:5], v[12:13]
.LBB31_370:
	v_cmp_ne_u32_e32 vcc, 15, v0
	s_and_saveexec_b64 s[6:7], vcc
	s_cbranch_execz .LBB31_374
; %bb.371:
	v_mov_b32_e32 v7, 0
	v_add_u32_e32 v6, 0x210, v66
	v_add3_u32 v7, v66, v7, 24
	s_mov_b64 s[8:9], 0
	v_mov_b32_e32 v10, v0
.LBB31_372:                             ; =>This Inner Loop Header: Depth=1
	v_add_u32_e32 v11, -8, v7
	scratch_load_dwordx4 v[110:113], v11, off
	ds_read_b128 v[114:117], v6
	v_add_u32_e32 v10, 1, v10
	v_cmp_lt_u32_e32 vcc, 14, v10
	v_add_u32_e32 v6, 16, v6
	v_add_u32_e32 v7, 16, v7
	s_or_b64 s[8:9], vcc, s[8:9]
	s_waitcnt vmcnt(0) lgkmcnt(0)
	v_mul_f64 v[12:13], v[116:117], v[112:113]
	v_mul_f64 v[112:113], v[114:115], v[112:113]
	v_fma_f64 v[12:13], v[114:115], v[110:111], -v[12:13]
	v_fmac_f64_e32 v[112:113], v[116:117], v[110:111]
	v_add_f64 v[2:3], v[2:3], v[12:13]
	v_add_f64 v[4:5], v[4:5], v[112:113]
	s_andn2_b64 exec, exec, s[8:9]
	s_cbranch_execnz .LBB31_372
; %bb.373:
	s_or_b64 exec, exec, s[8:9]
.LBB31_374:
	s_or_b64 exec, exec, s[6:7]
	v_mov_b32_e32 v6, 0
	ds_read_b128 v[10:13], v6 offset:256
	s_waitcnt lgkmcnt(0)
	v_mul_f64 v[6:7], v[4:5], v[12:13]
	v_mul_f64 v[112:113], v[2:3], v[12:13]
	v_fma_f64 v[110:111], v[2:3], v[10:11], -v[6:7]
	v_fmac_f64_e32 v[112:113], v[4:5], v[10:11]
	scratch_store_dwordx4 off, v[110:113], off offset:256
.LBB31_375:
	s_or_b64 exec, exec, s[2:3]
	scratch_load_dwordx4 v[2:5], v93, off
	v_cmp_gt_u32_e32 vcc, 17, v0
	s_waitcnt vmcnt(0)
	ds_write_b128 v9, v[2:5]
	s_waitcnt lgkmcnt(0)
	; wave barrier
	s_waitcnt lgkmcnt(0)
	s_and_saveexec_b64 s[2:3], vcc
	s_cbranch_execz .LBB31_383
; %bb.376:
	ds_read_b128 v[2:5], v9
	s_and_b64 vcc, exec, s[0:1]
	s_cbranch_vccnz .LBB31_378
; %bb.377:
	scratch_load_dwordx4 v[10:13], v8, off
	s_waitcnt vmcnt(0) lgkmcnt(0)
	v_mul_f64 v[6:7], v[4:5], v[12:13]
	v_mul_f64 v[12:13], v[2:3], v[12:13]
	v_fmac_f64_e32 v[12:13], v[4:5], v[10:11]
	v_fma_f64 v[2:3], v[2:3], v[10:11], -v[6:7]
	v_mov_b64_e32 v[4:5], v[12:13]
.LBB31_378:
	v_cmp_ne_u32_e32 vcc, 16, v0
	s_and_saveexec_b64 s[6:7], vcc
	s_cbranch_execz .LBB31_382
; %bb.379:
	v_mov_b32_e32 v7, 0
	v_add_u32_e32 v6, 0x210, v66
	v_add3_u32 v7, v66, v7, 24
	s_mov_b64 s[8:9], 0
	v_mov_b32_e32 v10, v0
.LBB31_380:                             ; =>This Inner Loop Header: Depth=1
	v_add_u32_e32 v11, -8, v7
	scratch_load_dwordx4 v[110:113], v11, off
	ds_read_b128 v[114:117], v6
	v_add_u32_e32 v10, 1, v10
	v_cmp_lt_u32_e32 vcc, 15, v10
	v_add_u32_e32 v6, 16, v6
	v_add_u32_e32 v7, 16, v7
	s_or_b64 s[8:9], vcc, s[8:9]
	s_waitcnt vmcnt(0) lgkmcnt(0)
	v_mul_f64 v[12:13], v[116:117], v[112:113]
	v_mul_f64 v[112:113], v[114:115], v[112:113]
	v_fma_f64 v[12:13], v[114:115], v[110:111], -v[12:13]
	v_fmac_f64_e32 v[112:113], v[116:117], v[110:111]
	v_add_f64 v[2:3], v[2:3], v[12:13]
	v_add_f64 v[4:5], v[4:5], v[112:113]
	s_andn2_b64 exec, exec, s[8:9]
	s_cbranch_execnz .LBB31_380
; %bb.381:
	s_or_b64 exec, exec, s[8:9]
.LBB31_382:
	s_or_b64 exec, exec, s[6:7]
	v_mov_b32_e32 v6, 0
	ds_read_b128 v[10:13], v6 offset:272
	s_waitcnt lgkmcnt(0)
	v_mul_f64 v[6:7], v[4:5], v[12:13]
	v_mul_f64 v[112:113], v[2:3], v[12:13]
	v_fma_f64 v[110:111], v[2:3], v[10:11], -v[6:7]
	v_fmac_f64_e32 v[112:113], v[4:5], v[10:11]
	scratch_store_dwordx4 off, v[110:113], off offset:272
.LBB31_383:
	s_or_b64 exec, exec, s[2:3]
	scratch_load_dwordx4 v[2:5], v90, off
	v_cmp_gt_u32_e32 vcc, 18, v0
	s_waitcnt vmcnt(0)
	ds_write_b128 v9, v[2:5]
	s_waitcnt lgkmcnt(0)
	; wave barrier
	s_waitcnt lgkmcnt(0)
	s_and_saveexec_b64 s[2:3], vcc
	s_cbranch_execz .LBB31_391
; %bb.384:
	ds_read_b128 v[2:5], v9
	s_and_b64 vcc, exec, s[0:1]
	s_cbranch_vccnz .LBB31_386
; %bb.385:
	scratch_load_dwordx4 v[10:13], v8, off
	s_waitcnt vmcnt(0) lgkmcnt(0)
	v_mul_f64 v[6:7], v[4:5], v[12:13]
	v_mul_f64 v[12:13], v[2:3], v[12:13]
	v_fmac_f64_e32 v[12:13], v[4:5], v[10:11]
	v_fma_f64 v[2:3], v[2:3], v[10:11], -v[6:7]
	v_mov_b64_e32 v[4:5], v[12:13]
.LBB31_386:
	v_cmp_ne_u32_e32 vcc, 17, v0
	s_and_saveexec_b64 s[6:7], vcc
	s_cbranch_execz .LBB31_390
; %bb.387:
	v_mov_b32_e32 v7, 0
	v_add_u32_e32 v6, 0x210, v66
	v_add3_u32 v7, v66, v7, 24
	s_mov_b64 s[8:9], 0
	v_mov_b32_e32 v10, v0
.LBB31_388:                             ; =>This Inner Loop Header: Depth=1
	v_add_u32_e32 v11, -8, v7
	scratch_load_dwordx4 v[110:113], v11, off
	ds_read_b128 v[114:117], v6
	v_add_u32_e32 v10, 1, v10
	v_cmp_lt_u32_e32 vcc, 16, v10
	v_add_u32_e32 v6, 16, v6
	v_add_u32_e32 v7, 16, v7
	s_or_b64 s[8:9], vcc, s[8:9]
	s_waitcnt vmcnt(0) lgkmcnt(0)
	v_mul_f64 v[12:13], v[116:117], v[112:113]
	v_mul_f64 v[112:113], v[114:115], v[112:113]
	v_fma_f64 v[12:13], v[114:115], v[110:111], -v[12:13]
	v_fmac_f64_e32 v[112:113], v[116:117], v[110:111]
	v_add_f64 v[2:3], v[2:3], v[12:13]
	v_add_f64 v[4:5], v[4:5], v[112:113]
	s_andn2_b64 exec, exec, s[8:9]
	s_cbranch_execnz .LBB31_388
; %bb.389:
	s_or_b64 exec, exec, s[8:9]
.LBB31_390:
	s_or_b64 exec, exec, s[6:7]
	v_mov_b32_e32 v6, 0
	ds_read_b128 v[10:13], v6 offset:288
	s_waitcnt lgkmcnt(0)
	v_mul_f64 v[6:7], v[4:5], v[12:13]
	v_mul_f64 v[112:113], v[2:3], v[12:13]
	v_fma_f64 v[110:111], v[2:3], v[10:11], -v[6:7]
	v_fmac_f64_e32 v[112:113], v[4:5], v[10:11]
	scratch_store_dwordx4 off, v[110:113], off offset:288
.LBB31_391:
	s_or_b64 exec, exec, s[2:3]
	scratch_load_dwordx4 v[2:5], v91, off
	v_cmp_gt_u32_e32 vcc, 19, v0
	s_waitcnt vmcnt(0)
	ds_write_b128 v9, v[2:5]
	s_waitcnt lgkmcnt(0)
	; wave barrier
	s_waitcnt lgkmcnt(0)
	s_and_saveexec_b64 s[2:3], vcc
	s_cbranch_execz .LBB31_399
; %bb.392:
	ds_read_b128 v[2:5], v9
	s_and_b64 vcc, exec, s[0:1]
	s_cbranch_vccnz .LBB31_394
; %bb.393:
	scratch_load_dwordx4 v[10:13], v8, off
	s_waitcnt vmcnt(0) lgkmcnt(0)
	v_mul_f64 v[6:7], v[4:5], v[12:13]
	v_mul_f64 v[12:13], v[2:3], v[12:13]
	v_fmac_f64_e32 v[12:13], v[4:5], v[10:11]
	v_fma_f64 v[2:3], v[2:3], v[10:11], -v[6:7]
	v_mov_b64_e32 v[4:5], v[12:13]
.LBB31_394:
	v_cmp_ne_u32_e32 vcc, 18, v0
	s_and_saveexec_b64 s[6:7], vcc
	s_cbranch_execz .LBB31_398
; %bb.395:
	v_mov_b32_e32 v7, 0
	v_add_u32_e32 v6, 0x210, v66
	v_add3_u32 v7, v66, v7, 24
	s_mov_b64 s[8:9], 0
	v_mov_b32_e32 v10, v0
.LBB31_396:                             ; =>This Inner Loop Header: Depth=1
	v_add_u32_e32 v11, -8, v7
	scratch_load_dwordx4 v[110:113], v11, off
	ds_read_b128 v[114:117], v6
	v_add_u32_e32 v10, 1, v10
	v_cmp_lt_u32_e32 vcc, 17, v10
	v_add_u32_e32 v6, 16, v6
	v_add_u32_e32 v7, 16, v7
	s_or_b64 s[8:9], vcc, s[8:9]
	s_waitcnt vmcnt(0) lgkmcnt(0)
	v_mul_f64 v[12:13], v[116:117], v[112:113]
	v_mul_f64 v[112:113], v[114:115], v[112:113]
	v_fma_f64 v[12:13], v[114:115], v[110:111], -v[12:13]
	v_fmac_f64_e32 v[112:113], v[116:117], v[110:111]
	v_add_f64 v[2:3], v[2:3], v[12:13]
	v_add_f64 v[4:5], v[4:5], v[112:113]
	s_andn2_b64 exec, exec, s[8:9]
	s_cbranch_execnz .LBB31_396
; %bb.397:
	s_or_b64 exec, exec, s[8:9]
.LBB31_398:
	s_or_b64 exec, exec, s[6:7]
	v_mov_b32_e32 v6, 0
	ds_read_b128 v[10:13], v6 offset:304
	s_waitcnt lgkmcnt(0)
	v_mul_f64 v[6:7], v[4:5], v[12:13]
	v_mul_f64 v[112:113], v[2:3], v[12:13]
	v_fma_f64 v[110:111], v[2:3], v[10:11], -v[6:7]
	v_fmac_f64_e32 v[112:113], v[4:5], v[10:11]
	scratch_store_dwordx4 off, v[110:113], off offset:304
.LBB31_399:
	s_or_b64 exec, exec, s[2:3]
	scratch_load_dwordx4 v[2:5], v88, off
	v_cmp_gt_u32_e32 vcc, 20, v0
	s_waitcnt vmcnt(0)
	ds_write_b128 v9, v[2:5]
	s_waitcnt lgkmcnt(0)
	; wave barrier
	s_waitcnt lgkmcnt(0)
	s_and_saveexec_b64 s[2:3], vcc
	s_cbranch_execz .LBB31_407
; %bb.400:
	ds_read_b128 v[2:5], v9
	s_and_b64 vcc, exec, s[0:1]
	s_cbranch_vccnz .LBB31_402
; %bb.401:
	scratch_load_dwordx4 v[10:13], v8, off
	s_waitcnt vmcnt(0) lgkmcnt(0)
	v_mul_f64 v[6:7], v[4:5], v[12:13]
	v_mul_f64 v[12:13], v[2:3], v[12:13]
	v_fmac_f64_e32 v[12:13], v[4:5], v[10:11]
	v_fma_f64 v[2:3], v[2:3], v[10:11], -v[6:7]
	v_mov_b64_e32 v[4:5], v[12:13]
.LBB31_402:
	v_cmp_ne_u32_e32 vcc, 19, v0
	s_and_saveexec_b64 s[6:7], vcc
	s_cbranch_execz .LBB31_406
; %bb.403:
	v_mov_b32_e32 v7, 0
	v_add_u32_e32 v6, 0x210, v66
	v_add3_u32 v7, v66, v7, 24
	s_mov_b64 s[8:9], 0
	v_mov_b32_e32 v10, v0
.LBB31_404:                             ; =>This Inner Loop Header: Depth=1
	v_add_u32_e32 v11, -8, v7
	scratch_load_dwordx4 v[110:113], v11, off
	ds_read_b128 v[114:117], v6
	v_add_u32_e32 v10, 1, v10
	v_cmp_lt_u32_e32 vcc, 18, v10
	v_add_u32_e32 v6, 16, v6
	v_add_u32_e32 v7, 16, v7
	s_or_b64 s[8:9], vcc, s[8:9]
	s_waitcnt vmcnt(0) lgkmcnt(0)
	v_mul_f64 v[12:13], v[116:117], v[112:113]
	v_mul_f64 v[112:113], v[114:115], v[112:113]
	v_fma_f64 v[12:13], v[114:115], v[110:111], -v[12:13]
	v_fmac_f64_e32 v[112:113], v[116:117], v[110:111]
	v_add_f64 v[2:3], v[2:3], v[12:13]
	v_add_f64 v[4:5], v[4:5], v[112:113]
	s_andn2_b64 exec, exec, s[8:9]
	s_cbranch_execnz .LBB31_404
; %bb.405:
	s_or_b64 exec, exec, s[8:9]
.LBB31_406:
	s_or_b64 exec, exec, s[6:7]
	v_mov_b32_e32 v6, 0
	ds_read_b128 v[10:13], v6 offset:320
	s_waitcnt lgkmcnt(0)
	v_mul_f64 v[6:7], v[4:5], v[12:13]
	v_mul_f64 v[112:113], v[2:3], v[12:13]
	v_fma_f64 v[110:111], v[2:3], v[10:11], -v[6:7]
	v_fmac_f64_e32 v[112:113], v[4:5], v[10:11]
	scratch_store_dwordx4 off, v[110:113], off offset:320
.LBB31_407:
	s_or_b64 exec, exec, s[2:3]
	scratch_load_dwordx4 v[2:5], v89, off
	v_cmp_gt_u32_e32 vcc, 21, v0
	s_waitcnt vmcnt(0)
	ds_write_b128 v9, v[2:5]
	s_waitcnt lgkmcnt(0)
	; wave barrier
	s_waitcnt lgkmcnt(0)
	s_and_saveexec_b64 s[2:3], vcc
	s_cbranch_execz .LBB31_415
; %bb.408:
	ds_read_b128 v[2:5], v9
	s_and_b64 vcc, exec, s[0:1]
	s_cbranch_vccnz .LBB31_410
; %bb.409:
	scratch_load_dwordx4 v[10:13], v8, off
	s_waitcnt vmcnt(0) lgkmcnt(0)
	v_mul_f64 v[6:7], v[4:5], v[12:13]
	v_mul_f64 v[12:13], v[2:3], v[12:13]
	v_fmac_f64_e32 v[12:13], v[4:5], v[10:11]
	v_fma_f64 v[2:3], v[2:3], v[10:11], -v[6:7]
	v_mov_b64_e32 v[4:5], v[12:13]
.LBB31_410:
	v_cmp_ne_u32_e32 vcc, 20, v0
	s_and_saveexec_b64 s[6:7], vcc
	s_cbranch_execz .LBB31_414
; %bb.411:
	v_mov_b32_e32 v7, 0
	v_add_u32_e32 v6, 0x210, v66
	v_add3_u32 v7, v66, v7, 24
	s_mov_b64 s[8:9], 0
	v_mov_b32_e32 v10, v0
.LBB31_412:                             ; =>This Inner Loop Header: Depth=1
	v_add_u32_e32 v11, -8, v7
	scratch_load_dwordx4 v[110:113], v11, off
	ds_read_b128 v[114:117], v6
	v_add_u32_e32 v10, 1, v10
	v_cmp_lt_u32_e32 vcc, 19, v10
	v_add_u32_e32 v6, 16, v6
	v_add_u32_e32 v7, 16, v7
	s_or_b64 s[8:9], vcc, s[8:9]
	s_waitcnt vmcnt(0) lgkmcnt(0)
	v_mul_f64 v[12:13], v[116:117], v[112:113]
	v_mul_f64 v[112:113], v[114:115], v[112:113]
	v_fma_f64 v[12:13], v[114:115], v[110:111], -v[12:13]
	v_fmac_f64_e32 v[112:113], v[116:117], v[110:111]
	v_add_f64 v[2:3], v[2:3], v[12:13]
	v_add_f64 v[4:5], v[4:5], v[112:113]
	s_andn2_b64 exec, exec, s[8:9]
	s_cbranch_execnz .LBB31_412
; %bb.413:
	s_or_b64 exec, exec, s[8:9]
.LBB31_414:
	s_or_b64 exec, exec, s[6:7]
	v_mov_b32_e32 v6, 0
	ds_read_b128 v[10:13], v6 offset:336
	s_waitcnt lgkmcnt(0)
	v_mul_f64 v[6:7], v[4:5], v[12:13]
	v_mul_f64 v[112:113], v[2:3], v[12:13]
	v_fma_f64 v[110:111], v[2:3], v[10:11], -v[6:7]
	v_fmac_f64_e32 v[112:113], v[4:5], v[10:11]
	scratch_store_dwordx4 off, v[110:113], off offset:336
.LBB31_415:
	s_or_b64 exec, exec, s[2:3]
	scratch_load_dwordx4 v[2:5], v87, off
	v_cmp_gt_u32_e32 vcc, 22, v0
	s_waitcnt vmcnt(0)
	ds_write_b128 v9, v[2:5]
	s_waitcnt lgkmcnt(0)
	; wave barrier
	s_waitcnt lgkmcnt(0)
	s_and_saveexec_b64 s[2:3], vcc
	s_cbranch_execz .LBB31_423
; %bb.416:
	ds_read_b128 v[2:5], v9
	s_and_b64 vcc, exec, s[0:1]
	s_cbranch_vccnz .LBB31_418
; %bb.417:
	scratch_load_dwordx4 v[10:13], v8, off
	s_waitcnt vmcnt(0) lgkmcnt(0)
	v_mul_f64 v[6:7], v[4:5], v[12:13]
	v_mul_f64 v[12:13], v[2:3], v[12:13]
	v_fmac_f64_e32 v[12:13], v[4:5], v[10:11]
	v_fma_f64 v[2:3], v[2:3], v[10:11], -v[6:7]
	v_mov_b64_e32 v[4:5], v[12:13]
.LBB31_418:
	v_cmp_ne_u32_e32 vcc, 21, v0
	s_and_saveexec_b64 s[6:7], vcc
	s_cbranch_execz .LBB31_422
; %bb.419:
	v_mov_b32_e32 v7, 0
	v_add_u32_e32 v6, 0x210, v66
	v_add3_u32 v7, v66, v7, 24
	s_mov_b64 s[8:9], 0
	v_mov_b32_e32 v10, v0
.LBB31_420:                             ; =>This Inner Loop Header: Depth=1
	v_add_u32_e32 v11, -8, v7
	scratch_load_dwordx4 v[110:113], v11, off
	ds_read_b128 v[114:117], v6
	v_add_u32_e32 v10, 1, v10
	v_cmp_lt_u32_e32 vcc, 20, v10
	v_add_u32_e32 v6, 16, v6
	v_add_u32_e32 v7, 16, v7
	s_or_b64 s[8:9], vcc, s[8:9]
	s_waitcnt vmcnt(0) lgkmcnt(0)
	v_mul_f64 v[12:13], v[116:117], v[112:113]
	v_mul_f64 v[112:113], v[114:115], v[112:113]
	v_fma_f64 v[12:13], v[114:115], v[110:111], -v[12:13]
	v_fmac_f64_e32 v[112:113], v[116:117], v[110:111]
	v_add_f64 v[2:3], v[2:3], v[12:13]
	v_add_f64 v[4:5], v[4:5], v[112:113]
	s_andn2_b64 exec, exec, s[8:9]
	s_cbranch_execnz .LBB31_420
; %bb.421:
	s_or_b64 exec, exec, s[8:9]
.LBB31_422:
	s_or_b64 exec, exec, s[6:7]
	v_mov_b32_e32 v6, 0
	ds_read_b128 v[10:13], v6 offset:352
	s_waitcnt lgkmcnt(0)
	v_mul_f64 v[6:7], v[4:5], v[12:13]
	v_mul_f64 v[112:113], v[2:3], v[12:13]
	v_fma_f64 v[110:111], v[2:3], v[10:11], -v[6:7]
	v_fmac_f64_e32 v[112:113], v[4:5], v[10:11]
	scratch_store_dwordx4 off, v[110:113], off offset:352
.LBB31_423:
	s_or_b64 exec, exec, s[2:3]
	scratch_load_dwordx4 v[2:5], v86, off
	v_cmp_gt_u32_e32 vcc, 23, v0
	s_waitcnt vmcnt(0)
	ds_write_b128 v9, v[2:5]
	s_waitcnt lgkmcnt(0)
	; wave barrier
	s_waitcnt lgkmcnt(0)
	s_and_saveexec_b64 s[2:3], vcc
	s_cbranch_execz .LBB31_431
; %bb.424:
	ds_read_b128 v[2:5], v9
	s_and_b64 vcc, exec, s[0:1]
	s_cbranch_vccnz .LBB31_426
; %bb.425:
	scratch_load_dwordx4 v[10:13], v8, off
	s_waitcnt vmcnt(0) lgkmcnt(0)
	v_mul_f64 v[6:7], v[4:5], v[12:13]
	v_mul_f64 v[12:13], v[2:3], v[12:13]
	v_fmac_f64_e32 v[12:13], v[4:5], v[10:11]
	v_fma_f64 v[2:3], v[2:3], v[10:11], -v[6:7]
	v_mov_b64_e32 v[4:5], v[12:13]
.LBB31_426:
	v_cmp_ne_u32_e32 vcc, 22, v0
	s_and_saveexec_b64 s[6:7], vcc
	s_cbranch_execz .LBB31_430
; %bb.427:
	v_mov_b32_e32 v7, 0
	v_add_u32_e32 v6, 0x210, v66
	v_add3_u32 v7, v66, v7, 24
	s_mov_b64 s[8:9], 0
	v_mov_b32_e32 v10, v0
.LBB31_428:                             ; =>This Inner Loop Header: Depth=1
	v_add_u32_e32 v11, -8, v7
	scratch_load_dwordx4 v[110:113], v11, off
	ds_read_b128 v[114:117], v6
	v_add_u32_e32 v10, 1, v10
	v_cmp_lt_u32_e32 vcc, 21, v10
	v_add_u32_e32 v6, 16, v6
	v_add_u32_e32 v7, 16, v7
	s_or_b64 s[8:9], vcc, s[8:9]
	s_waitcnt vmcnt(0) lgkmcnt(0)
	v_mul_f64 v[12:13], v[116:117], v[112:113]
	v_mul_f64 v[112:113], v[114:115], v[112:113]
	v_fma_f64 v[12:13], v[114:115], v[110:111], -v[12:13]
	v_fmac_f64_e32 v[112:113], v[116:117], v[110:111]
	v_add_f64 v[2:3], v[2:3], v[12:13]
	v_add_f64 v[4:5], v[4:5], v[112:113]
	s_andn2_b64 exec, exec, s[8:9]
	s_cbranch_execnz .LBB31_428
; %bb.429:
	s_or_b64 exec, exec, s[8:9]
.LBB31_430:
	s_or_b64 exec, exec, s[6:7]
	v_mov_b32_e32 v6, 0
	ds_read_b128 v[10:13], v6 offset:368
	s_waitcnt lgkmcnt(0)
	v_mul_f64 v[6:7], v[4:5], v[12:13]
	v_mul_f64 v[112:113], v[2:3], v[12:13]
	v_fma_f64 v[110:111], v[2:3], v[10:11], -v[6:7]
	v_fmac_f64_e32 v[112:113], v[4:5], v[10:11]
	scratch_store_dwordx4 off, v[110:113], off offset:368
.LBB31_431:
	s_or_b64 exec, exec, s[2:3]
	scratch_load_dwordx4 v[2:5], v85, off
	v_cmp_gt_u32_e32 vcc, 24, v0
	s_waitcnt vmcnt(0)
	ds_write_b128 v9, v[2:5]
	s_waitcnt lgkmcnt(0)
	; wave barrier
	s_waitcnt lgkmcnt(0)
	s_and_saveexec_b64 s[2:3], vcc
	s_cbranch_execz .LBB31_439
; %bb.432:
	ds_read_b128 v[2:5], v9
	s_and_b64 vcc, exec, s[0:1]
	s_cbranch_vccnz .LBB31_434
; %bb.433:
	scratch_load_dwordx4 v[10:13], v8, off
	s_waitcnt vmcnt(0) lgkmcnt(0)
	v_mul_f64 v[6:7], v[4:5], v[12:13]
	v_mul_f64 v[12:13], v[2:3], v[12:13]
	v_fmac_f64_e32 v[12:13], v[4:5], v[10:11]
	v_fma_f64 v[2:3], v[2:3], v[10:11], -v[6:7]
	v_mov_b64_e32 v[4:5], v[12:13]
.LBB31_434:
	v_cmp_ne_u32_e32 vcc, 23, v0
	s_and_saveexec_b64 s[6:7], vcc
	s_cbranch_execz .LBB31_438
; %bb.435:
	v_mov_b32_e32 v7, 0
	v_add_u32_e32 v6, 0x210, v66
	v_add3_u32 v7, v66, v7, 24
	s_mov_b64 s[8:9], 0
	v_mov_b32_e32 v10, v0
.LBB31_436:                             ; =>This Inner Loop Header: Depth=1
	v_add_u32_e32 v11, -8, v7
	scratch_load_dwordx4 v[110:113], v11, off
	ds_read_b128 v[114:117], v6
	v_add_u32_e32 v10, 1, v10
	v_cmp_lt_u32_e32 vcc, 22, v10
	v_add_u32_e32 v6, 16, v6
	v_add_u32_e32 v7, 16, v7
	s_or_b64 s[8:9], vcc, s[8:9]
	s_waitcnt vmcnt(0) lgkmcnt(0)
	v_mul_f64 v[12:13], v[116:117], v[112:113]
	v_mul_f64 v[112:113], v[114:115], v[112:113]
	v_fma_f64 v[12:13], v[114:115], v[110:111], -v[12:13]
	v_fmac_f64_e32 v[112:113], v[116:117], v[110:111]
	v_add_f64 v[2:3], v[2:3], v[12:13]
	v_add_f64 v[4:5], v[4:5], v[112:113]
	s_andn2_b64 exec, exec, s[8:9]
	s_cbranch_execnz .LBB31_436
; %bb.437:
	s_or_b64 exec, exec, s[8:9]
.LBB31_438:
	s_or_b64 exec, exec, s[6:7]
	v_mov_b32_e32 v6, 0
	ds_read_b128 v[10:13], v6 offset:384
	s_waitcnt lgkmcnt(0)
	v_mul_f64 v[6:7], v[4:5], v[12:13]
	v_mul_f64 v[112:113], v[2:3], v[12:13]
	v_fma_f64 v[110:111], v[2:3], v[10:11], -v[6:7]
	v_fmac_f64_e32 v[112:113], v[4:5], v[10:11]
	scratch_store_dwordx4 off, v[110:113], off offset:384
.LBB31_439:
	s_or_b64 exec, exec, s[2:3]
	scratch_load_dwordx4 v[2:5], v84, off
	v_cmp_gt_u32_e32 vcc, 25, v0
	s_waitcnt vmcnt(0)
	ds_write_b128 v9, v[2:5]
	s_waitcnt lgkmcnt(0)
	; wave barrier
	s_waitcnt lgkmcnt(0)
	s_and_saveexec_b64 s[2:3], vcc
	s_cbranch_execz .LBB31_447
; %bb.440:
	ds_read_b128 v[2:5], v9
	s_and_b64 vcc, exec, s[0:1]
	s_cbranch_vccnz .LBB31_442
; %bb.441:
	scratch_load_dwordx4 v[10:13], v8, off
	s_waitcnt vmcnt(0) lgkmcnt(0)
	v_mul_f64 v[6:7], v[4:5], v[12:13]
	v_mul_f64 v[12:13], v[2:3], v[12:13]
	v_fmac_f64_e32 v[12:13], v[4:5], v[10:11]
	v_fma_f64 v[2:3], v[2:3], v[10:11], -v[6:7]
	v_mov_b64_e32 v[4:5], v[12:13]
.LBB31_442:
	v_cmp_ne_u32_e32 vcc, 24, v0
	s_and_saveexec_b64 s[6:7], vcc
	s_cbranch_execz .LBB31_446
; %bb.443:
	v_mov_b32_e32 v7, 0
	v_add_u32_e32 v6, 0x210, v66
	v_add3_u32 v7, v66, v7, 24
	s_mov_b64 s[8:9], 0
	v_mov_b32_e32 v10, v0
.LBB31_444:                             ; =>This Inner Loop Header: Depth=1
	v_add_u32_e32 v11, -8, v7
	scratch_load_dwordx4 v[110:113], v11, off
	ds_read_b128 v[114:117], v6
	v_add_u32_e32 v10, 1, v10
	v_cmp_lt_u32_e32 vcc, 23, v10
	v_add_u32_e32 v6, 16, v6
	v_add_u32_e32 v7, 16, v7
	s_or_b64 s[8:9], vcc, s[8:9]
	s_waitcnt vmcnt(0) lgkmcnt(0)
	v_mul_f64 v[12:13], v[116:117], v[112:113]
	v_mul_f64 v[112:113], v[114:115], v[112:113]
	v_fma_f64 v[12:13], v[114:115], v[110:111], -v[12:13]
	v_fmac_f64_e32 v[112:113], v[116:117], v[110:111]
	v_add_f64 v[2:3], v[2:3], v[12:13]
	v_add_f64 v[4:5], v[4:5], v[112:113]
	s_andn2_b64 exec, exec, s[8:9]
	s_cbranch_execnz .LBB31_444
; %bb.445:
	s_or_b64 exec, exec, s[8:9]
.LBB31_446:
	s_or_b64 exec, exec, s[6:7]
	v_mov_b32_e32 v6, 0
	ds_read_b128 v[10:13], v6 offset:400
	s_waitcnt lgkmcnt(0)
	v_mul_f64 v[6:7], v[4:5], v[12:13]
	v_mul_f64 v[112:113], v[2:3], v[12:13]
	v_fma_f64 v[110:111], v[2:3], v[10:11], -v[6:7]
	v_fmac_f64_e32 v[112:113], v[4:5], v[10:11]
	scratch_store_dwordx4 off, v[110:113], off offset:400
.LBB31_447:
	s_or_b64 exec, exec, s[2:3]
	scratch_load_dwordx4 v[2:5], v82, off
	v_cmp_gt_u32_e32 vcc, 26, v0
	s_waitcnt vmcnt(0)
	ds_write_b128 v9, v[2:5]
	s_waitcnt lgkmcnt(0)
	; wave barrier
	s_waitcnt lgkmcnt(0)
	s_and_saveexec_b64 s[2:3], vcc
	s_cbranch_execz .LBB31_455
; %bb.448:
	ds_read_b128 v[2:5], v9
	s_and_b64 vcc, exec, s[0:1]
	s_cbranch_vccnz .LBB31_450
; %bb.449:
	scratch_load_dwordx4 v[10:13], v8, off
	s_waitcnt vmcnt(0) lgkmcnt(0)
	v_mul_f64 v[6:7], v[4:5], v[12:13]
	v_mul_f64 v[12:13], v[2:3], v[12:13]
	v_fmac_f64_e32 v[12:13], v[4:5], v[10:11]
	v_fma_f64 v[2:3], v[2:3], v[10:11], -v[6:7]
	v_mov_b64_e32 v[4:5], v[12:13]
.LBB31_450:
	v_cmp_ne_u32_e32 vcc, 25, v0
	s_and_saveexec_b64 s[6:7], vcc
	s_cbranch_execz .LBB31_454
; %bb.451:
	v_mov_b32_e32 v7, 0
	v_add_u32_e32 v6, 0x210, v66
	v_add3_u32 v7, v66, v7, 24
	s_mov_b64 s[8:9], 0
	v_mov_b32_e32 v10, v0
.LBB31_452:                             ; =>This Inner Loop Header: Depth=1
	v_add_u32_e32 v11, -8, v7
	scratch_load_dwordx4 v[110:113], v11, off
	ds_read_b128 v[114:117], v6
	v_add_u32_e32 v10, 1, v10
	v_cmp_lt_u32_e32 vcc, 24, v10
	v_add_u32_e32 v6, 16, v6
	v_add_u32_e32 v7, 16, v7
	s_or_b64 s[8:9], vcc, s[8:9]
	s_waitcnt vmcnt(0) lgkmcnt(0)
	v_mul_f64 v[12:13], v[116:117], v[112:113]
	v_mul_f64 v[112:113], v[114:115], v[112:113]
	v_fma_f64 v[12:13], v[114:115], v[110:111], -v[12:13]
	v_fmac_f64_e32 v[112:113], v[116:117], v[110:111]
	v_add_f64 v[2:3], v[2:3], v[12:13]
	v_add_f64 v[4:5], v[4:5], v[112:113]
	s_andn2_b64 exec, exec, s[8:9]
	s_cbranch_execnz .LBB31_452
; %bb.453:
	s_or_b64 exec, exec, s[8:9]
.LBB31_454:
	s_or_b64 exec, exec, s[6:7]
	v_mov_b32_e32 v6, 0
	ds_read_b128 v[10:13], v6 offset:416
	s_waitcnt lgkmcnt(0)
	v_mul_f64 v[6:7], v[4:5], v[12:13]
	v_mul_f64 v[112:113], v[2:3], v[12:13]
	v_fma_f64 v[110:111], v[2:3], v[10:11], -v[6:7]
	v_fmac_f64_e32 v[112:113], v[4:5], v[10:11]
	scratch_store_dwordx4 off, v[110:113], off offset:416
.LBB31_455:
	s_or_b64 exec, exec, s[2:3]
	scratch_load_dwordx4 v[2:5], v83, off
	v_cmp_gt_u32_e32 vcc, 27, v0
	s_waitcnt vmcnt(0)
	ds_write_b128 v9, v[2:5]
	s_waitcnt lgkmcnt(0)
	; wave barrier
	s_waitcnt lgkmcnt(0)
	s_and_saveexec_b64 s[2:3], vcc
	s_cbranch_execz .LBB31_463
; %bb.456:
	ds_read_b128 v[2:5], v9
	s_and_b64 vcc, exec, s[0:1]
	s_cbranch_vccnz .LBB31_458
; %bb.457:
	scratch_load_dwordx4 v[10:13], v8, off
	s_waitcnt vmcnt(0) lgkmcnt(0)
	v_mul_f64 v[6:7], v[4:5], v[12:13]
	v_mul_f64 v[12:13], v[2:3], v[12:13]
	v_fmac_f64_e32 v[12:13], v[4:5], v[10:11]
	v_fma_f64 v[2:3], v[2:3], v[10:11], -v[6:7]
	v_mov_b64_e32 v[4:5], v[12:13]
.LBB31_458:
	v_cmp_ne_u32_e32 vcc, 26, v0
	s_and_saveexec_b64 s[6:7], vcc
	s_cbranch_execz .LBB31_462
; %bb.459:
	v_mov_b32_e32 v7, 0
	v_add_u32_e32 v6, 0x210, v66
	v_add3_u32 v7, v66, v7, 24
	s_mov_b64 s[8:9], 0
	v_mov_b32_e32 v10, v0
.LBB31_460:                             ; =>This Inner Loop Header: Depth=1
	v_add_u32_e32 v11, -8, v7
	scratch_load_dwordx4 v[110:113], v11, off
	ds_read_b128 v[114:117], v6
	v_add_u32_e32 v10, 1, v10
	v_cmp_lt_u32_e32 vcc, 25, v10
	v_add_u32_e32 v6, 16, v6
	v_add_u32_e32 v7, 16, v7
	s_or_b64 s[8:9], vcc, s[8:9]
	s_waitcnt vmcnt(0) lgkmcnt(0)
	v_mul_f64 v[12:13], v[116:117], v[112:113]
	v_mul_f64 v[112:113], v[114:115], v[112:113]
	v_fma_f64 v[12:13], v[114:115], v[110:111], -v[12:13]
	v_fmac_f64_e32 v[112:113], v[116:117], v[110:111]
	v_add_f64 v[2:3], v[2:3], v[12:13]
	v_add_f64 v[4:5], v[4:5], v[112:113]
	s_andn2_b64 exec, exec, s[8:9]
	s_cbranch_execnz .LBB31_460
; %bb.461:
	s_or_b64 exec, exec, s[8:9]
.LBB31_462:
	s_or_b64 exec, exec, s[6:7]
	v_mov_b32_e32 v6, 0
	ds_read_b128 v[10:13], v6 offset:432
	s_waitcnt lgkmcnt(0)
	v_mul_f64 v[6:7], v[4:5], v[12:13]
	v_mul_f64 v[112:113], v[2:3], v[12:13]
	v_fma_f64 v[110:111], v[2:3], v[10:11], -v[6:7]
	v_fmac_f64_e32 v[112:113], v[4:5], v[10:11]
	scratch_store_dwordx4 off, v[110:113], off offset:432
.LBB31_463:
	s_or_b64 exec, exec, s[2:3]
	scratch_load_dwordx4 v[2:5], v80, off
	v_cmp_gt_u32_e32 vcc, 28, v0
	s_waitcnt vmcnt(0)
	ds_write_b128 v9, v[2:5]
	s_waitcnt lgkmcnt(0)
	; wave barrier
	s_waitcnt lgkmcnt(0)
	s_and_saveexec_b64 s[2:3], vcc
	s_cbranch_execz .LBB31_471
; %bb.464:
	ds_read_b128 v[2:5], v9
	s_and_b64 vcc, exec, s[0:1]
	s_cbranch_vccnz .LBB31_466
; %bb.465:
	scratch_load_dwordx4 v[10:13], v8, off
	s_waitcnt vmcnt(0) lgkmcnt(0)
	v_mul_f64 v[6:7], v[4:5], v[12:13]
	v_mul_f64 v[12:13], v[2:3], v[12:13]
	v_fmac_f64_e32 v[12:13], v[4:5], v[10:11]
	v_fma_f64 v[2:3], v[2:3], v[10:11], -v[6:7]
	v_mov_b64_e32 v[4:5], v[12:13]
.LBB31_466:
	v_cmp_ne_u32_e32 vcc, 27, v0
	s_and_saveexec_b64 s[6:7], vcc
	s_cbranch_execz .LBB31_470
; %bb.467:
	v_mov_b32_e32 v7, 0
	v_add_u32_e32 v6, 0x210, v66
	v_add3_u32 v7, v66, v7, 24
	s_mov_b64 s[8:9], 0
	v_mov_b32_e32 v10, v0
.LBB31_468:                             ; =>This Inner Loop Header: Depth=1
	v_add_u32_e32 v11, -8, v7
	scratch_load_dwordx4 v[110:113], v11, off
	ds_read_b128 v[114:117], v6
	v_add_u32_e32 v10, 1, v10
	v_cmp_lt_u32_e32 vcc, 26, v10
	v_add_u32_e32 v6, 16, v6
	v_add_u32_e32 v7, 16, v7
	s_or_b64 s[8:9], vcc, s[8:9]
	s_waitcnt vmcnt(0) lgkmcnt(0)
	v_mul_f64 v[12:13], v[116:117], v[112:113]
	v_mul_f64 v[112:113], v[114:115], v[112:113]
	v_fma_f64 v[12:13], v[114:115], v[110:111], -v[12:13]
	v_fmac_f64_e32 v[112:113], v[116:117], v[110:111]
	v_add_f64 v[2:3], v[2:3], v[12:13]
	v_add_f64 v[4:5], v[4:5], v[112:113]
	s_andn2_b64 exec, exec, s[8:9]
	s_cbranch_execnz .LBB31_468
; %bb.469:
	s_or_b64 exec, exec, s[8:9]
.LBB31_470:
	s_or_b64 exec, exec, s[6:7]
	v_mov_b32_e32 v6, 0
	ds_read_b128 v[10:13], v6 offset:448
	s_waitcnt lgkmcnt(0)
	v_mul_f64 v[6:7], v[4:5], v[12:13]
	v_mul_f64 v[112:113], v[2:3], v[12:13]
	v_fma_f64 v[110:111], v[2:3], v[10:11], -v[6:7]
	v_fmac_f64_e32 v[112:113], v[4:5], v[10:11]
	scratch_store_dwordx4 off, v[110:113], off offset:448
.LBB31_471:
	s_or_b64 exec, exec, s[2:3]
	scratch_load_dwordx4 v[2:5], v81, off
	v_cmp_gt_u32_e32 vcc, 29, v0
	s_waitcnt vmcnt(0)
	ds_write_b128 v9, v[2:5]
	s_waitcnt lgkmcnt(0)
	; wave barrier
	s_waitcnt lgkmcnt(0)
	s_and_saveexec_b64 s[2:3], vcc
	s_cbranch_execz .LBB31_479
; %bb.472:
	ds_read_b128 v[2:5], v9
	s_and_b64 vcc, exec, s[0:1]
	s_cbranch_vccnz .LBB31_474
; %bb.473:
	scratch_load_dwordx4 v[10:13], v8, off
	s_waitcnt vmcnt(0) lgkmcnt(0)
	v_mul_f64 v[6:7], v[4:5], v[12:13]
	v_mul_f64 v[12:13], v[2:3], v[12:13]
	v_fmac_f64_e32 v[12:13], v[4:5], v[10:11]
	v_fma_f64 v[2:3], v[2:3], v[10:11], -v[6:7]
	v_mov_b64_e32 v[4:5], v[12:13]
.LBB31_474:
	v_cmp_ne_u32_e32 vcc, 28, v0
	s_and_saveexec_b64 s[6:7], vcc
	s_cbranch_execz .LBB31_478
; %bb.475:
	v_mov_b32_e32 v7, 0
	v_add_u32_e32 v6, 0x210, v66
	v_add3_u32 v7, v66, v7, 24
	s_mov_b64 s[8:9], 0
	v_mov_b32_e32 v10, v0
.LBB31_476:                             ; =>This Inner Loop Header: Depth=1
	v_add_u32_e32 v11, -8, v7
	scratch_load_dwordx4 v[110:113], v11, off
	ds_read_b128 v[114:117], v6
	v_add_u32_e32 v10, 1, v10
	v_cmp_lt_u32_e32 vcc, 27, v10
	v_add_u32_e32 v6, 16, v6
	v_add_u32_e32 v7, 16, v7
	s_or_b64 s[8:9], vcc, s[8:9]
	s_waitcnt vmcnt(0) lgkmcnt(0)
	v_mul_f64 v[12:13], v[116:117], v[112:113]
	v_mul_f64 v[112:113], v[114:115], v[112:113]
	v_fma_f64 v[12:13], v[114:115], v[110:111], -v[12:13]
	v_fmac_f64_e32 v[112:113], v[116:117], v[110:111]
	v_add_f64 v[2:3], v[2:3], v[12:13]
	v_add_f64 v[4:5], v[4:5], v[112:113]
	s_andn2_b64 exec, exec, s[8:9]
	s_cbranch_execnz .LBB31_476
; %bb.477:
	s_or_b64 exec, exec, s[8:9]
.LBB31_478:
	s_or_b64 exec, exec, s[6:7]
	v_mov_b32_e32 v6, 0
	ds_read_b128 v[10:13], v6 offset:464
	s_waitcnt lgkmcnt(0)
	v_mul_f64 v[6:7], v[4:5], v[12:13]
	v_mul_f64 v[112:113], v[2:3], v[12:13]
	v_fma_f64 v[110:111], v[2:3], v[10:11], -v[6:7]
	v_fmac_f64_e32 v[112:113], v[4:5], v[10:11]
	scratch_store_dwordx4 off, v[110:113], off offset:464
.LBB31_479:
	s_or_b64 exec, exec, s[2:3]
	scratch_load_dwordx4 v[2:5], v1, off
	v_cmp_gt_u32_e64 s[2:3], 30, v0
	s_waitcnt vmcnt(0)
	ds_write_b128 v9, v[2:5]
	s_waitcnt lgkmcnt(0)
	; wave barrier
	s_waitcnt lgkmcnt(0)
	s_and_saveexec_b64 s[6:7], s[2:3]
	s_cbranch_execz .LBB31_487
; %bb.480:
	ds_read_b128 v[2:5], v9
	s_and_b64 vcc, exec, s[0:1]
	s_cbranch_vccnz .LBB31_482
; %bb.481:
	scratch_load_dwordx4 v[10:13], v8, off
	s_waitcnt vmcnt(0) lgkmcnt(0)
	v_mul_f64 v[6:7], v[4:5], v[12:13]
	v_mul_f64 v[12:13], v[2:3], v[12:13]
	v_fmac_f64_e32 v[12:13], v[4:5], v[10:11]
	v_fma_f64 v[2:3], v[2:3], v[10:11], -v[6:7]
	v_mov_b64_e32 v[4:5], v[12:13]
.LBB31_482:
	v_cmp_ne_u32_e32 vcc, 29, v0
	s_and_saveexec_b64 s[8:9], vcc
	s_cbranch_execz .LBB31_486
; %bb.483:
	v_mov_b32_e32 v7, 0
	v_add_u32_e32 v6, 0x210, v66
	v_add3_u32 v7, v66, v7, 24
	s_mov_b64 s[10:11], 0
	v_mov_b32_e32 v10, v0
.LBB31_484:                             ; =>This Inner Loop Header: Depth=1
	v_add_u32_e32 v11, -8, v7
	scratch_load_dwordx4 v[110:113], v11, off
	ds_read_b128 v[114:117], v6
	v_add_u32_e32 v10, 1, v10
	v_cmp_lt_u32_e32 vcc, 28, v10
	v_add_u32_e32 v6, 16, v6
	v_add_u32_e32 v7, 16, v7
	s_or_b64 s[10:11], vcc, s[10:11]
	s_waitcnt vmcnt(0) lgkmcnt(0)
	v_mul_f64 v[12:13], v[116:117], v[112:113]
	v_mul_f64 v[112:113], v[114:115], v[112:113]
	v_fma_f64 v[12:13], v[114:115], v[110:111], -v[12:13]
	v_fmac_f64_e32 v[112:113], v[116:117], v[110:111]
	v_add_f64 v[2:3], v[2:3], v[12:13]
	v_add_f64 v[4:5], v[4:5], v[112:113]
	s_andn2_b64 exec, exec, s[10:11]
	s_cbranch_execnz .LBB31_484
; %bb.485:
	s_or_b64 exec, exec, s[10:11]
.LBB31_486:
	s_or_b64 exec, exec, s[8:9]
	v_mov_b32_e32 v6, 0
	ds_read_b128 v[10:13], v6 offset:480
	s_waitcnt lgkmcnt(0)
	v_mul_f64 v[6:7], v[4:5], v[12:13]
	v_mul_f64 v[112:113], v[2:3], v[12:13]
	v_fma_f64 v[110:111], v[2:3], v[10:11], -v[6:7]
	v_fmac_f64_e32 v[112:113], v[4:5], v[10:11]
	scratch_store_dwordx4 off, v[110:113], off offset:480
.LBB31_487:
	s_or_b64 exec, exec, s[6:7]
	scratch_load_dwordx4 v[2:5], v67, off
	v_cmp_ne_u32_e32 vcc, 31, v0
                                        ; implicit-def: $vgpr6_vgpr7
                                        ; implicit-def: $vgpr10
	s_waitcnt vmcnt(0)
	ds_write_b128 v9, v[2:5]
	s_waitcnt lgkmcnt(0)
	; wave barrier
	s_waitcnt lgkmcnt(0)
	s_and_saveexec_b64 s[6:7], vcc
	s_cbranch_execz .LBB31_495
; %bb.488:
	ds_read_b128 v[2:5], v9
	s_and_b64 vcc, exec, s[0:1]
	s_cbranch_vccnz .LBB31_490
; %bb.489:
	scratch_load_dwordx4 v[6:9], v8, off
	s_waitcnt vmcnt(0) lgkmcnt(0)
	v_mul_f64 v[10:11], v[4:5], v[8:9]
	v_mul_f64 v[8:9], v[2:3], v[8:9]
	v_fmac_f64_e32 v[8:9], v[4:5], v[6:7]
	v_fma_f64 v[2:3], v[2:3], v[6:7], -v[10:11]
	v_mov_b64_e32 v[4:5], v[8:9]
.LBB31_490:
	s_and_saveexec_b64 s[0:1], s[2:3]
	s_cbranch_execz .LBB31_494
; %bb.491:
	v_mov_b32_e32 v7, 0
	v_add_u32_e32 v6, 0x210, v66
	v_add3_u32 v7, v66, v7, 24
	s_mov_b64 s[2:3], 0
.LBB31_492:                             ; =>This Inner Loop Header: Depth=1
	v_add_u32_e32 v8, -8, v7
	scratch_load_dwordx4 v[8:11], v8, off
	ds_read_b128 v[110:113], v6
	v_add_u32_e32 v0, 1, v0
	v_cmp_lt_u32_e32 vcc, 29, v0
	v_add_u32_e32 v6, 16, v6
	v_add_u32_e32 v7, 16, v7
	s_or_b64 s[2:3], vcc, s[2:3]
	s_waitcnt vmcnt(0) lgkmcnt(0)
	v_mul_f64 v[12:13], v[112:113], v[10:11]
	v_mul_f64 v[10:11], v[110:111], v[10:11]
	v_fma_f64 v[12:13], v[110:111], v[8:9], -v[12:13]
	v_fmac_f64_e32 v[10:11], v[112:113], v[8:9]
	v_add_f64 v[2:3], v[2:3], v[12:13]
	v_add_f64 v[4:5], v[4:5], v[10:11]
	s_andn2_b64 exec, exec, s[2:3]
	s_cbranch_execnz .LBB31_492
; %bb.493:
	s_or_b64 exec, exec, s[2:3]
.LBB31_494:
	s_or_b64 exec, exec, s[0:1]
	v_mov_b32_e32 v0, 0
	ds_read_b128 v[110:113], v0 offset:496
	v_mov_b32_e32 v0, 0
	v_add_u32_e32 v10, 0x1f8, v0
	s_or_b64 s[4:5], s[4:5], exec
	s_waitcnt lgkmcnt(0)
	v_mul_f64 v[8:9], v[4:5], v[112:113]
	v_mul_f64 v[6:7], v[2:3], v[112:113]
	v_fma_f64 v[2:3], v[2:3], v[110:111], -v[8:9]
	v_fmac_f64_e32 v[6:7], v[4:5], v[110:111]
	scratch_store_dwordx2 off, v[2:3], off offset:496
.LBB31_495:
	s_or_b64 exec, exec, s[6:7]
.LBB31_496:
	s_and_saveexec_b64 s[0:1], s[4:5]
	s_cbranch_execz .LBB31_498
; %bb.497:
	scratch_store_dwordx2 v10, v[6:7], off
.LBB31_498:
	s_or_b64 exec, exec, s[0:1]
	scratch_load_dwordx4 v[2:5], off, off
	scratch_load_dwordx4 v[6:9], v100, off
	scratch_load_dwordx4 v[10:13], v102, off
	;; [unrolled: 1-line block ×7, first 2 shown]
                                        ; kill: killed $vgpr106
                                        ; kill: killed $vgpr107
                                        ; kill: killed $vgpr108
                                        ; kill: killed $vgpr102
                                        ; kill: killed $vgpr104
                                        ; kill: killed $vgpr105
                                        ; kill: killed $vgpr100
	s_nop 0
	scratch_load_dwordx4 v[102:105], v103, off
	s_waitcnt vmcnt(8)
	global_store_dwordx4 v[40:41], v[2:5], off
	scratch_load_dwordx4 v[2:5], v99, off
	s_nop 0
	scratch_load_dwordx4 v[106:109], v101, off
	s_waitcnt vmcnt(10)
	global_store_dwordx4 v[38:39], v[6:9], off
	scratch_load_dwordx4 v[6:9], v98, off
	s_waitcnt vmcnt(11)
	global_store_dwordx4 v[42:43], v[10:13], off
	scratch_load_dwordx4 v[10:13], v97, off
	s_nop 0
	scratch_load_dwordx4 v[38:41], v96, off
	s_waitcnt vmcnt(13)
	global_store_dwordx4 v[44:45], v[110:113], off
	scratch_load_dwordx4 v[42:45], v94, off
	s_nop 0
	;; [unrolled: 5-line block ×10, first 2 shown]
	scratch_load_dwordx4 v[58:61], v67, off
	s_waitcnt vmcnt(28)
	global_store_dwordx4 v[62:63], v[10:13], off
	s_waitcnt vmcnt(28)
	global_store_dwordx4 v[64:65], v[38:41], off
	;; [unrolled: 2-line block ×20, first 2 shown]
.LBB31_499:
	s_endpgm
	.section	.rodata,"a",@progbits
	.p2align	6, 0x0
	.amdhsa_kernel _ZN9rocsolver6v33100L18trti2_kernel_smallILi32E19rocblas_complex_numIdEPS3_EEv13rocblas_fill_17rocblas_diagonal_T1_iil
		.amdhsa_group_segment_fixed_size 1024
		.amdhsa_private_segment_fixed_size 528
		.amdhsa_kernarg_size 32
		.amdhsa_user_sgpr_count 2
		.amdhsa_user_sgpr_dispatch_ptr 0
		.amdhsa_user_sgpr_queue_ptr 0
		.amdhsa_user_sgpr_kernarg_segment_ptr 1
		.amdhsa_user_sgpr_dispatch_id 0
		.amdhsa_user_sgpr_kernarg_preload_length 0
		.amdhsa_user_sgpr_kernarg_preload_offset 0
		.amdhsa_user_sgpr_private_segment_size 0
		.amdhsa_uses_dynamic_stack 0
		.amdhsa_enable_private_segment 1
		.amdhsa_system_sgpr_workgroup_id_x 1
		.amdhsa_system_sgpr_workgroup_id_y 0
		.amdhsa_system_sgpr_workgroup_id_z 0
		.amdhsa_system_sgpr_workgroup_info 0
		.amdhsa_system_vgpr_workitem_id 0
		.amdhsa_next_free_vgpr 130
		.amdhsa_next_free_sgpr 12
		.amdhsa_accum_offset 132
		.amdhsa_reserve_vcc 1
		.amdhsa_float_round_mode_32 0
		.amdhsa_float_round_mode_16_64 0
		.amdhsa_float_denorm_mode_32 3
		.amdhsa_float_denorm_mode_16_64 3
		.amdhsa_dx10_clamp 1
		.amdhsa_ieee_mode 1
		.amdhsa_fp16_overflow 0
		.amdhsa_tg_split 0
		.amdhsa_exception_fp_ieee_invalid_op 0
		.amdhsa_exception_fp_denorm_src 0
		.amdhsa_exception_fp_ieee_div_zero 0
		.amdhsa_exception_fp_ieee_overflow 0
		.amdhsa_exception_fp_ieee_underflow 0
		.amdhsa_exception_fp_ieee_inexact 0
		.amdhsa_exception_int_div_zero 0
	.end_amdhsa_kernel
	.section	.text._ZN9rocsolver6v33100L18trti2_kernel_smallILi32E19rocblas_complex_numIdEPS3_EEv13rocblas_fill_17rocblas_diagonal_T1_iil,"axG",@progbits,_ZN9rocsolver6v33100L18trti2_kernel_smallILi32E19rocblas_complex_numIdEPS3_EEv13rocblas_fill_17rocblas_diagonal_T1_iil,comdat
.Lfunc_end31:
	.size	_ZN9rocsolver6v33100L18trti2_kernel_smallILi32E19rocblas_complex_numIdEPS3_EEv13rocblas_fill_17rocblas_diagonal_T1_iil, .Lfunc_end31-_ZN9rocsolver6v33100L18trti2_kernel_smallILi32E19rocblas_complex_numIdEPS3_EEv13rocblas_fill_17rocblas_diagonal_T1_iil
                                        ; -- End function
	.section	.AMDGPU.csdata,"",@progbits
; Kernel info:
; codeLenInByte = 21000
; NumSgprs: 18
; NumVgprs: 130
; NumAgprs: 0
; TotalNumVgprs: 130
; ScratchSize: 528
; MemoryBound: 0
; FloatMode: 240
; IeeeMode: 1
; LDSByteSize: 1024 bytes/workgroup (compile time only)
; SGPRBlocks: 2
; VGPRBlocks: 16
; NumSGPRsForWavesPerEU: 18
; NumVGPRsForWavesPerEU: 130
; AccumOffset: 132
; Occupancy: 3
; WaveLimiterHint : 0
; COMPUTE_PGM_RSRC2:SCRATCH_EN: 1
; COMPUTE_PGM_RSRC2:USER_SGPR: 2
; COMPUTE_PGM_RSRC2:TRAP_HANDLER: 0
; COMPUTE_PGM_RSRC2:TGID_X_EN: 1
; COMPUTE_PGM_RSRC2:TGID_Y_EN: 0
; COMPUTE_PGM_RSRC2:TGID_Z_EN: 0
; COMPUTE_PGM_RSRC2:TIDIG_COMP_CNT: 0
; COMPUTE_PGM_RSRC3_GFX90A:ACCUM_OFFSET: 32
; COMPUTE_PGM_RSRC3_GFX90A:TG_SPLIT: 0
	.section	.text._ZN9rocsolver6v33100L18trti2_kernel_smallILi33E19rocblas_complex_numIdEPS3_EEv13rocblas_fill_17rocblas_diagonal_T1_iil,"axG",@progbits,_ZN9rocsolver6v33100L18trti2_kernel_smallILi33E19rocblas_complex_numIdEPS3_EEv13rocblas_fill_17rocblas_diagonal_T1_iil,comdat
	.globl	_ZN9rocsolver6v33100L18trti2_kernel_smallILi33E19rocblas_complex_numIdEPS3_EEv13rocblas_fill_17rocblas_diagonal_T1_iil ; -- Begin function _ZN9rocsolver6v33100L18trti2_kernel_smallILi33E19rocblas_complex_numIdEPS3_EEv13rocblas_fill_17rocblas_diagonal_T1_iil
	.p2align	8
	.type	_ZN9rocsolver6v33100L18trti2_kernel_smallILi33E19rocblas_complex_numIdEPS3_EEv13rocblas_fill_17rocblas_diagonal_T1_iil,@function
_ZN9rocsolver6v33100L18trti2_kernel_smallILi33E19rocblas_complex_numIdEPS3_EEv13rocblas_fill_17rocblas_diagonal_T1_iil: ; @_ZN9rocsolver6v33100L18trti2_kernel_smallILi33E19rocblas_complex_numIdEPS3_EEv13rocblas_fill_17rocblas_diagonal_T1_iil
; %bb.0:
	v_cmp_gt_u32_e32 vcc, 33, v0
	s_and_saveexec_b64 s[4:5], vcc
	s_cbranch_execz .LBB32_515
; %bb.1:
	s_load_dwordx8 s[4:11], s[0:1], 0x0
	s_ashr_i32 s3, s2, 31
	v_lshlrev_b32_e32 v58, 4, v0
	v_mov_b32_e32 v59, 0
	s_waitcnt lgkmcnt(0)
	s_ashr_i32 s1, s8, 31
	s_mov_b32 s0, s8
	s_mul_i32 s8, s2, s11
	s_mul_hi_u32 s11, s2, s10
	s_add_i32 s8, s11, s8
	s_mul_i32 s3, s3, s10
	s_add_i32 s3, s8, s3
	s_mul_i32 s2, s2, s10
	s_lshl_b64 s[2:3], s[2:3], 4
	s_add_u32 s2, s6, s2
	s_addc_u32 s3, s7, s3
	s_lshl_b64 s[0:1], s[0:1], 4
	s_add_u32 s0, s2, s0
	s_addc_u32 s1, s3, s1
	global_load_dwordx4 v[2:5], v58, s[0:1]
	s_add_i32 s6, s9, s9
	v_add_u32_e32 v6, s6, v0
	v_add_u32_e32 v20, s9, v6
	;; [unrolled: 1-line block ×14, first 2 shown]
	s_mov_b32 s2, s9
	s_ashr_i32 s3, s9, 31
	v_lshl_add_u64 v[18:19], s[0:1], 0, v[58:59]
	v_ashrrev_i32_e32 v21, 31, v20
	v_ashrrev_i32_e32 v25, 31, v24
	v_ashrrev_i32_e32 v29, 31, v28
	v_ashrrev_i32_e32 v33, 31, v32
	v_ashrrev_i32_e32 v37, 31, v36
	v_ashrrev_i32_e32 v41, 31, v40
	v_ashrrev_i32_e32 v45, 31, v44
	v_add_u32_e32 v46, s9, v44
	v_lshl_add_u64 v[14:15], s[2:3], 4, v[18:19]
	v_ashrrev_i32_e32 v7, 31, v6
	v_lshl_add_u64 v[20:21], v[20:21], 4, s[0:1]
	v_ashrrev_i32_e32 v23, 31, v22
	;; [unrolled: 2-line block ×8, first 2 shown]
	v_add_u32_e32 v48, s9, v46
	v_lshl_add_u64 v[16:17], v[6:7], 4, s[0:1]
	global_load_dwordx4 v[6:9], v[14:15], off
	global_load_dwordx4 v[10:13], v[16:17], off
	v_lshl_add_u64 v[22:23], v[22:23], 4, s[0:1]
	global_load_dwordx4 v[54:57], v[20:21], off
	global_load_dwordx4 v[60:63], v[22:23], off
	v_lshl_add_u64 v[26:27], v[26:27], 4, s[0:1]
	global_load_dwordx4 v[64:67], v[24:25], off
	global_load_dwordx4 v[68:71], v[26:27], off
	v_lshl_add_u64 v[30:31], v[30:31], 4, s[0:1]
	global_load_dwordx4 v[72:75], v[28:29], off
	global_load_dwordx4 v[76:79], v[30:31], off
	v_lshl_add_u64 v[34:35], v[34:35], 4, s[0:1]
	global_load_dwordx4 v[80:83], v[32:33], off
	global_load_dwordx4 v[84:87], v[34:35], off
	v_lshl_add_u64 v[38:39], v[38:39], 4, s[0:1]
	global_load_dwordx4 v[88:91], v[36:37], off
	global_load_dwordx4 v[92:95], v[38:39], off
	v_lshl_add_u64 v[42:43], v[42:43], 4, s[0:1]
	global_load_dwordx4 v[96:99], v[40:41], off
	global_load_dwordx4 v[100:103], v[42:43], off
	v_lshl_add_u64 v[46:47], v[46:47], 4, s[0:1]
	v_add_u32_e32 v50, s9, v48
	global_load_dwordx4 v[104:107], v[44:45], off
	global_load_dwordx4 v[108:111], v[46:47], off
	v_ashrrev_i32_e32 v49, 31, v48
	v_ashrrev_i32_e32 v51, 31, v50
	v_add_u32_e32 v120, s9, v50
	v_lshl_add_u64 v[48:49], v[48:49], 4, s[0:1]
	v_lshl_add_u64 v[50:51], v[50:51], 4, s[0:1]
	v_ashrrev_i32_e32 v121, 31, v120
	global_load_dwordx4 v[112:115], v[48:49], off
	v_lshl_add_u64 v[52:53], v[120:121], 4, s[0:1]
	global_load_dwordx4 v[116:119], v[52:53], off
	s_cmpk_lg_i32 s5, 0x84
	s_cselect_b64 s[6:7], -1, 0
	s_cmpk_eq_i32 s5, 0x84
	s_waitcnt vmcnt(18)
	scratch_store_dwordx4 off, v[2:5], off
	global_load_dwordx4 v[2:5], v[50:51], off
	s_waitcnt vmcnt(19)
	scratch_store_dwordx4 off, v[6:9], off offset:16
	s_waitcnt vmcnt(19)
	scratch_store_dwordx4 off, v[10:13], off offset:32
	;; [unrolled: 2-line block ×17, first 2 shown]
	v_add_u32_e32 v10, s9, v120
	v_ashrrev_i32_e32 v11, 31, v10
	v_lshl_add_u64 v[54:55], v[10:11], 4, s[0:1]
	global_load_dwordx4 v[6:9], v[54:55], off
	s_waitcnt vmcnt(18)
	scratch_store_dwordx4 off, v[2:5], off offset:288
	scratch_store_dwordx4 off, v[116:119], off offset:304
	s_nop 0
	v_add_u32_e32 v2, s9, v10
	v_add_u32_e32 v62, s9, v2
	;; [unrolled: 1-line block ×11, first 2 shown]
	v_ashrrev_i32_e32 v63, 31, v62
	v_ashrrev_i32_e32 v65, 31, v64
	;; [unrolled: 1-line block ×11, first 2 shown]
	v_lshl_add_u64 v[60:61], v[62:63], 4, s[0:1]
	v_lshl_add_u64 v[62:63], v[64:65], 4, s[0:1]
	;; [unrolled: 1-line block ×10, first 2 shown]
	v_add_u32_e32 v80, s9, v80
	v_lshl_add_u64 v[56:57], v[2:3], 4, s[0:1]
	v_ashrrev_i32_e32 v81, 31, v80
	global_load_dwordx4 v[2:5], v[56:57], off
	global_load_dwordx4 v[10:13], v[60:61], off
	;; [unrolled: 1-line block ×10, first 2 shown]
	v_lshl_add_u64 v[80:81], v[80:81], 4, s[0:1]
	global_load_dwordx4 v[114:117], v[78:79], off
	global_load_dwordx4 v[118:121], v[80:81], off
	s_waitcnt vmcnt(14)
	scratch_store_dwordx4 off, v[6:9], off offset:320
	s_waitcnt vmcnt(12)
	scratch_store_dwordx4 off, v[2:5], off offset:336
	s_waitcnt vmcnt(12)
	scratch_store_dwordx4 off, v[10:13], off offset:352
	s_waitcnt vmcnt(12)
	scratch_store_dwordx4 off, v[82:85], off offset:368
	s_waitcnt vmcnt(12)
	scratch_store_dwordx4 off, v[86:89], off offset:384
	s_waitcnt vmcnt(12)
	scratch_store_dwordx4 off, v[90:93], off offset:400
	s_waitcnt vmcnt(12)
	scratch_store_dwordx4 off, v[94:97], off offset:416
	s_waitcnt vmcnt(12)
	scratch_store_dwordx4 off, v[98:101], off offset:432
	s_waitcnt vmcnt(12)
	scratch_store_dwordx4 off, v[102:105], off offset:448
	s_waitcnt vmcnt(12)
	scratch_store_dwordx4 off, v[106:109], off offset:464
	s_waitcnt vmcnt(12)
	scratch_store_dwordx4 off, v[110:113], off offset:480
	s_waitcnt vmcnt(12)
	scratch_store_dwordx4 off, v[114:117], off offset:496
	s_waitcnt vmcnt(12)
	scratch_store_dwordx4 off, v[118:121], off offset:512
	v_mov_b32_e32 v12, 0
	s_cbranch_scc1 .LBB32_7
; %bb.2:
	scratch_load_dwordx4 v[6:9], v58, off
                                        ; implicit-def: $vgpr10_vgpr11
	s_waitcnt vmcnt(0)
	v_xor_b32_e32 v1, 0x80000000, v7
	v_cmp_gt_f64_e32 vcc, 0, v[6:7]
	v_xor_b32_e32 v4, 0x80000000, v9
	v_mov_b32_e32 v2, v6
	v_cndmask_b32_e32 v3, v7, v1, vcc
	v_cmp_gt_f64_e32 vcc, 0, v[8:9]
	s_nop 1
	v_cndmask_b32_e32 v5, v9, v4, vcc
	v_mov_b32_e32 v4, v8
	v_cmp_ngt_f64_e32 vcc, v[2:3], v[4:5]
                                        ; implicit-def: $vgpr2_vgpr3
	s_and_saveexec_b64 s[0:1], vcc
	s_xor_b64 s[0:1], exec, s[0:1]
	s_cbranch_execz .LBB32_4
; %bb.3:
	v_div_scale_f64 v[2:3], s[2:3], v[8:9], v[8:9], v[6:7]
	v_rcp_f64_e32 v[4:5], v[2:3]
	v_div_scale_f64 v[10:11], vcc, v[6:7], v[8:9], v[6:7]
	v_fma_f64 v[82:83], -v[2:3], v[4:5], 1.0
	v_fmac_f64_e32 v[4:5], v[4:5], v[82:83]
	v_fma_f64 v[82:83], -v[2:3], v[4:5], 1.0
	v_fmac_f64_e32 v[4:5], v[4:5], v[82:83]
	v_mul_f64 v[82:83], v[10:11], v[4:5]
	v_fma_f64 v[2:3], -v[2:3], v[82:83], v[10:11]
	v_div_fmas_f64 v[2:3], v[2:3], v[4:5], v[82:83]
	v_div_fixup_f64 v[2:3], v[2:3], v[8:9], v[6:7]
	v_fmac_f64_e32 v[8:9], v[6:7], v[2:3]
	v_div_scale_f64 v[4:5], s[2:3], v[8:9], v[8:9], 1.0
	v_rcp_f64_e32 v[6:7], v[4:5]
	s_nop 0
	v_fma_f64 v[10:11], -v[4:5], v[6:7], 1.0
	v_fmac_f64_e32 v[6:7], v[6:7], v[10:11]
	v_fma_f64 v[10:11], -v[4:5], v[6:7], 1.0
	v_fmac_f64_e32 v[6:7], v[6:7], v[10:11]
	v_div_scale_f64 v[10:11], vcc, 1.0, v[8:9], 1.0
	v_mul_f64 v[82:83], v[10:11], v[6:7]
	v_fma_f64 v[4:5], -v[4:5], v[82:83], v[10:11]
	s_nop 1
	v_div_fmas_f64 v[4:5], v[4:5], v[6:7], v[82:83]
	v_div_fixup_f64 v[4:5], v[4:5], v[8:9], 1.0
	v_mul_f64 v[2:3], v[2:3], v[4:5]
	v_xor_b32_e32 v5, 0x80000000, v5
	v_xor_b32_e32 v11, 0x80000000, v3
	v_mov_b32_e32 v10, v2
                                        ; implicit-def: $vgpr6_vgpr7
.LBB32_4:
	s_or_saveexec_b64 s[0:1], s[0:1]
	v_add_u32_e32 v1, 0, v58
	s_xor_b64 exec, exec, s[0:1]
	s_cbranch_execz .LBB32_6
; %bb.5:
	v_div_scale_f64 v[2:3], s[2:3], v[6:7], v[6:7], v[8:9]
	v_rcp_f64_e32 v[4:5], v[2:3]
	v_div_scale_f64 v[10:11], vcc, v[8:9], v[6:7], v[8:9]
	v_fma_f64 v[82:83], -v[2:3], v[4:5], 1.0
	v_fmac_f64_e32 v[4:5], v[4:5], v[82:83]
	v_fma_f64 v[82:83], -v[2:3], v[4:5], 1.0
	v_fmac_f64_e32 v[4:5], v[4:5], v[82:83]
	v_mul_f64 v[82:83], v[10:11], v[4:5]
	v_fma_f64 v[2:3], -v[2:3], v[82:83], v[10:11]
	v_div_fmas_f64 v[2:3], v[2:3], v[4:5], v[82:83]
	v_div_fixup_f64 v[4:5], v[2:3], v[6:7], v[8:9]
	v_fmac_f64_e32 v[6:7], v[8:9], v[4:5]
	v_div_scale_f64 v[2:3], s[2:3], v[6:7], v[6:7], 1.0
	v_rcp_f64_e32 v[8:9], v[2:3]
	s_nop 0
	v_fma_f64 v[10:11], -v[2:3], v[8:9], 1.0
	v_fmac_f64_e32 v[8:9], v[8:9], v[10:11]
	v_fma_f64 v[10:11], -v[2:3], v[8:9], 1.0
	v_fmac_f64_e32 v[8:9], v[8:9], v[10:11]
	v_div_scale_f64 v[10:11], vcc, 1.0, v[6:7], 1.0
	v_mul_f64 v[82:83], v[10:11], v[8:9]
	v_fma_f64 v[2:3], -v[2:3], v[82:83], v[10:11]
	s_nop 1
	v_div_fmas_f64 v[2:3], v[2:3], v[8:9], v[82:83]
	v_div_fixup_f64 v[2:3], v[2:3], v[6:7], 1.0
	v_xor_b32_e32 v11, 0x80000000, v3
	v_mov_b32_e32 v10, v2
	v_mul_f64 v[4:5], v[4:5], -v[2:3]
.LBB32_6:
	s_or_b64 exec, exec, s[0:1]
	scratch_store_dwordx4 v1, v[2:5], off
	s_nop 1
	v_xor_b32_e32 v5, 0x80000000, v5
	s_branch .LBB32_8
.LBB32_7:
	v_mov_b64_e32 v[4:5], 0
	v_mov_b64_e32 v[10:11], -1.0
.LBB32_8:
	v_add_u32_e32 v104, 16, v12
	v_add_u32_e32 v103, 32, v12
	;; [unrolled: 1-line block ×32, first 2 shown]
	v_mov_b32_e32 v12, v4
	v_mov_b32_e32 v13, v5
	ds_write_b128 v58, v[10:13]
	s_cmpk_eq_i32 s4, 0x79
	v_add_u32_e32 v11, 0x210, v58
	v_add_u32_e32 v10, 0, v58
	s_cbranch_scc1 .LBB32_260
; %bb.9:
	scratch_load_dwordx4 v[2:5], v1, off
	v_cmp_eq_u32_e64 s[0:1], 32, v0
	s_waitcnt vmcnt(0)
	ds_write_b128 v11, v[2:5]
	s_waitcnt lgkmcnt(0)
	; wave barrier
	s_waitcnt lgkmcnt(0)
	s_and_saveexec_b64 s[2:3], s[0:1]
	s_cbranch_execz .LBB32_13
; %bb.10:
	ds_read_b128 v[2:5], v11
	s_andn2_b64 vcc, exec, s[6:7]
	s_cbranch_vccnz .LBB32_12
; %bb.11:
	scratch_load_dwordx4 v[110:113], v10, off
	s_waitcnt vmcnt(0) lgkmcnt(0)
	v_mul_f64 v[12:13], v[2:3], v[112:113]
	v_mul_f64 v[6:7], v[4:5], v[112:113]
	v_fmac_f64_e32 v[12:13], v[4:5], v[110:111]
	v_fma_f64 v[2:3], v[2:3], v[110:111], -v[6:7]
	v_mov_b64_e32 v[4:5], v[12:13]
.LBB32_12:
	v_mov_b32_e32 v6, 0
	ds_read_b128 v[110:113], v6 offset:496
	s_waitcnt lgkmcnt(0)
	v_mul_f64 v[6:7], v[4:5], v[112:113]
	v_mul_f64 v[114:115], v[2:3], v[112:113]
	v_fma_f64 v[112:113], v[2:3], v[110:111], -v[6:7]
	v_fmac_f64_e32 v[114:115], v[4:5], v[110:111]
	scratch_store_dwordx4 off, v[112:115], off offset:496
.LBB32_13:
	s_or_b64 exec, exec, s[2:3]
	scratch_load_dwordx4 v[2:5], v59, off
	v_cmp_lt_u32_e64 s[2:3], 30, v0
	s_waitcnt vmcnt(0)
	ds_write_b128 v11, v[2:5]
	s_waitcnt lgkmcnt(0)
	; wave barrier
	s_waitcnt lgkmcnt(0)
	s_and_saveexec_b64 s[4:5], s[2:3]
	s_cbranch_execz .LBB32_19
; %bb.14:
	ds_read_b128 v[2:5], v11
	s_andn2_b64 vcc, exec, s[6:7]
	s_cbranch_vccnz .LBB32_16
; %bb.15:
	scratch_load_dwordx4 v[110:113], v10, off
	s_waitcnt vmcnt(0) lgkmcnt(0)
	v_mul_f64 v[12:13], v[2:3], v[112:113]
	v_mul_f64 v[6:7], v[4:5], v[112:113]
	v_fmac_f64_e32 v[12:13], v[4:5], v[110:111]
	v_fma_f64 v[2:3], v[2:3], v[110:111], -v[6:7]
	v_mov_b64_e32 v[4:5], v[12:13]
.LBB32_16:
	s_and_saveexec_b64 s[8:9], s[0:1]
	s_cbranch_execz .LBB32_18
; %bb.17:
	scratch_load_dwordx4 v[110:113], off, off offset:496
	v_mov_b32_e32 v6, 0
	ds_read_b128 v[114:117], v6 offset:1024
	s_waitcnt vmcnt(0) lgkmcnt(0)
	v_mul_f64 v[6:7], v[114:115], v[112:113]
	v_mul_f64 v[12:13], v[116:117], v[112:113]
	v_fmac_f64_e32 v[6:7], v[116:117], v[110:111]
	v_fma_f64 v[12:13], v[114:115], v[110:111], -v[12:13]
	v_add_f64 v[4:5], v[4:5], v[6:7]
	v_add_f64 v[2:3], v[2:3], v[12:13]
.LBB32_18:
	s_or_b64 exec, exec, s[8:9]
	v_mov_b32_e32 v6, 0
	ds_read_b128 v[110:113], v6 offset:480
	s_waitcnt lgkmcnt(0)
	v_mul_f64 v[6:7], v[4:5], v[112:113]
	v_mul_f64 v[114:115], v[2:3], v[112:113]
	v_fma_f64 v[112:113], v[2:3], v[110:111], -v[6:7]
	v_fmac_f64_e32 v[114:115], v[4:5], v[110:111]
	scratch_store_dwordx4 off, v[112:115], off offset:480
.LBB32_19:
	s_or_b64 exec, exec, s[4:5]
	scratch_load_dwordx4 v[2:5], v9, off
	v_cmp_lt_u32_e64 s[0:1], 29, v0
	s_waitcnt vmcnt(0)
	ds_write_b128 v11, v[2:5]
	s_waitcnt lgkmcnt(0)
	; wave barrier
	s_waitcnt lgkmcnt(0)
	s_and_saveexec_b64 s[4:5], s[0:1]
	s_cbranch_execz .LBB32_27
; %bb.20:
	ds_read_b128 v[2:5], v11
	s_andn2_b64 vcc, exec, s[6:7]
	s_cbranch_vccnz .LBB32_22
; %bb.21:
	scratch_load_dwordx4 v[110:113], v10, off
	s_waitcnt vmcnt(0) lgkmcnt(0)
	v_mul_f64 v[12:13], v[2:3], v[112:113]
	v_mul_f64 v[6:7], v[4:5], v[112:113]
	v_fmac_f64_e32 v[12:13], v[4:5], v[110:111]
	v_fma_f64 v[2:3], v[2:3], v[110:111], -v[6:7]
	v_mov_b64_e32 v[4:5], v[12:13]
.LBB32_22:
	s_and_saveexec_b64 s[8:9], s[2:3]
	s_cbranch_execz .LBB32_26
; %bb.23:
	v_mov_b32_e32 v7, 0
	v_subrev_u32_e32 v6, 30, v0
	v_add_u32_e32 v7, 0x1e8, v7
	s_movk_i32 s10, 0x3f0
	s_mov_b64 s[2:3], 0
.LBB32_24:                              ; =>This Inner Loop Header: Depth=1
	v_add_u32_e32 v12, -8, v7
	scratch_load_dwordx4 v[110:113], v12, off
	v_mov_b32_e32 v12, s10
	ds_read_b128 v[114:117], v12
	v_add_u32_e32 v6, -1, v6
	s_add_i32 s10, s10, 16
	v_cmp_eq_u32_e32 vcc, 0, v6
	v_add_u32_e32 v7, 16, v7
	s_or_b64 s[2:3], vcc, s[2:3]
	s_waitcnt vmcnt(0) lgkmcnt(0)
	v_mul_f64 v[12:13], v[116:117], v[112:113]
	v_mul_f64 v[112:113], v[114:115], v[112:113]
	v_fma_f64 v[12:13], v[114:115], v[110:111], -v[12:13]
	v_fmac_f64_e32 v[112:113], v[116:117], v[110:111]
	v_add_f64 v[2:3], v[2:3], v[12:13]
	v_add_f64 v[4:5], v[4:5], v[112:113]
	s_andn2_b64 exec, exec, s[2:3]
	s_cbranch_execnz .LBB32_24
; %bb.25:
	s_or_b64 exec, exec, s[2:3]
.LBB32_26:
	s_or_b64 exec, exec, s[8:9]
	v_mov_b32_e32 v6, 0
	ds_read_b128 v[110:113], v6 offset:464
	s_waitcnt lgkmcnt(0)
	v_mul_f64 v[6:7], v[4:5], v[112:113]
	v_mul_f64 v[114:115], v[2:3], v[112:113]
	v_fma_f64 v[112:113], v[2:3], v[110:111], -v[6:7]
	v_fmac_f64_e32 v[114:115], v[4:5], v[110:111]
	scratch_store_dwordx4 off, v[112:115], off offset:464
.LBB32_27:
	s_or_b64 exec, exec, s[4:5]
	scratch_load_dwordx4 v[2:5], v82, off
	v_cmp_lt_u32_e64 s[2:3], 28, v0
	s_waitcnt vmcnt(0)
	ds_write_b128 v11, v[2:5]
	s_waitcnt lgkmcnt(0)
	; wave barrier
	s_waitcnt lgkmcnt(0)
	s_and_saveexec_b64 s[4:5], s[2:3]
	s_cbranch_execz .LBB32_35
; %bb.28:
	ds_read_b128 v[2:5], v11
	s_andn2_b64 vcc, exec, s[6:7]
	s_cbranch_vccnz .LBB32_30
; %bb.29:
	scratch_load_dwordx4 v[110:113], v10, off
	s_waitcnt vmcnt(0) lgkmcnt(0)
	v_mul_f64 v[12:13], v[2:3], v[112:113]
	v_mul_f64 v[6:7], v[4:5], v[112:113]
	v_fmac_f64_e32 v[12:13], v[4:5], v[110:111]
	v_fma_f64 v[2:3], v[2:3], v[110:111], -v[6:7]
	v_mov_b64_e32 v[4:5], v[12:13]
.LBB32_30:
	s_and_saveexec_b64 s[8:9], s[0:1]
	s_cbranch_execz .LBB32_34
; %bb.31:
	v_mov_b32_e32 v7, 0
	v_subrev_u32_e32 v6, 29, v0
	v_add_u32_e32 v7, 0x1d8, v7
	s_movk_i32 s10, 0x3e0
	s_mov_b64 s[0:1], 0
.LBB32_32:                              ; =>This Inner Loop Header: Depth=1
	v_add_u32_e32 v12, -8, v7
	scratch_load_dwordx4 v[110:113], v12, off
	v_mov_b32_e32 v12, s10
	ds_read_b128 v[114:117], v12
	v_add_u32_e32 v6, -1, v6
	s_add_i32 s10, s10, 16
	v_cmp_eq_u32_e32 vcc, 0, v6
	v_add_u32_e32 v7, 16, v7
	s_or_b64 s[0:1], vcc, s[0:1]
	s_waitcnt vmcnt(0) lgkmcnt(0)
	v_mul_f64 v[12:13], v[116:117], v[112:113]
	v_mul_f64 v[112:113], v[114:115], v[112:113]
	v_fma_f64 v[12:13], v[114:115], v[110:111], -v[12:13]
	v_fmac_f64_e32 v[112:113], v[116:117], v[110:111]
	v_add_f64 v[2:3], v[2:3], v[12:13]
	v_add_f64 v[4:5], v[4:5], v[112:113]
	s_andn2_b64 exec, exec, s[0:1]
	s_cbranch_execnz .LBB32_32
; %bb.33:
	s_or_b64 exec, exec, s[0:1]
.LBB32_34:
	s_or_b64 exec, exec, s[8:9]
	v_mov_b32_e32 v6, 0
	ds_read_b128 v[110:113], v6 offset:448
	s_waitcnt lgkmcnt(0)
	v_mul_f64 v[6:7], v[4:5], v[112:113]
	v_mul_f64 v[114:115], v[2:3], v[112:113]
	v_fma_f64 v[112:113], v[2:3], v[110:111], -v[6:7]
	v_fmac_f64_e32 v[114:115], v[4:5], v[110:111]
	scratch_store_dwordx4 off, v[112:115], off offset:448
.LBB32_35:
	s_or_b64 exec, exec, s[4:5]
	scratch_load_dwordx4 v[2:5], v83, off
	v_cmp_lt_u32_e64 s[0:1], 27, v0
	s_waitcnt vmcnt(0)
	ds_write_b128 v11, v[2:5]
	s_waitcnt lgkmcnt(0)
	; wave barrier
	s_waitcnt lgkmcnt(0)
	s_and_saveexec_b64 s[4:5], s[0:1]
	s_cbranch_execz .LBB32_43
; %bb.36:
	ds_read_b128 v[2:5], v11
	s_andn2_b64 vcc, exec, s[6:7]
	s_cbranch_vccnz .LBB32_38
; %bb.37:
	scratch_load_dwordx4 v[110:113], v10, off
	s_waitcnt vmcnt(0) lgkmcnt(0)
	v_mul_f64 v[12:13], v[2:3], v[112:113]
	v_mul_f64 v[6:7], v[4:5], v[112:113]
	v_fmac_f64_e32 v[12:13], v[4:5], v[110:111]
	v_fma_f64 v[2:3], v[2:3], v[110:111], -v[6:7]
	v_mov_b64_e32 v[4:5], v[12:13]
.LBB32_38:
	s_and_saveexec_b64 s[8:9], s[2:3]
	s_cbranch_execz .LBB32_42
; %bb.39:
	v_mov_b32_e32 v7, 0
	v_subrev_u32_e32 v6, 28, v0
	v_add_u32_e32 v7, 0x1c8, v7
	s_movk_i32 s10, 0x3d0
	s_mov_b64 s[2:3], 0
.LBB32_40:                              ; =>This Inner Loop Header: Depth=1
	v_add_u32_e32 v12, -8, v7
	scratch_load_dwordx4 v[110:113], v12, off
	v_mov_b32_e32 v12, s10
	ds_read_b128 v[114:117], v12
	v_add_u32_e32 v6, -1, v6
	s_add_i32 s10, s10, 16
	v_cmp_eq_u32_e32 vcc, 0, v6
	v_add_u32_e32 v7, 16, v7
	s_or_b64 s[2:3], vcc, s[2:3]
	s_waitcnt vmcnt(0) lgkmcnt(0)
	v_mul_f64 v[12:13], v[116:117], v[112:113]
	v_mul_f64 v[112:113], v[114:115], v[112:113]
	v_fma_f64 v[12:13], v[114:115], v[110:111], -v[12:13]
	v_fmac_f64_e32 v[112:113], v[116:117], v[110:111]
	v_add_f64 v[2:3], v[2:3], v[12:13]
	v_add_f64 v[4:5], v[4:5], v[112:113]
	s_andn2_b64 exec, exec, s[2:3]
	s_cbranch_execnz .LBB32_40
; %bb.41:
	s_or_b64 exec, exec, s[2:3]
.LBB32_42:
	s_or_b64 exec, exec, s[8:9]
	v_mov_b32_e32 v6, 0
	ds_read_b128 v[110:113], v6 offset:432
	s_waitcnt lgkmcnt(0)
	v_mul_f64 v[6:7], v[4:5], v[112:113]
	v_mul_f64 v[114:115], v[2:3], v[112:113]
	v_fma_f64 v[112:113], v[2:3], v[110:111], -v[6:7]
	v_fmac_f64_e32 v[114:115], v[4:5], v[110:111]
	scratch_store_dwordx4 off, v[112:115], off offset:432
.LBB32_43:
	s_or_b64 exec, exec, s[4:5]
	scratch_load_dwordx4 v[2:5], v84, off
	v_cmp_lt_u32_e64 s[2:3], 26, v0
	s_waitcnt vmcnt(0)
	ds_write_b128 v11, v[2:5]
	s_waitcnt lgkmcnt(0)
	; wave barrier
	s_waitcnt lgkmcnt(0)
	s_and_saveexec_b64 s[4:5], s[2:3]
	s_cbranch_execz .LBB32_51
; %bb.44:
	ds_read_b128 v[2:5], v11
	s_andn2_b64 vcc, exec, s[6:7]
	s_cbranch_vccnz .LBB32_46
; %bb.45:
	scratch_load_dwordx4 v[110:113], v10, off
	s_waitcnt vmcnt(0) lgkmcnt(0)
	v_mul_f64 v[12:13], v[2:3], v[112:113]
	v_mul_f64 v[6:7], v[4:5], v[112:113]
	v_fmac_f64_e32 v[12:13], v[4:5], v[110:111]
	v_fma_f64 v[2:3], v[2:3], v[110:111], -v[6:7]
	v_mov_b64_e32 v[4:5], v[12:13]
.LBB32_46:
	s_and_saveexec_b64 s[8:9], s[0:1]
	s_cbranch_execz .LBB32_50
; %bb.47:
	v_mov_b32_e32 v7, 0
	v_subrev_u32_e32 v6, 27, v0
	v_add_u32_e32 v7, 0x1b8, v7
	s_movk_i32 s10, 0x3c0
	s_mov_b64 s[0:1], 0
.LBB32_48:                              ; =>This Inner Loop Header: Depth=1
	v_add_u32_e32 v12, -8, v7
	scratch_load_dwordx4 v[110:113], v12, off
	v_mov_b32_e32 v12, s10
	ds_read_b128 v[114:117], v12
	v_add_u32_e32 v6, -1, v6
	s_add_i32 s10, s10, 16
	v_cmp_eq_u32_e32 vcc, 0, v6
	v_add_u32_e32 v7, 16, v7
	s_or_b64 s[0:1], vcc, s[0:1]
	s_waitcnt vmcnt(0) lgkmcnt(0)
	v_mul_f64 v[12:13], v[116:117], v[112:113]
	v_mul_f64 v[112:113], v[114:115], v[112:113]
	v_fma_f64 v[12:13], v[114:115], v[110:111], -v[12:13]
	v_fmac_f64_e32 v[112:113], v[116:117], v[110:111]
	v_add_f64 v[2:3], v[2:3], v[12:13]
	v_add_f64 v[4:5], v[4:5], v[112:113]
	s_andn2_b64 exec, exec, s[0:1]
	s_cbranch_execnz .LBB32_48
; %bb.49:
	s_or_b64 exec, exec, s[0:1]
.LBB32_50:
	s_or_b64 exec, exec, s[8:9]
	v_mov_b32_e32 v6, 0
	ds_read_b128 v[110:113], v6 offset:416
	s_waitcnt lgkmcnt(0)
	v_mul_f64 v[6:7], v[4:5], v[112:113]
	v_mul_f64 v[114:115], v[2:3], v[112:113]
	v_fma_f64 v[112:113], v[2:3], v[110:111], -v[6:7]
	v_fmac_f64_e32 v[114:115], v[4:5], v[110:111]
	scratch_store_dwordx4 off, v[112:115], off offset:416
.LBB32_51:
	s_or_b64 exec, exec, s[4:5]
	scratch_load_dwordx4 v[2:5], v85, off
	v_cmp_lt_u32_e64 s[0:1], 25, v0
	s_waitcnt vmcnt(0)
	ds_write_b128 v11, v[2:5]
	s_waitcnt lgkmcnt(0)
	; wave barrier
	s_waitcnt lgkmcnt(0)
	s_and_saveexec_b64 s[4:5], s[0:1]
	s_cbranch_execz .LBB32_59
; %bb.52:
	ds_read_b128 v[2:5], v11
	s_andn2_b64 vcc, exec, s[6:7]
	s_cbranch_vccnz .LBB32_54
; %bb.53:
	scratch_load_dwordx4 v[110:113], v10, off
	s_waitcnt vmcnt(0) lgkmcnt(0)
	v_mul_f64 v[12:13], v[2:3], v[112:113]
	v_mul_f64 v[6:7], v[4:5], v[112:113]
	v_fmac_f64_e32 v[12:13], v[4:5], v[110:111]
	v_fma_f64 v[2:3], v[2:3], v[110:111], -v[6:7]
	v_mov_b64_e32 v[4:5], v[12:13]
.LBB32_54:
	s_and_saveexec_b64 s[8:9], s[2:3]
	s_cbranch_execz .LBB32_58
; %bb.55:
	v_mov_b32_e32 v7, 0
	v_subrev_u32_e32 v6, 26, v0
	v_add_u32_e32 v7, 0x1a8, v7
	s_movk_i32 s10, 0x3b0
	s_mov_b64 s[2:3], 0
.LBB32_56:                              ; =>This Inner Loop Header: Depth=1
	v_add_u32_e32 v12, -8, v7
	scratch_load_dwordx4 v[110:113], v12, off
	v_mov_b32_e32 v12, s10
	ds_read_b128 v[114:117], v12
	v_add_u32_e32 v6, -1, v6
	s_add_i32 s10, s10, 16
	v_cmp_eq_u32_e32 vcc, 0, v6
	v_add_u32_e32 v7, 16, v7
	s_or_b64 s[2:3], vcc, s[2:3]
	s_waitcnt vmcnt(0) lgkmcnt(0)
	v_mul_f64 v[12:13], v[116:117], v[112:113]
	v_mul_f64 v[112:113], v[114:115], v[112:113]
	v_fma_f64 v[12:13], v[114:115], v[110:111], -v[12:13]
	v_fmac_f64_e32 v[112:113], v[116:117], v[110:111]
	v_add_f64 v[2:3], v[2:3], v[12:13]
	v_add_f64 v[4:5], v[4:5], v[112:113]
	s_andn2_b64 exec, exec, s[2:3]
	s_cbranch_execnz .LBB32_56
; %bb.57:
	s_or_b64 exec, exec, s[2:3]
.LBB32_58:
	s_or_b64 exec, exec, s[8:9]
	v_mov_b32_e32 v6, 0
	ds_read_b128 v[110:113], v6 offset:400
	s_waitcnt lgkmcnt(0)
	v_mul_f64 v[6:7], v[4:5], v[112:113]
	v_mul_f64 v[114:115], v[2:3], v[112:113]
	v_fma_f64 v[112:113], v[2:3], v[110:111], -v[6:7]
	v_fmac_f64_e32 v[114:115], v[4:5], v[110:111]
	scratch_store_dwordx4 off, v[112:115], off offset:400
.LBB32_59:
	s_or_b64 exec, exec, s[4:5]
	scratch_load_dwordx4 v[2:5], v86, off
	v_cmp_lt_u32_e64 s[2:3], 24, v0
	s_waitcnt vmcnt(0)
	ds_write_b128 v11, v[2:5]
	s_waitcnt lgkmcnt(0)
	; wave barrier
	s_waitcnt lgkmcnt(0)
	s_and_saveexec_b64 s[4:5], s[2:3]
	s_cbranch_execz .LBB32_67
; %bb.60:
	ds_read_b128 v[2:5], v11
	s_andn2_b64 vcc, exec, s[6:7]
	s_cbranch_vccnz .LBB32_62
; %bb.61:
	scratch_load_dwordx4 v[110:113], v10, off
	s_waitcnt vmcnt(0) lgkmcnt(0)
	v_mul_f64 v[12:13], v[2:3], v[112:113]
	v_mul_f64 v[6:7], v[4:5], v[112:113]
	v_fmac_f64_e32 v[12:13], v[4:5], v[110:111]
	v_fma_f64 v[2:3], v[2:3], v[110:111], -v[6:7]
	v_mov_b64_e32 v[4:5], v[12:13]
.LBB32_62:
	s_and_saveexec_b64 s[8:9], s[0:1]
	s_cbranch_execz .LBB32_66
; %bb.63:
	v_mov_b32_e32 v7, 0
	v_subrev_u32_e32 v6, 25, v0
	v_add_u32_e32 v7, 0x198, v7
	s_movk_i32 s10, 0x3a0
	s_mov_b64 s[0:1], 0
.LBB32_64:                              ; =>This Inner Loop Header: Depth=1
	v_add_u32_e32 v12, -8, v7
	scratch_load_dwordx4 v[110:113], v12, off
	v_mov_b32_e32 v12, s10
	ds_read_b128 v[114:117], v12
	v_add_u32_e32 v6, -1, v6
	s_add_i32 s10, s10, 16
	v_cmp_eq_u32_e32 vcc, 0, v6
	v_add_u32_e32 v7, 16, v7
	s_or_b64 s[0:1], vcc, s[0:1]
	s_waitcnt vmcnt(0) lgkmcnt(0)
	v_mul_f64 v[12:13], v[116:117], v[112:113]
	v_mul_f64 v[112:113], v[114:115], v[112:113]
	v_fma_f64 v[12:13], v[114:115], v[110:111], -v[12:13]
	v_fmac_f64_e32 v[112:113], v[116:117], v[110:111]
	v_add_f64 v[2:3], v[2:3], v[12:13]
	v_add_f64 v[4:5], v[4:5], v[112:113]
	s_andn2_b64 exec, exec, s[0:1]
	s_cbranch_execnz .LBB32_64
; %bb.65:
	s_or_b64 exec, exec, s[0:1]
.LBB32_66:
	s_or_b64 exec, exec, s[8:9]
	v_mov_b32_e32 v6, 0
	ds_read_b128 v[110:113], v6 offset:384
	s_waitcnt lgkmcnt(0)
	v_mul_f64 v[6:7], v[4:5], v[112:113]
	v_mul_f64 v[114:115], v[2:3], v[112:113]
	v_fma_f64 v[112:113], v[2:3], v[110:111], -v[6:7]
	v_fmac_f64_e32 v[114:115], v[4:5], v[110:111]
	scratch_store_dwordx4 off, v[112:115], off offset:384
.LBB32_67:
	s_or_b64 exec, exec, s[4:5]
	scratch_load_dwordx4 v[2:5], v87, off
	v_cmp_lt_u32_e64 s[0:1], 23, v0
	s_waitcnt vmcnt(0)
	ds_write_b128 v11, v[2:5]
	s_waitcnt lgkmcnt(0)
	; wave barrier
	s_waitcnt lgkmcnt(0)
	s_and_saveexec_b64 s[4:5], s[0:1]
	s_cbranch_execz .LBB32_75
; %bb.68:
	ds_read_b128 v[2:5], v11
	s_andn2_b64 vcc, exec, s[6:7]
	s_cbranch_vccnz .LBB32_70
; %bb.69:
	scratch_load_dwordx4 v[110:113], v10, off
	s_waitcnt vmcnt(0) lgkmcnt(0)
	v_mul_f64 v[12:13], v[2:3], v[112:113]
	v_mul_f64 v[6:7], v[4:5], v[112:113]
	v_fmac_f64_e32 v[12:13], v[4:5], v[110:111]
	v_fma_f64 v[2:3], v[2:3], v[110:111], -v[6:7]
	v_mov_b64_e32 v[4:5], v[12:13]
.LBB32_70:
	s_and_saveexec_b64 s[8:9], s[2:3]
	s_cbranch_execz .LBB32_74
; %bb.71:
	v_mov_b32_e32 v7, 0
	v_subrev_u32_e32 v6, 24, v0
	v_add_u32_e32 v7, 0x188, v7
	s_movk_i32 s10, 0x390
	s_mov_b64 s[2:3], 0
.LBB32_72:                              ; =>This Inner Loop Header: Depth=1
	v_add_u32_e32 v12, -8, v7
	scratch_load_dwordx4 v[110:113], v12, off
	v_mov_b32_e32 v12, s10
	ds_read_b128 v[114:117], v12
	v_add_u32_e32 v6, -1, v6
	s_add_i32 s10, s10, 16
	v_cmp_eq_u32_e32 vcc, 0, v6
	v_add_u32_e32 v7, 16, v7
	s_or_b64 s[2:3], vcc, s[2:3]
	s_waitcnt vmcnt(0) lgkmcnt(0)
	v_mul_f64 v[12:13], v[116:117], v[112:113]
	v_mul_f64 v[112:113], v[114:115], v[112:113]
	v_fma_f64 v[12:13], v[114:115], v[110:111], -v[12:13]
	v_fmac_f64_e32 v[112:113], v[116:117], v[110:111]
	v_add_f64 v[2:3], v[2:3], v[12:13]
	v_add_f64 v[4:5], v[4:5], v[112:113]
	s_andn2_b64 exec, exec, s[2:3]
	s_cbranch_execnz .LBB32_72
; %bb.73:
	s_or_b64 exec, exec, s[2:3]
.LBB32_74:
	s_or_b64 exec, exec, s[8:9]
	v_mov_b32_e32 v6, 0
	ds_read_b128 v[110:113], v6 offset:368
	s_waitcnt lgkmcnt(0)
	v_mul_f64 v[6:7], v[4:5], v[112:113]
	v_mul_f64 v[114:115], v[2:3], v[112:113]
	v_fma_f64 v[112:113], v[2:3], v[110:111], -v[6:7]
	v_fmac_f64_e32 v[114:115], v[4:5], v[110:111]
	scratch_store_dwordx4 off, v[112:115], off offset:368
.LBB32_75:
	s_or_b64 exec, exec, s[4:5]
	scratch_load_dwordx4 v[2:5], v89, off
	v_cmp_lt_u32_e64 s[2:3], 22, v0
	s_waitcnt vmcnt(0)
	ds_write_b128 v11, v[2:5]
	s_waitcnt lgkmcnt(0)
	; wave barrier
	s_waitcnt lgkmcnt(0)
	s_and_saveexec_b64 s[4:5], s[2:3]
	s_cbranch_execz .LBB32_83
; %bb.76:
	ds_read_b128 v[2:5], v11
	s_andn2_b64 vcc, exec, s[6:7]
	s_cbranch_vccnz .LBB32_78
; %bb.77:
	scratch_load_dwordx4 v[110:113], v10, off
	s_waitcnt vmcnt(0) lgkmcnt(0)
	v_mul_f64 v[12:13], v[2:3], v[112:113]
	v_mul_f64 v[6:7], v[4:5], v[112:113]
	v_fmac_f64_e32 v[12:13], v[4:5], v[110:111]
	v_fma_f64 v[2:3], v[2:3], v[110:111], -v[6:7]
	v_mov_b64_e32 v[4:5], v[12:13]
.LBB32_78:
	s_and_saveexec_b64 s[8:9], s[0:1]
	s_cbranch_execz .LBB32_82
; %bb.79:
	v_mov_b32_e32 v7, 0
	v_subrev_u32_e32 v6, 23, v0
	v_add_u32_e32 v7, 0x178, v7
	s_movk_i32 s10, 0x380
	s_mov_b64 s[0:1], 0
.LBB32_80:                              ; =>This Inner Loop Header: Depth=1
	v_add_u32_e32 v12, -8, v7
	scratch_load_dwordx4 v[110:113], v12, off
	v_mov_b32_e32 v12, s10
	ds_read_b128 v[114:117], v12
	v_add_u32_e32 v6, -1, v6
	s_add_i32 s10, s10, 16
	v_cmp_eq_u32_e32 vcc, 0, v6
	v_add_u32_e32 v7, 16, v7
	s_or_b64 s[0:1], vcc, s[0:1]
	s_waitcnt vmcnt(0) lgkmcnt(0)
	v_mul_f64 v[12:13], v[116:117], v[112:113]
	v_mul_f64 v[112:113], v[114:115], v[112:113]
	v_fma_f64 v[12:13], v[114:115], v[110:111], -v[12:13]
	v_fmac_f64_e32 v[112:113], v[116:117], v[110:111]
	v_add_f64 v[2:3], v[2:3], v[12:13]
	v_add_f64 v[4:5], v[4:5], v[112:113]
	s_andn2_b64 exec, exec, s[0:1]
	s_cbranch_execnz .LBB32_80
; %bb.81:
	s_or_b64 exec, exec, s[0:1]
.LBB32_82:
	s_or_b64 exec, exec, s[8:9]
	v_mov_b32_e32 v6, 0
	ds_read_b128 v[110:113], v6 offset:352
	s_waitcnt lgkmcnt(0)
	v_mul_f64 v[6:7], v[4:5], v[112:113]
	v_mul_f64 v[114:115], v[2:3], v[112:113]
	v_fma_f64 v[112:113], v[2:3], v[110:111], -v[6:7]
	v_fmac_f64_e32 v[114:115], v[4:5], v[110:111]
	scratch_store_dwordx4 off, v[112:115], off offset:352
.LBB32_83:
	s_or_b64 exec, exec, s[4:5]
	scratch_load_dwordx4 v[2:5], v88, off
	v_cmp_lt_u32_e64 s[0:1], 21, v0
	s_waitcnt vmcnt(0)
	ds_write_b128 v11, v[2:5]
	s_waitcnt lgkmcnt(0)
	; wave barrier
	s_waitcnt lgkmcnt(0)
	s_and_saveexec_b64 s[4:5], s[0:1]
	s_cbranch_execz .LBB32_91
; %bb.84:
	ds_read_b128 v[2:5], v11
	s_andn2_b64 vcc, exec, s[6:7]
	s_cbranch_vccnz .LBB32_86
; %bb.85:
	scratch_load_dwordx4 v[110:113], v10, off
	s_waitcnt vmcnt(0) lgkmcnt(0)
	v_mul_f64 v[12:13], v[2:3], v[112:113]
	v_mul_f64 v[6:7], v[4:5], v[112:113]
	v_fmac_f64_e32 v[12:13], v[4:5], v[110:111]
	v_fma_f64 v[2:3], v[2:3], v[110:111], -v[6:7]
	v_mov_b64_e32 v[4:5], v[12:13]
.LBB32_86:
	s_and_saveexec_b64 s[8:9], s[2:3]
	s_cbranch_execz .LBB32_90
; %bb.87:
	v_mov_b32_e32 v7, 0
	v_subrev_u32_e32 v6, 22, v0
	v_add_u32_e32 v7, 0x168, v7
	s_movk_i32 s10, 0x370
	s_mov_b64 s[2:3], 0
.LBB32_88:                              ; =>This Inner Loop Header: Depth=1
	v_add_u32_e32 v12, -8, v7
	scratch_load_dwordx4 v[110:113], v12, off
	v_mov_b32_e32 v12, s10
	ds_read_b128 v[114:117], v12
	v_add_u32_e32 v6, -1, v6
	s_add_i32 s10, s10, 16
	v_cmp_eq_u32_e32 vcc, 0, v6
	v_add_u32_e32 v7, 16, v7
	s_or_b64 s[2:3], vcc, s[2:3]
	s_waitcnt vmcnt(0) lgkmcnt(0)
	v_mul_f64 v[12:13], v[116:117], v[112:113]
	v_mul_f64 v[112:113], v[114:115], v[112:113]
	v_fma_f64 v[12:13], v[114:115], v[110:111], -v[12:13]
	v_fmac_f64_e32 v[112:113], v[116:117], v[110:111]
	v_add_f64 v[2:3], v[2:3], v[12:13]
	v_add_f64 v[4:5], v[4:5], v[112:113]
	s_andn2_b64 exec, exec, s[2:3]
	s_cbranch_execnz .LBB32_88
; %bb.89:
	s_or_b64 exec, exec, s[2:3]
.LBB32_90:
	s_or_b64 exec, exec, s[8:9]
	v_mov_b32_e32 v6, 0
	ds_read_b128 v[110:113], v6 offset:336
	s_waitcnt lgkmcnt(0)
	v_mul_f64 v[6:7], v[4:5], v[112:113]
	v_mul_f64 v[114:115], v[2:3], v[112:113]
	v_fma_f64 v[112:113], v[2:3], v[110:111], -v[6:7]
	v_fmac_f64_e32 v[114:115], v[4:5], v[110:111]
	scratch_store_dwordx4 off, v[112:115], off offset:336
.LBB32_91:
	s_or_b64 exec, exec, s[4:5]
	scratch_load_dwordx4 v[2:5], v91, off
	v_cmp_lt_u32_e64 s[2:3], 20, v0
	s_waitcnt vmcnt(0)
	ds_write_b128 v11, v[2:5]
	s_waitcnt lgkmcnt(0)
	; wave barrier
	s_waitcnt lgkmcnt(0)
	s_and_saveexec_b64 s[4:5], s[2:3]
	s_cbranch_execz .LBB32_99
; %bb.92:
	ds_read_b128 v[2:5], v11
	s_andn2_b64 vcc, exec, s[6:7]
	s_cbranch_vccnz .LBB32_94
; %bb.93:
	scratch_load_dwordx4 v[110:113], v10, off
	s_waitcnt vmcnt(0) lgkmcnt(0)
	v_mul_f64 v[12:13], v[2:3], v[112:113]
	v_mul_f64 v[6:7], v[4:5], v[112:113]
	v_fmac_f64_e32 v[12:13], v[4:5], v[110:111]
	v_fma_f64 v[2:3], v[2:3], v[110:111], -v[6:7]
	v_mov_b64_e32 v[4:5], v[12:13]
.LBB32_94:
	s_and_saveexec_b64 s[8:9], s[0:1]
	s_cbranch_execz .LBB32_98
; %bb.95:
	v_mov_b32_e32 v7, 0
	v_subrev_u32_e32 v6, 21, v0
	v_add_u32_e32 v7, 0x158, v7
	s_movk_i32 s10, 0x360
	s_mov_b64 s[0:1], 0
.LBB32_96:                              ; =>This Inner Loop Header: Depth=1
	v_add_u32_e32 v12, -8, v7
	scratch_load_dwordx4 v[110:113], v12, off
	v_mov_b32_e32 v12, s10
	ds_read_b128 v[114:117], v12
	v_add_u32_e32 v6, -1, v6
	s_add_i32 s10, s10, 16
	v_cmp_eq_u32_e32 vcc, 0, v6
	v_add_u32_e32 v7, 16, v7
	s_or_b64 s[0:1], vcc, s[0:1]
	s_waitcnt vmcnt(0) lgkmcnt(0)
	v_mul_f64 v[12:13], v[116:117], v[112:113]
	v_mul_f64 v[112:113], v[114:115], v[112:113]
	v_fma_f64 v[12:13], v[114:115], v[110:111], -v[12:13]
	v_fmac_f64_e32 v[112:113], v[116:117], v[110:111]
	v_add_f64 v[2:3], v[2:3], v[12:13]
	v_add_f64 v[4:5], v[4:5], v[112:113]
	s_andn2_b64 exec, exec, s[0:1]
	s_cbranch_execnz .LBB32_96
; %bb.97:
	s_or_b64 exec, exec, s[0:1]
.LBB32_98:
	s_or_b64 exec, exec, s[8:9]
	v_mov_b32_e32 v6, 0
	ds_read_b128 v[110:113], v6 offset:320
	s_waitcnt lgkmcnt(0)
	v_mul_f64 v[6:7], v[4:5], v[112:113]
	v_mul_f64 v[114:115], v[2:3], v[112:113]
	v_fma_f64 v[112:113], v[2:3], v[110:111], -v[6:7]
	v_fmac_f64_e32 v[114:115], v[4:5], v[110:111]
	scratch_store_dwordx4 off, v[112:115], off offset:320
.LBB32_99:
	s_or_b64 exec, exec, s[4:5]
	scratch_load_dwordx4 v[2:5], v90, off
	v_cmp_lt_u32_e64 s[0:1], 19, v0
	s_waitcnt vmcnt(0)
	ds_write_b128 v11, v[2:5]
	s_waitcnt lgkmcnt(0)
	; wave barrier
	s_waitcnt lgkmcnt(0)
	s_and_saveexec_b64 s[4:5], s[0:1]
	s_cbranch_execz .LBB32_107
; %bb.100:
	ds_read_b128 v[2:5], v11
	s_andn2_b64 vcc, exec, s[6:7]
	s_cbranch_vccnz .LBB32_102
; %bb.101:
	scratch_load_dwordx4 v[110:113], v10, off
	s_waitcnt vmcnt(0) lgkmcnt(0)
	v_mul_f64 v[12:13], v[2:3], v[112:113]
	v_mul_f64 v[6:7], v[4:5], v[112:113]
	v_fmac_f64_e32 v[12:13], v[4:5], v[110:111]
	v_fma_f64 v[2:3], v[2:3], v[110:111], -v[6:7]
	v_mov_b64_e32 v[4:5], v[12:13]
.LBB32_102:
	s_and_saveexec_b64 s[8:9], s[2:3]
	s_cbranch_execz .LBB32_106
; %bb.103:
	v_mov_b32_e32 v7, 0
	v_subrev_u32_e32 v6, 20, v0
	v_add_u32_e32 v7, 0x148, v7
	s_movk_i32 s10, 0x350
	s_mov_b64 s[2:3], 0
.LBB32_104:                             ; =>This Inner Loop Header: Depth=1
	v_add_u32_e32 v12, -8, v7
	scratch_load_dwordx4 v[110:113], v12, off
	v_mov_b32_e32 v12, s10
	ds_read_b128 v[114:117], v12
	v_add_u32_e32 v6, -1, v6
	s_add_i32 s10, s10, 16
	v_cmp_eq_u32_e32 vcc, 0, v6
	v_add_u32_e32 v7, 16, v7
	s_or_b64 s[2:3], vcc, s[2:3]
	s_waitcnt vmcnt(0) lgkmcnt(0)
	v_mul_f64 v[12:13], v[116:117], v[112:113]
	v_mul_f64 v[112:113], v[114:115], v[112:113]
	v_fma_f64 v[12:13], v[114:115], v[110:111], -v[12:13]
	v_fmac_f64_e32 v[112:113], v[116:117], v[110:111]
	v_add_f64 v[2:3], v[2:3], v[12:13]
	v_add_f64 v[4:5], v[4:5], v[112:113]
	s_andn2_b64 exec, exec, s[2:3]
	s_cbranch_execnz .LBB32_104
; %bb.105:
	s_or_b64 exec, exec, s[2:3]
.LBB32_106:
	s_or_b64 exec, exec, s[8:9]
	v_mov_b32_e32 v6, 0
	ds_read_b128 v[110:113], v6 offset:304
	s_waitcnt lgkmcnt(0)
	v_mul_f64 v[6:7], v[4:5], v[112:113]
	v_mul_f64 v[114:115], v[2:3], v[112:113]
	v_fma_f64 v[112:113], v[2:3], v[110:111], -v[6:7]
	v_fmac_f64_e32 v[114:115], v[4:5], v[110:111]
	scratch_store_dwordx4 off, v[112:115], off offset:304
.LBB32_107:
	s_or_b64 exec, exec, s[4:5]
	scratch_load_dwordx4 v[2:5], v93, off
	v_cmp_lt_u32_e64 s[2:3], 18, v0
	s_waitcnt vmcnt(0)
	ds_write_b128 v11, v[2:5]
	s_waitcnt lgkmcnt(0)
	; wave barrier
	s_waitcnt lgkmcnt(0)
	s_and_saveexec_b64 s[4:5], s[2:3]
	s_cbranch_execz .LBB32_115
; %bb.108:
	ds_read_b128 v[2:5], v11
	s_andn2_b64 vcc, exec, s[6:7]
	s_cbranch_vccnz .LBB32_110
; %bb.109:
	scratch_load_dwordx4 v[110:113], v10, off
	s_waitcnt vmcnt(0) lgkmcnt(0)
	v_mul_f64 v[12:13], v[2:3], v[112:113]
	v_mul_f64 v[6:7], v[4:5], v[112:113]
	v_fmac_f64_e32 v[12:13], v[4:5], v[110:111]
	v_fma_f64 v[2:3], v[2:3], v[110:111], -v[6:7]
	v_mov_b64_e32 v[4:5], v[12:13]
.LBB32_110:
	s_and_saveexec_b64 s[8:9], s[0:1]
	s_cbranch_execz .LBB32_114
; %bb.111:
	v_mov_b32_e32 v7, 0
	v_subrev_u32_e32 v6, 19, v0
	v_add_u32_e32 v7, 0x138, v7
	s_movk_i32 s10, 0x340
	s_mov_b64 s[0:1], 0
.LBB32_112:                             ; =>This Inner Loop Header: Depth=1
	v_add_u32_e32 v12, -8, v7
	scratch_load_dwordx4 v[110:113], v12, off
	v_mov_b32_e32 v12, s10
	ds_read_b128 v[114:117], v12
	v_add_u32_e32 v6, -1, v6
	s_add_i32 s10, s10, 16
	v_cmp_eq_u32_e32 vcc, 0, v6
	v_add_u32_e32 v7, 16, v7
	s_or_b64 s[0:1], vcc, s[0:1]
	s_waitcnt vmcnt(0) lgkmcnt(0)
	v_mul_f64 v[12:13], v[116:117], v[112:113]
	v_mul_f64 v[112:113], v[114:115], v[112:113]
	v_fma_f64 v[12:13], v[114:115], v[110:111], -v[12:13]
	v_fmac_f64_e32 v[112:113], v[116:117], v[110:111]
	v_add_f64 v[2:3], v[2:3], v[12:13]
	v_add_f64 v[4:5], v[4:5], v[112:113]
	s_andn2_b64 exec, exec, s[0:1]
	s_cbranch_execnz .LBB32_112
; %bb.113:
	s_or_b64 exec, exec, s[0:1]
.LBB32_114:
	s_or_b64 exec, exec, s[8:9]
	v_mov_b32_e32 v6, 0
	ds_read_b128 v[110:113], v6 offset:288
	s_waitcnt lgkmcnt(0)
	v_mul_f64 v[6:7], v[4:5], v[112:113]
	v_mul_f64 v[114:115], v[2:3], v[112:113]
	v_fma_f64 v[112:113], v[2:3], v[110:111], -v[6:7]
	v_fmac_f64_e32 v[114:115], v[4:5], v[110:111]
	scratch_store_dwordx4 off, v[112:115], off offset:288
.LBB32_115:
	;; [unrolled: 63-line block ×4, first 2 shown]
	s_or_b64 exec, exec, s[4:5]
	scratch_load_dwordx4 v[2:5], v95, off
	v_cmp_lt_u32_e64 s[0:1], 15, v0
	s_waitcnt vmcnt(0)
	ds_write_b128 v11, v[2:5]
	s_waitcnt lgkmcnt(0)
	; wave barrier
	s_waitcnt lgkmcnt(0)
	s_and_saveexec_b64 s[4:5], s[0:1]
	s_cbranch_execz .LBB32_139
; %bb.132:
	ds_read_b128 v[2:5], v11
	s_andn2_b64 vcc, exec, s[6:7]
	s_cbranch_vccnz .LBB32_134
; %bb.133:
	scratch_load_dwordx4 v[110:113], v10, off
	s_waitcnt vmcnt(0) lgkmcnt(0)
	v_mul_f64 v[12:13], v[2:3], v[112:113]
	v_mul_f64 v[6:7], v[4:5], v[112:113]
	v_fmac_f64_e32 v[12:13], v[4:5], v[110:111]
	v_fma_f64 v[2:3], v[2:3], v[110:111], -v[6:7]
	v_mov_b64_e32 v[4:5], v[12:13]
.LBB32_134:
	s_and_saveexec_b64 s[8:9], s[2:3]
	s_cbranch_execz .LBB32_138
; %bb.135:
	v_mov_b32_e32 v7, 0
	v_add_u32_e32 v6, -16, v0
	v_add_u32_e32 v7, 0x108, v7
	s_movk_i32 s10, 0x310
	s_mov_b64 s[2:3], 0
.LBB32_136:                             ; =>This Inner Loop Header: Depth=1
	v_add_u32_e32 v12, -8, v7
	scratch_load_dwordx4 v[110:113], v12, off
	v_mov_b32_e32 v12, s10
	ds_read_b128 v[114:117], v12
	v_add_u32_e32 v6, -1, v6
	s_add_i32 s10, s10, 16
	v_cmp_eq_u32_e32 vcc, 0, v6
	v_add_u32_e32 v7, 16, v7
	s_or_b64 s[2:3], vcc, s[2:3]
	s_waitcnt vmcnt(0) lgkmcnt(0)
	v_mul_f64 v[12:13], v[116:117], v[112:113]
	v_mul_f64 v[112:113], v[114:115], v[112:113]
	v_fma_f64 v[12:13], v[114:115], v[110:111], -v[12:13]
	v_fmac_f64_e32 v[112:113], v[116:117], v[110:111]
	v_add_f64 v[2:3], v[2:3], v[12:13]
	v_add_f64 v[4:5], v[4:5], v[112:113]
	s_andn2_b64 exec, exec, s[2:3]
	s_cbranch_execnz .LBB32_136
; %bb.137:
	s_or_b64 exec, exec, s[2:3]
.LBB32_138:
	s_or_b64 exec, exec, s[8:9]
	v_mov_b32_e32 v6, 0
	ds_read_b128 v[110:113], v6 offset:240
	s_waitcnt lgkmcnt(0)
	v_mul_f64 v[6:7], v[4:5], v[112:113]
	v_mul_f64 v[114:115], v[2:3], v[112:113]
	v_fma_f64 v[112:113], v[2:3], v[110:111], -v[6:7]
	v_fmac_f64_e32 v[114:115], v[4:5], v[110:111]
	scratch_store_dwordx4 off, v[112:115], off offset:240
.LBB32_139:
	s_or_b64 exec, exec, s[4:5]
	scratch_load_dwordx4 v[2:5], v96, off
	v_cmp_lt_u32_e64 s[2:3], 14, v0
	s_waitcnt vmcnt(0)
	ds_write_b128 v11, v[2:5]
	s_waitcnt lgkmcnt(0)
	; wave barrier
	s_waitcnt lgkmcnt(0)
	s_and_saveexec_b64 s[4:5], s[2:3]
	s_cbranch_execz .LBB32_147
; %bb.140:
	ds_read_b128 v[2:5], v11
	s_andn2_b64 vcc, exec, s[6:7]
	s_cbranch_vccnz .LBB32_142
; %bb.141:
	scratch_load_dwordx4 v[110:113], v10, off
	s_waitcnt vmcnt(0) lgkmcnt(0)
	v_mul_f64 v[12:13], v[2:3], v[112:113]
	v_mul_f64 v[6:7], v[4:5], v[112:113]
	v_fmac_f64_e32 v[12:13], v[4:5], v[110:111]
	v_fma_f64 v[2:3], v[2:3], v[110:111], -v[6:7]
	v_mov_b64_e32 v[4:5], v[12:13]
.LBB32_142:
	s_and_saveexec_b64 s[8:9], s[0:1]
	s_cbranch_execz .LBB32_146
; %bb.143:
	v_mov_b32_e32 v7, 0
	v_add_u32_e32 v6, -15, v0
	v_add_u32_e32 v7, 0xf8, v7
	s_movk_i32 s10, 0x300
	s_mov_b64 s[0:1], 0
.LBB32_144:                             ; =>This Inner Loop Header: Depth=1
	v_add_u32_e32 v12, -8, v7
	scratch_load_dwordx4 v[110:113], v12, off
	v_mov_b32_e32 v12, s10
	ds_read_b128 v[114:117], v12
	v_add_u32_e32 v6, -1, v6
	s_add_i32 s10, s10, 16
	v_cmp_eq_u32_e32 vcc, 0, v6
	v_add_u32_e32 v7, 16, v7
	s_or_b64 s[0:1], vcc, s[0:1]
	s_waitcnt vmcnt(0) lgkmcnt(0)
	v_mul_f64 v[12:13], v[116:117], v[112:113]
	v_mul_f64 v[112:113], v[114:115], v[112:113]
	v_fma_f64 v[12:13], v[114:115], v[110:111], -v[12:13]
	v_fmac_f64_e32 v[112:113], v[116:117], v[110:111]
	v_add_f64 v[2:3], v[2:3], v[12:13]
	v_add_f64 v[4:5], v[4:5], v[112:113]
	s_andn2_b64 exec, exec, s[0:1]
	s_cbranch_execnz .LBB32_144
; %bb.145:
	s_or_b64 exec, exec, s[0:1]
.LBB32_146:
	s_or_b64 exec, exec, s[8:9]
	v_mov_b32_e32 v6, 0
	ds_read_b128 v[110:113], v6 offset:224
	s_waitcnt lgkmcnt(0)
	v_mul_f64 v[6:7], v[4:5], v[112:113]
	v_mul_f64 v[114:115], v[2:3], v[112:113]
	v_fma_f64 v[112:113], v[2:3], v[110:111], -v[6:7]
	v_fmac_f64_e32 v[114:115], v[4:5], v[110:111]
	scratch_store_dwordx4 off, v[112:115], off offset:224
.LBB32_147:
	;; [unrolled: 63-line block ×15, first 2 shown]
	s_or_b64 exec, exec, s[4:5]
	scratch_load_dwordx4 v[2:5], off, off
	v_cmp_ne_u32_e32 vcc, 0, v0
	s_mov_b64 s[2:3], 0
	s_mov_b64 s[4:5], 0
                                        ; implicit-def: $vgpr6_vgpr7
                                        ; implicit-def: $vgpr12
	s_waitcnt vmcnt(0)
	ds_write_b128 v11, v[2:5]
	s_waitcnt lgkmcnt(0)
	; wave barrier
	s_waitcnt lgkmcnt(0)
	s_and_saveexec_b64 s[8:9], vcc
	s_cbranch_execz .LBB32_259
; %bb.252:
	ds_read_b128 v[2:5], v11
	s_andn2_b64 vcc, exec, s[6:7]
	s_cbranch_vccnz .LBB32_254
; %bb.253:
	scratch_load_dwordx4 v[110:113], v10, off
	s_waitcnt vmcnt(0) lgkmcnt(0)
	v_mul_f64 v[12:13], v[2:3], v[112:113]
	v_mul_f64 v[6:7], v[4:5], v[112:113]
	v_fmac_f64_e32 v[12:13], v[4:5], v[110:111]
	v_fma_f64 v[2:3], v[2:3], v[110:111], -v[6:7]
	v_mov_b64_e32 v[4:5], v[12:13]
.LBB32_254:
	s_and_saveexec_b64 s[4:5], s[0:1]
	s_cbranch_execz .LBB32_258
; %bb.255:
	v_mov_b32_e32 v7, 0
	v_add_u32_e32 v6, -1, v0
	v_add_u32_e32 v7, 24, v7
	s_movk_i32 s10, 0x220
	s_mov_b64 s[0:1], 0
.LBB32_256:                             ; =>This Inner Loop Header: Depth=1
	v_add_u32_e32 v12, -8, v7
	scratch_load_dwordx4 v[110:113], v12, off
	v_mov_b32_e32 v12, s10
	ds_read_b128 v[114:117], v12
	v_add_u32_e32 v6, -1, v6
	s_add_i32 s10, s10, 16
	v_cmp_eq_u32_e32 vcc, 0, v6
	v_add_u32_e32 v7, 16, v7
	s_or_b64 s[0:1], vcc, s[0:1]
	s_waitcnt vmcnt(0) lgkmcnt(0)
	v_mul_f64 v[12:13], v[116:117], v[112:113]
	v_mul_f64 v[112:113], v[114:115], v[112:113]
	v_fma_f64 v[12:13], v[114:115], v[110:111], -v[12:13]
	v_fmac_f64_e32 v[112:113], v[116:117], v[110:111]
	v_add_f64 v[2:3], v[2:3], v[12:13]
	v_add_f64 v[4:5], v[4:5], v[112:113]
	s_andn2_b64 exec, exec, s[0:1]
	s_cbranch_execnz .LBB32_256
; %bb.257:
	s_or_b64 exec, exec, s[0:1]
.LBB32_258:
	s_or_b64 exec, exec, s[4:5]
	v_mov_b32_e32 v6, 0
	ds_read_b128 v[110:113], v6
	v_mov_b32_e32 v6, 0
	v_or_b32_e32 v12, 8, v6
	s_mov_b64 s[4:5], exec
	s_waitcnt lgkmcnt(0)
	v_mul_f64 v[114:115], v[4:5], v[112:113]
	v_mul_f64 v[6:7], v[2:3], v[112:113]
	v_fma_f64 v[2:3], v[2:3], v[110:111], -v[114:115]
	v_fmac_f64_e32 v[6:7], v[4:5], v[110:111]
	scratch_store_dwordx2 off, v[2:3], off
.LBB32_259:
	s_or_b64 exec, exec, s[8:9]
	s_and_b64 vcc, exec, s[2:3]
	s_cbranch_vccnz .LBB32_261
	s_branch .LBB32_512
.LBB32_260:
	s_mov_b64 s[4:5], 0
                                        ; implicit-def: $vgpr6_vgpr7
                                        ; implicit-def: $vgpr12
	s_cbranch_execz .LBB32_512
.LBB32_261:
	scratch_load_dwordx4 v[2:5], v104, off
	v_cndmask_b32_e64 v6, 0, 1, s[6:7]
	v_cmp_eq_u32_e64 s[2:3], 0, v0
	v_cmp_ne_u32_e64 s[0:1], 1, v6
	s_waitcnt vmcnt(0)
	ds_write_b128 v11, v[2:5]
	s_waitcnt lgkmcnt(0)
	; wave barrier
	s_waitcnt lgkmcnt(0)
	s_and_saveexec_b64 s[6:7], s[2:3]
	s_cbranch_execz .LBB32_265
; %bb.262:
	ds_read_b128 v[2:5], v11
	s_and_b64 vcc, exec, s[0:1]
	s_cbranch_vccnz .LBB32_264
; %bb.263:
	scratch_load_dwordx4 v[110:113], v10, off
	s_waitcnt vmcnt(0) lgkmcnt(0)
	v_mul_f64 v[12:13], v[2:3], v[112:113]
	v_mul_f64 v[6:7], v[4:5], v[112:113]
	v_fmac_f64_e32 v[12:13], v[4:5], v[110:111]
	v_fma_f64 v[2:3], v[2:3], v[110:111], -v[6:7]
	v_mov_b64_e32 v[4:5], v[12:13]
.LBB32_264:
	v_mov_b32_e32 v6, 0
	ds_read_b128 v[110:113], v6 offset:16
	s_waitcnt lgkmcnt(0)
	v_mul_f64 v[6:7], v[4:5], v[112:113]
	v_mul_f64 v[114:115], v[2:3], v[112:113]
	v_fma_f64 v[112:113], v[2:3], v[110:111], -v[6:7]
	v_fmac_f64_e32 v[114:115], v[4:5], v[110:111]
	scratch_store_dwordx4 off, v[112:115], off offset:16
.LBB32_265:
	s_or_b64 exec, exec, s[6:7]
	scratch_load_dwordx4 v[2:5], v103, off
	v_cmp_gt_u32_e32 vcc, 2, v0
	s_waitcnt vmcnt(0)
	ds_write_b128 v11, v[2:5]
	s_waitcnt lgkmcnt(0)
	; wave barrier
	s_waitcnt lgkmcnt(0)
	s_and_saveexec_b64 s[6:7], vcc
	s_cbranch_execz .LBB32_271
; %bb.266:
	ds_read_b128 v[2:5], v11
	s_and_b64 vcc, exec, s[0:1]
	s_cbranch_vccnz .LBB32_268
; %bb.267:
	scratch_load_dwordx4 v[110:113], v10, off
	s_waitcnt vmcnt(0) lgkmcnt(0)
	v_mul_f64 v[12:13], v[2:3], v[112:113]
	v_mul_f64 v[6:7], v[4:5], v[112:113]
	v_fmac_f64_e32 v[12:13], v[4:5], v[110:111]
	v_fma_f64 v[2:3], v[2:3], v[110:111], -v[6:7]
	v_mov_b64_e32 v[4:5], v[12:13]
.LBB32_268:
	s_and_saveexec_b64 s[8:9], s[2:3]
	s_cbranch_execz .LBB32_270
; %bb.269:
	scratch_load_dwordx4 v[110:113], v10, off offset:16
	ds_read_b128 v[114:117], v11 offset:16
	s_waitcnt vmcnt(0) lgkmcnt(0)
	v_mul_f64 v[6:7], v[116:117], v[112:113]
	v_mul_f64 v[12:13], v[114:115], v[112:113]
	v_fma_f64 v[6:7], v[114:115], v[110:111], -v[6:7]
	v_fmac_f64_e32 v[12:13], v[116:117], v[110:111]
	v_add_f64 v[2:3], v[2:3], v[6:7]
	v_add_f64 v[4:5], v[4:5], v[12:13]
.LBB32_270:
	s_or_b64 exec, exec, s[8:9]
	v_mov_b32_e32 v6, 0
	ds_read_b128 v[110:113], v6 offset:32
	s_waitcnt lgkmcnt(0)
	v_mul_f64 v[6:7], v[4:5], v[112:113]
	v_mul_f64 v[114:115], v[2:3], v[112:113]
	v_fma_f64 v[112:113], v[2:3], v[110:111], -v[6:7]
	v_fmac_f64_e32 v[114:115], v[4:5], v[110:111]
	scratch_store_dwordx4 off, v[112:115], off offset:32
.LBB32_271:
	s_or_b64 exec, exec, s[6:7]
	scratch_load_dwordx4 v[2:5], v106, off
	v_cmp_gt_u32_e32 vcc, 3, v0
	s_waitcnt vmcnt(0)
	ds_write_b128 v11, v[2:5]
	s_waitcnt lgkmcnt(0)
	; wave barrier
	s_waitcnt lgkmcnt(0)
	s_and_saveexec_b64 s[6:7], vcc
	s_cbranch_execz .LBB32_279
; %bb.272:
	ds_read_b128 v[2:5], v11
	s_and_b64 vcc, exec, s[0:1]
	s_cbranch_vccnz .LBB32_274
; %bb.273:
	scratch_load_dwordx4 v[110:113], v10, off
	s_waitcnt vmcnt(0) lgkmcnt(0)
	v_mul_f64 v[12:13], v[2:3], v[112:113]
	v_mul_f64 v[6:7], v[4:5], v[112:113]
	v_fmac_f64_e32 v[12:13], v[4:5], v[110:111]
	v_fma_f64 v[2:3], v[2:3], v[110:111], -v[6:7]
	v_mov_b64_e32 v[4:5], v[12:13]
.LBB32_274:
	v_cmp_ne_u32_e32 vcc, 2, v0
	s_and_saveexec_b64 s[8:9], vcc
	s_cbranch_execz .LBB32_278
; %bb.275:
	scratch_load_dwordx4 v[110:113], v10, off offset:16
	ds_read_b128 v[114:117], v11 offset:16
	s_waitcnt vmcnt(0) lgkmcnt(0)
	v_mul_f64 v[6:7], v[116:117], v[112:113]
	v_mul_f64 v[12:13], v[114:115], v[112:113]
	v_fma_f64 v[6:7], v[114:115], v[110:111], -v[6:7]
	v_fmac_f64_e32 v[12:13], v[116:117], v[110:111]
	v_add_f64 v[2:3], v[2:3], v[6:7]
	v_add_f64 v[4:5], v[4:5], v[12:13]
	s_and_saveexec_b64 s[10:11], s[2:3]
	s_cbranch_execz .LBB32_277
; %bb.276:
	scratch_load_dwordx4 v[110:113], off, off offset:32
	v_mov_b32_e32 v6, 0
	ds_read_b128 v[114:117], v6 offset:560
	s_waitcnt vmcnt(0) lgkmcnt(0)
	v_mul_f64 v[6:7], v[114:115], v[112:113]
	v_mul_f64 v[12:13], v[116:117], v[112:113]
	v_fmac_f64_e32 v[6:7], v[116:117], v[110:111]
	v_fma_f64 v[12:13], v[114:115], v[110:111], -v[12:13]
	v_add_f64 v[4:5], v[4:5], v[6:7]
	v_add_f64 v[2:3], v[2:3], v[12:13]
.LBB32_277:
	s_or_b64 exec, exec, s[10:11]
.LBB32_278:
	s_or_b64 exec, exec, s[8:9]
	v_mov_b32_e32 v6, 0
	ds_read_b128 v[110:113], v6 offset:48
	s_waitcnt lgkmcnt(0)
	v_mul_f64 v[6:7], v[4:5], v[112:113]
	v_mul_f64 v[114:115], v[2:3], v[112:113]
	v_fma_f64 v[112:113], v[2:3], v[110:111], -v[6:7]
	v_fmac_f64_e32 v[114:115], v[4:5], v[110:111]
	scratch_store_dwordx4 off, v[112:115], off offset:48
.LBB32_279:
	s_or_b64 exec, exec, s[6:7]
	scratch_load_dwordx4 v[2:5], v108, off
	v_cmp_gt_u32_e32 vcc, 4, v0
	s_waitcnt vmcnt(0)
	ds_write_b128 v11, v[2:5]
	s_waitcnt lgkmcnt(0)
	; wave barrier
	s_waitcnt lgkmcnt(0)
	s_and_saveexec_b64 s[2:3], vcc
	s_cbranch_execz .LBB32_287
; %bb.280:
	ds_read_b128 v[2:5], v11
	s_and_b64 vcc, exec, s[0:1]
	s_cbranch_vccnz .LBB32_282
; %bb.281:
	scratch_load_dwordx4 v[110:113], v10, off
	s_waitcnt vmcnt(0) lgkmcnt(0)
	v_mul_f64 v[12:13], v[2:3], v[112:113]
	v_mul_f64 v[6:7], v[4:5], v[112:113]
	v_fmac_f64_e32 v[12:13], v[4:5], v[110:111]
	v_fma_f64 v[2:3], v[2:3], v[110:111], -v[6:7]
	v_mov_b64_e32 v[4:5], v[12:13]
.LBB32_282:
	v_cmp_ne_u32_e32 vcc, 3, v0
	s_and_saveexec_b64 s[6:7], vcc
	s_cbranch_execz .LBB32_286
; %bb.283:
	v_mov_b32_e32 v7, 0
	v_add_u32_e32 v6, 0x220, v58
	v_add3_u32 v7, v58, v7, 24
	s_mov_b64 s[8:9], 0
	v_mov_b32_e32 v12, v0
.LBB32_284:                             ; =>This Inner Loop Header: Depth=1
	v_add_u32_e32 v13, -8, v7
	scratch_load_dwordx4 v[110:113], v13, off
	ds_read_b128 v[114:117], v6
	v_add_u32_e32 v12, 1, v12
	v_cmp_lt_u32_e32 vcc, 2, v12
	v_add_u32_e32 v6, 16, v6
	v_add_u32_e32 v7, 16, v7
	s_or_b64 s[8:9], vcc, s[8:9]
	s_waitcnt vmcnt(0) lgkmcnt(0)
	v_mul_f64 v[118:119], v[116:117], v[112:113]
	v_mul_f64 v[112:113], v[114:115], v[112:113]
	v_fma_f64 v[114:115], v[114:115], v[110:111], -v[118:119]
	v_fmac_f64_e32 v[112:113], v[116:117], v[110:111]
	v_add_f64 v[2:3], v[2:3], v[114:115]
	v_add_f64 v[4:5], v[4:5], v[112:113]
	s_andn2_b64 exec, exec, s[8:9]
	s_cbranch_execnz .LBB32_284
; %bb.285:
	s_or_b64 exec, exec, s[8:9]
.LBB32_286:
	s_or_b64 exec, exec, s[6:7]
	v_mov_b32_e32 v6, 0
	ds_read_b128 v[110:113], v6 offset:64
	s_waitcnt lgkmcnt(0)
	v_mul_f64 v[6:7], v[4:5], v[112:113]
	v_mul_f64 v[114:115], v[2:3], v[112:113]
	v_fma_f64 v[112:113], v[2:3], v[110:111], -v[6:7]
	v_fmac_f64_e32 v[114:115], v[4:5], v[110:111]
	scratch_store_dwordx4 off, v[112:115], off offset:64
.LBB32_287:
	s_or_b64 exec, exec, s[2:3]
	scratch_load_dwordx4 v[2:5], v107, off
	v_cmp_gt_u32_e32 vcc, 5, v0
	s_waitcnt vmcnt(0)
	ds_write_b128 v11, v[2:5]
	s_waitcnt lgkmcnt(0)
	; wave barrier
	s_waitcnt lgkmcnt(0)
	s_and_saveexec_b64 s[2:3], vcc
	s_cbranch_execz .LBB32_295
; %bb.288:
	ds_read_b128 v[2:5], v11
	s_and_b64 vcc, exec, s[0:1]
	s_cbranch_vccnz .LBB32_290
; %bb.289:
	scratch_load_dwordx4 v[110:113], v10, off
	s_waitcnt vmcnt(0) lgkmcnt(0)
	v_mul_f64 v[12:13], v[2:3], v[112:113]
	v_mul_f64 v[6:7], v[4:5], v[112:113]
	v_fmac_f64_e32 v[12:13], v[4:5], v[110:111]
	v_fma_f64 v[2:3], v[2:3], v[110:111], -v[6:7]
	v_mov_b64_e32 v[4:5], v[12:13]
.LBB32_290:
	v_cmp_ne_u32_e32 vcc, 4, v0
	s_and_saveexec_b64 s[6:7], vcc
	s_cbranch_execz .LBB32_294
; %bb.291:
	v_mov_b32_e32 v7, 0
	v_add_u32_e32 v6, 0x220, v58
	v_add3_u32 v7, v58, v7, 24
	s_mov_b64 s[8:9], 0
	v_mov_b32_e32 v12, v0
.LBB32_292:                             ; =>This Inner Loop Header: Depth=1
	v_add_u32_e32 v13, -8, v7
	scratch_load_dwordx4 v[110:113], v13, off
	ds_read_b128 v[114:117], v6
	v_add_u32_e32 v12, 1, v12
	v_cmp_lt_u32_e32 vcc, 3, v12
	v_add_u32_e32 v6, 16, v6
	v_add_u32_e32 v7, 16, v7
	s_or_b64 s[8:9], vcc, s[8:9]
	s_waitcnt vmcnt(0) lgkmcnt(0)
	v_mul_f64 v[118:119], v[116:117], v[112:113]
	v_mul_f64 v[112:113], v[114:115], v[112:113]
	v_fma_f64 v[114:115], v[114:115], v[110:111], -v[118:119]
	v_fmac_f64_e32 v[112:113], v[116:117], v[110:111]
	v_add_f64 v[2:3], v[2:3], v[114:115]
	v_add_f64 v[4:5], v[4:5], v[112:113]
	s_andn2_b64 exec, exec, s[8:9]
	s_cbranch_execnz .LBB32_292
; %bb.293:
	s_or_b64 exec, exec, s[8:9]
.LBB32_294:
	s_or_b64 exec, exec, s[6:7]
	v_mov_b32_e32 v6, 0
	ds_read_b128 v[110:113], v6 offset:80
	s_waitcnt lgkmcnt(0)
	v_mul_f64 v[6:7], v[4:5], v[112:113]
	v_mul_f64 v[114:115], v[2:3], v[112:113]
	v_fma_f64 v[112:113], v[2:3], v[110:111], -v[6:7]
	v_fmac_f64_e32 v[114:115], v[4:5], v[110:111]
	scratch_store_dwordx4 off, v[112:115], off offset:80
.LBB32_295:
	;; [unrolled: 63-line block ×27, first 2 shown]
	s_or_b64 exec, exec, s[2:3]
	scratch_load_dwordx4 v[2:5], v1, off
	v_cmp_gt_u32_e64 s[2:3], 31, v0
	s_waitcnt vmcnt(0)
	ds_write_b128 v11, v[2:5]
	s_waitcnt lgkmcnt(0)
	; wave barrier
	s_waitcnt lgkmcnt(0)
	s_and_saveexec_b64 s[6:7], s[2:3]
	s_cbranch_execz .LBB32_503
; %bb.496:
	ds_read_b128 v[2:5], v11
	s_and_b64 vcc, exec, s[0:1]
	s_cbranch_vccnz .LBB32_498
; %bb.497:
	scratch_load_dwordx4 v[110:113], v10, off
	s_waitcnt vmcnt(0) lgkmcnt(0)
	v_mul_f64 v[12:13], v[2:3], v[112:113]
	v_mul_f64 v[6:7], v[4:5], v[112:113]
	v_fmac_f64_e32 v[12:13], v[4:5], v[110:111]
	v_fma_f64 v[2:3], v[2:3], v[110:111], -v[6:7]
	v_mov_b64_e32 v[4:5], v[12:13]
.LBB32_498:
	v_cmp_ne_u32_e32 vcc, 30, v0
	s_and_saveexec_b64 s[8:9], vcc
	s_cbranch_execz .LBB32_502
; %bb.499:
	v_mov_b32_e32 v7, 0
	v_add_u32_e32 v6, 0x220, v58
	v_add3_u32 v7, v58, v7, 24
	s_mov_b64 s[10:11], 0
	v_mov_b32_e32 v12, v0
.LBB32_500:                             ; =>This Inner Loop Header: Depth=1
	v_add_u32_e32 v13, -8, v7
	scratch_load_dwordx4 v[110:113], v13, off
	ds_read_b128 v[114:117], v6
	v_add_u32_e32 v12, 1, v12
	v_cmp_lt_u32_e32 vcc, 29, v12
	v_add_u32_e32 v6, 16, v6
	v_add_u32_e32 v7, 16, v7
	s_or_b64 s[10:11], vcc, s[10:11]
	s_waitcnt vmcnt(0) lgkmcnt(0)
	v_mul_f64 v[118:119], v[116:117], v[112:113]
	v_mul_f64 v[112:113], v[114:115], v[112:113]
	v_fma_f64 v[114:115], v[114:115], v[110:111], -v[118:119]
	v_fmac_f64_e32 v[112:113], v[116:117], v[110:111]
	v_add_f64 v[2:3], v[2:3], v[114:115]
	v_add_f64 v[4:5], v[4:5], v[112:113]
	s_andn2_b64 exec, exec, s[10:11]
	s_cbranch_execnz .LBB32_500
; %bb.501:
	s_or_b64 exec, exec, s[10:11]
.LBB32_502:
	s_or_b64 exec, exec, s[8:9]
	v_mov_b32_e32 v6, 0
	ds_read_b128 v[110:113], v6 offset:496
	s_waitcnt lgkmcnt(0)
	v_mul_f64 v[6:7], v[4:5], v[112:113]
	v_mul_f64 v[114:115], v[2:3], v[112:113]
	v_fma_f64 v[112:113], v[2:3], v[110:111], -v[6:7]
	v_fmac_f64_e32 v[114:115], v[4:5], v[110:111]
	scratch_store_dwordx4 off, v[112:115], off offset:496
.LBB32_503:
	s_or_b64 exec, exec, s[6:7]
	scratch_load_dwordx4 v[2:5], v8, off
	v_cmp_ne_u32_e32 vcc, 32, v0
                                        ; implicit-def: $vgpr6_vgpr7
                                        ; implicit-def: $vgpr12
	s_waitcnt vmcnt(0)
	ds_write_b128 v11, v[2:5]
	s_waitcnt lgkmcnt(0)
	; wave barrier
	s_waitcnt lgkmcnt(0)
	s_and_saveexec_b64 s[6:7], vcc
	s_cbranch_execz .LBB32_511
; %bb.504:
	ds_read_b128 v[2:5], v11
	s_and_b64 vcc, exec, s[0:1]
	s_cbranch_vccnz .LBB32_506
; %bb.505:
	scratch_load_dwordx4 v[10:13], v10, off
	s_waitcnt vmcnt(0) lgkmcnt(0)
	v_mul_f64 v[6:7], v[4:5], v[12:13]
	v_mul_f64 v[12:13], v[2:3], v[12:13]
	v_fmac_f64_e32 v[12:13], v[4:5], v[10:11]
	v_fma_f64 v[2:3], v[2:3], v[10:11], -v[6:7]
	v_mov_b64_e32 v[4:5], v[12:13]
.LBB32_506:
	s_and_saveexec_b64 s[0:1], s[2:3]
	s_cbranch_execz .LBB32_510
; %bb.507:
	v_mov_b32_e32 v7, 0
	v_add_u32_e32 v6, 0x220, v58
	v_add3_u32 v7, v58, v7, 24
	s_mov_b64 s[2:3], 0
.LBB32_508:                             ; =>This Inner Loop Header: Depth=1
	v_add_u32_e32 v10, -8, v7
	scratch_load_dwordx4 v[10:13], v10, off
	ds_read_b128 v[110:113], v6
	v_add_u32_e32 v0, 1, v0
	v_cmp_lt_u32_e32 vcc, 30, v0
	v_add_u32_e32 v6, 16, v6
	v_add_u32_e32 v7, 16, v7
	s_or_b64 s[2:3], vcc, s[2:3]
	s_waitcnt vmcnt(0) lgkmcnt(0)
	v_mul_f64 v[114:115], v[112:113], v[12:13]
	v_mul_f64 v[12:13], v[110:111], v[12:13]
	v_fma_f64 v[110:111], v[110:111], v[10:11], -v[114:115]
	v_fmac_f64_e32 v[12:13], v[112:113], v[10:11]
	v_add_f64 v[2:3], v[2:3], v[110:111]
	v_add_f64 v[4:5], v[4:5], v[12:13]
	s_andn2_b64 exec, exec, s[2:3]
	s_cbranch_execnz .LBB32_508
; %bb.509:
	s_or_b64 exec, exec, s[2:3]
.LBB32_510:
	s_or_b64 exec, exec, s[0:1]
	v_mov_b32_e32 v0, 0
	ds_read_b128 v[110:113], v0 offset:512
	v_mov_b32_e32 v0, 0
	v_add_u32_e32 v12, 0x208, v0
	s_or_b64 s[4:5], s[4:5], exec
	s_waitcnt lgkmcnt(0)
	v_mul_f64 v[10:11], v[4:5], v[112:113]
	v_mul_f64 v[6:7], v[2:3], v[112:113]
	v_fma_f64 v[2:3], v[2:3], v[110:111], -v[10:11]
	v_fmac_f64_e32 v[6:7], v[4:5], v[110:111]
	scratch_store_dwordx2 off, v[2:3], off offset:512
.LBB32_511:
	s_or_b64 exec, exec, s[6:7]
.LBB32_512:
	s_and_saveexec_b64 s[0:1], s[4:5]
	s_cbranch_execz .LBB32_514
; %bb.513:
	scratch_store_dwordx2 v12, v[6:7], off
.LBB32_514:
	s_or_b64 exec, exec, s[0:1]
	scratch_load_dwordx4 v[2:5], off, off
	scratch_load_dwordx4 v[10:13], v104, off
	scratch_load_dwordx4 v[110:113], v103, off
	;; [unrolled: 1-line block ×6, first 2 shown]
                                        ; kill: killed $vgpr108
                                        ; kill: killed $vgpr109
                                        ; kill: killed $vgpr104
                                        ; kill: killed $vgpr106
                                        ; kill: killed $vgpr107
                                        ; kill: killed $vgpr103
	s_nop 0
	scratch_load_dwordx4 v[104:107], v105, off
	s_waitcnt vmcnt(7)
	global_store_dwordx4 v[18:19], v[2:5], off
	scratch_load_dwordx4 v[2:5], v102, off
	s_nop 0
	scratch_load_dwordx4 v[130:133], v101, off
	s_waitcnt vmcnt(9)
	global_store_dwordx4 v[14:15], v[10:13], off
	scratch_load_dwordx4 v[10:13], v99, off
	;; [unrolled: 5-line block ×3, first 2 shown]
	s_waitcnt vmcnt(12)
	global_store_dwordx4 v[20:21], v[114:117], off
	scratch_load_dwordx4 v[18:21], v97, off
	s_nop 0
	scratch_load_dwordx4 v[98:101], v96, off
	s_waitcnt vmcnt(14)
	global_store_dwordx4 v[22:23], v[118:121], off
	scratch_load_dwordx4 v[108:111], v95, off
	scratch_load_dwordx4 v[112:115], v94, off
	s_waitcnt vmcnt(16)
	global_store_dwordx4 v[24:25], v[122:125], off
	scratch_load_dwordx4 v[22:25], v92, off
	s_nop 0
	scratch_load_dwordx4 v[94:97], v93, off
	s_waitcnt vmcnt(18)
	global_store_dwordx4 v[26:27], v[126:129], off
	scratch_load_dwordx4 v[116:119], v90, off
	scratch_load_dwordx4 v[120:123], v91, off
	s_waitcnt vmcnt(20)
	global_store_dwordx4 v[28:29], v[104:107], off
	scratch_load_dwordx4 v[26:29], v88, off
	s_nop 0
	scratch_load_dwordx4 v[90:93], v89, off
	s_waitcnt vmcnt(21)
	global_store_dwordx4 v[30:31], v[2:5], off
	scratch_load_dwordx4 v[2:5], v87, off
	s_nop 0
	;; [unrolled: 5-line block ×6, first 2 shown]
	scratch_load_dwordx4 v[128:131], v8, off
	s_waitcnt vmcnt(28)
	global_store_dwordx4 v[40:41], v[18:21], off
	s_waitcnt vmcnt(28)
	global_store_dwordx4 v[42:43], v[98:101], off
	;; [unrolled: 2-line block ×20, first 2 shown]
.LBB32_515:
	s_endpgm
	.section	.rodata,"a",@progbits
	.p2align	6, 0x0
	.amdhsa_kernel _ZN9rocsolver6v33100L18trti2_kernel_smallILi33E19rocblas_complex_numIdEPS3_EEv13rocblas_fill_17rocblas_diagonal_T1_iil
		.amdhsa_group_segment_fixed_size 1056
		.amdhsa_private_segment_fixed_size 544
		.amdhsa_kernarg_size 32
		.amdhsa_user_sgpr_count 2
		.amdhsa_user_sgpr_dispatch_ptr 0
		.amdhsa_user_sgpr_queue_ptr 0
		.amdhsa_user_sgpr_kernarg_segment_ptr 1
		.amdhsa_user_sgpr_dispatch_id 0
		.amdhsa_user_sgpr_kernarg_preload_length 0
		.amdhsa_user_sgpr_kernarg_preload_offset 0
		.amdhsa_user_sgpr_private_segment_size 0
		.amdhsa_uses_dynamic_stack 0
		.amdhsa_enable_private_segment 1
		.amdhsa_system_sgpr_workgroup_id_x 1
		.amdhsa_system_sgpr_workgroup_id_y 0
		.amdhsa_system_sgpr_workgroup_id_z 0
		.amdhsa_system_sgpr_workgroup_info 0
		.amdhsa_system_vgpr_workitem_id 0
		.amdhsa_next_free_vgpr 138
		.amdhsa_next_free_sgpr 12
		.amdhsa_accum_offset 140
		.amdhsa_reserve_vcc 1
		.amdhsa_float_round_mode_32 0
		.amdhsa_float_round_mode_16_64 0
		.amdhsa_float_denorm_mode_32 3
		.amdhsa_float_denorm_mode_16_64 3
		.amdhsa_dx10_clamp 1
		.amdhsa_ieee_mode 1
		.amdhsa_fp16_overflow 0
		.amdhsa_tg_split 0
		.amdhsa_exception_fp_ieee_invalid_op 0
		.amdhsa_exception_fp_denorm_src 0
		.amdhsa_exception_fp_ieee_div_zero 0
		.amdhsa_exception_fp_ieee_overflow 0
		.amdhsa_exception_fp_ieee_underflow 0
		.amdhsa_exception_fp_ieee_inexact 0
		.amdhsa_exception_int_div_zero 0
	.end_amdhsa_kernel
	.section	.text._ZN9rocsolver6v33100L18trti2_kernel_smallILi33E19rocblas_complex_numIdEPS3_EEv13rocblas_fill_17rocblas_diagonal_T1_iil,"axG",@progbits,_ZN9rocsolver6v33100L18trti2_kernel_smallILi33E19rocblas_complex_numIdEPS3_EEv13rocblas_fill_17rocblas_diagonal_T1_iil,comdat
.Lfunc_end32:
	.size	_ZN9rocsolver6v33100L18trti2_kernel_smallILi33E19rocblas_complex_numIdEPS3_EEv13rocblas_fill_17rocblas_diagonal_T1_iil, .Lfunc_end32-_ZN9rocsolver6v33100L18trti2_kernel_smallILi33E19rocblas_complex_numIdEPS3_EEv13rocblas_fill_17rocblas_diagonal_T1_iil
                                        ; -- End function
	.section	.AMDGPU.csdata,"",@progbits
; Kernel info:
; codeLenInByte = 21660
; NumSgprs: 18
; NumVgprs: 138
; NumAgprs: 0
; TotalNumVgprs: 138
; ScratchSize: 544
; MemoryBound: 0
; FloatMode: 240
; IeeeMode: 1
; LDSByteSize: 1056 bytes/workgroup (compile time only)
; SGPRBlocks: 2
; VGPRBlocks: 17
; NumSGPRsForWavesPerEU: 18
; NumVGPRsForWavesPerEU: 138
; AccumOffset: 140
; Occupancy: 3
; WaveLimiterHint : 0
; COMPUTE_PGM_RSRC2:SCRATCH_EN: 1
; COMPUTE_PGM_RSRC2:USER_SGPR: 2
; COMPUTE_PGM_RSRC2:TRAP_HANDLER: 0
; COMPUTE_PGM_RSRC2:TGID_X_EN: 1
; COMPUTE_PGM_RSRC2:TGID_Y_EN: 0
; COMPUTE_PGM_RSRC2:TGID_Z_EN: 0
; COMPUTE_PGM_RSRC2:TIDIG_COMP_CNT: 0
; COMPUTE_PGM_RSRC3_GFX90A:ACCUM_OFFSET: 34
; COMPUTE_PGM_RSRC3_GFX90A:TG_SPLIT: 0
	.section	.text._ZN9rocsolver6v33100L18trti2_kernel_smallILi34E19rocblas_complex_numIdEPS3_EEv13rocblas_fill_17rocblas_diagonal_T1_iil,"axG",@progbits,_ZN9rocsolver6v33100L18trti2_kernel_smallILi34E19rocblas_complex_numIdEPS3_EEv13rocblas_fill_17rocblas_diagonal_T1_iil,comdat
	.globl	_ZN9rocsolver6v33100L18trti2_kernel_smallILi34E19rocblas_complex_numIdEPS3_EEv13rocblas_fill_17rocblas_diagonal_T1_iil ; -- Begin function _ZN9rocsolver6v33100L18trti2_kernel_smallILi34E19rocblas_complex_numIdEPS3_EEv13rocblas_fill_17rocblas_diagonal_T1_iil
	.p2align	8
	.type	_ZN9rocsolver6v33100L18trti2_kernel_smallILi34E19rocblas_complex_numIdEPS3_EEv13rocblas_fill_17rocblas_diagonal_T1_iil,@function
_ZN9rocsolver6v33100L18trti2_kernel_smallILi34E19rocblas_complex_numIdEPS3_EEv13rocblas_fill_17rocblas_diagonal_T1_iil: ; @_ZN9rocsolver6v33100L18trti2_kernel_smallILi34E19rocblas_complex_numIdEPS3_EEv13rocblas_fill_17rocblas_diagonal_T1_iil
; %bb.0:
	v_cmp_gt_u32_e32 vcc, 34, v0
	s_and_saveexec_b64 s[4:5], vcc
	s_cbranch_execz .LBB33_531
; %bb.1:
	s_load_dwordx8 s[4:11], s[0:1], 0x0
	s_ashr_i32 s3, s2, 31
	v_lshlrev_b32_e32 v72, 4, v0
	v_mov_b32_e32 v73, 0
	s_waitcnt lgkmcnt(0)
	s_ashr_i32 s1, s8, 31
	s_mov_b32 s0, s8
	s_mul_i32 s8, s2, s11
	s_mul_hi_u32 s11, s2, s10
	s_add_i32 s8, s11, s8
	s_mul_i32 s3, s3, s10
	s_add_i32 s3, s8, s3
	s_mul_i32 s2, s2, s10
	s_lshl_b64 s[2:3], s[2:3], 4
	s_add_u32 s2, s6, s2
	s_addc_u32 s3, s7, s3
	s_lshl_b64 s[0:1], s[0:1], 4
	s_add_u32 s0, s2, s0
	s_addc_u32 s1, s3, s1
	v_lshl_add_u64 v[48:49], s[0:1], 0, v[72:73]
	s_ashr_i32 s3, s9, 31
	s_mov_b32 s2, s9
	v_lshl_add_u64 v[46:47], s[2:3], 4, v[48:49]
	s_add_i32 s2, s9, s9
	v_add_u32_e32 v14, s2, v0
	v_ashrrev_i32_e32 v15, 31, v14
	v_lshl_add_u64 v[50:51], v[14:15], 4, s[0:1]
	v_add_u32_e32 v14, s9, v14
	v_add_u32_e32 v22, s9, v14
	v_ashrrev_i32_e32 v23, 31, v22
	v_lshl_add_u64 v[54:55], v[22:23], 4, s[0:1]
	v_add_u32_e32 v22, s9, v22
	;; [unrolled: 4-line block ×3, first 2 shown]
	v_ashrrev_i32_e32 v15, 31, v14
	v_ashrrev_i32_e32 v23, 31, v22
	v_ashrrev_i32_e32 v31, 31, v30
	v_add_u32_e32 v38, s9, v30
	global_load_dwordx4 v[2:5], v72, s[0:1]
	v_lshl_add_u64 v[52:53], v[14:15], 4, s[0:1]
	v_lshl_add_u64 v[56:57], v[22:23], 4, s[0:1]
	;; [unrolled: 1-line block ×3, first 2 shown]
	v_ashrrev_i32_e32 v39, 31, v38
	global_load_dwordx4 v[6:9], v[46:47], off
	global_load_dwordx4 v[10:13], v[50:51], off
	global_load_dwordx4 v[14:17], v[52:53], off
	global_load_dwordx4 v[18:21], v[54:55], off
	global_load_dwordx4 v[22:25], v[56:57], off
	global_load_dwordx4 v[26:29], v[58:59], off
	v_lshl_add_u64 v[62:63], v[38:39], 4, s[0:1]
	global_load_dwordx4 v[30:33], v[60:61], off
	global_load_dwordx4 v[34:37], v[62:63], off
	v_add_u32_e32 v38, s9, v38
	v_add_u32_e32 v40, s9, v38
	;; [unrolled: 1-line block ×24, first 2 shown]
	v_ashrrev_i32_e32 v39, 31, v38
	v_add_u32_e32 v74, s9, v122
	v_lshl_add_u64 v[64:65], v[38:39], 4, s[0:1]
	v_ashrrev_i32_e32 v41, 31, v40
	v_ashrrev_i32_e32 v69, 31, v68
	;; [unrolled: 1-line block ×3, first 2 shown]
	v_lshl_add_u64 v[66:67], v[40:41], 4, s[0:1]
	global_load_dwordx4 v[38:41], v[64:65], off
	global_load_dwordx4 v[42:45], v[66:67], off
	v_lshl_add_u64 v[68:69], v[68:69], 4, s[0:1]
	v_ashrrev_i32_e32 v71, 31, v70
	v_ashrrev_i32_e32 v81, 31, v80
	v_lshl_add_u64 v[74:75], v[74:75], 4, s[0:1]
	v_ashrrev_i32_e32 v89, 31, v88
	v_ashrrev_i32_e32 v93, 31, v92
	v_ashrrev_i32_e32 v97, 31, v96
	v_lshl_add_u64 v[70:71], v[70:71], 4, s[0:1]
	global_load_dwordx4 v[84:87], v[74:75], off
	v_ashrrev_i32_e32 v83, 31, v82
	v_ashrrev_i32_e32 v91, 31, v90
	;; [unrolled: 1-line block ×16, first 2 shown]
	s_cmpk_lg_i32 s5, 0x84
	s_cselect_b64 s[6:7], -1, 0
	s_cmpk_eq_i32 s5, 0x84
	s_waitcnt vmcnt(11)
	scratch_store_dwordx4 off, v[2:5], off
	global_load_dwordx4 v[2:5], v[68:69], off
	s_nop 0
	global_load_dwordx4 v[76:79], v[70:71], off
	s_waitcnt vmcnt(13)
	scratch_store_dwordx4 off, v[6:9], off offset:16
	s_waitcnt vmcnt(13)
	scratch_store_dwordx4 off, v[10:13], off offset:32
	;; [unrolled: 2-line block ×8, first 2 shown]
	v_lshl_add_u64 v[20:21], v[80:81], 4, s[0:1]
	v_lshl_add_u64 v[16:17], v[88:89], 4, s[0:1]
	;; [unrolled: 1-line block ×5, first 2 shown]
	global_load_dwordx4 v[6:9], v[20:21], off
	global_load_dwordx4 v[10:13], v[14:15], off
	v_lshl_add_u64 v[18:19], v[90:91], 4, s[0:1]
	global_load_dwordx4 v[30:33], v[16:17], off
	global_load_dwordx4 v[34:37], v[18:19], off
	v_lshl_add_u64 v[24:25], v[94:95], 4, s[0:1]
	;; [unrolled: 3-line block ×3, first 2 shown]
	global_load_dwordx4 v[92:95], v[26:27], off
	global_load_dwordx4 v[96:99], v[28:29], off
	s_waitcnt vmcnt(21)
	scratch_store_dwordx4 off, v[38:41], off offset:144
	s_waitcnt vmcnt(21)
	scratch_store_dwordx4 off, v[42:45], off offset:160
	;; [unrolled: 2-line block ×12, first 2 shown]
	v_lshl_add_u64 v[30:31], v[100:101], 4, s[0:1]
	v_lshl_add_u64 v[34:35], v[104:105], 4, s[0:1]
	;; [unrolled: 1-line block ×7, first 2 shown]
	global_load_dwordx4 v[2:5], v[30:31], off
	global_load_dwordx4 v[6:9], v[32:33], off
	v_lshl_add_u64 v[36:37], v[106:107], 4, s[0:1]
	global_load_dwordx4 v[88:91], v[34:35], off
	global_load_dwordx4 v[92:95], v[36:37], off
	v_lshl_add_u64 v[40:41], v[110:111], 4, s[0:1]
	;; [unrolled: 3-line block ×5, first 2 shown]
	global_load_dwordx4 v[120:123], v[80:81], off
	global_load_dwordx4 v[124:127], v[82:83], off
	v_mov_b32_e32 v12, 0
	s_waitcnt vmcnt(11)
	scratch_store_dwordx4 off, v[2:5], off offset:336
	s_waitcnt vmcnt(11)
	scratch_store_dwordx4 off, v[6:9], off offset:352
	;; [unrolled: 2-line block ×12, first 2 shown]
	scratch_store_dwordx4 off, v[84:87], off offset:528
	s_cbranch_scc1 .LBB33_7
; %bb.2:
	scratch_load_dwordx4 v[6:9], v72, off
                                        ; implicit-def: $vgpr10_vgpr11
	s_waitcnt vmcnt(0)
	v_xor_b32_e32 v1, 0x80000000, v7
	v_cmp_gt_f64_e32 vcc, 0, v[6:7]
	v_xor_b32_e32 v4, 0x80000000, v9
	v_mov_b32_e32 v2, v6
	v_cndmask_b32_e32 v3, v7, v1, vcc
	v_cmp_gt_f64_e32 vcc, 0, v[8:9]
	s_nop 1
	v_cndmask_b32_e32 v5, v9, v4, vcc
	v_mov_b32_e32 v4, v8
	v_cmp_ngt_f64_e32 vcc, v[2:3], v[4:5]
                                        ; implicit-def: $vgpr2_vgpr3
	s_and_saveexec_b64 s[0:1], vcc
	s_xor_b64 s[0:1], exec, s[0:1]
	s_cbranch_execz .LBB33_4
; %bb.3:
	v_div_scale_f64 v[2:3], s[2:3], v[8:9], v[8:9], v[6:7]
	v_rcp_f64_e32 v[4:5], v[2:3]
	v_div_scale_f64 v[10:11], vcc, v[6:7], v[8:9], v[6:7]
	v_fma_f64 v[84:85], -v[2:3], v[4:5], 1.0
	v_fmac_f64_e32 v[4:5], v[4:5], v[84:85]
	v_fma_f64 v[84:85], -v[2:3], v[4:5], 1.0
	v_fmac_f64_e32 v[4:5], v[4:5], v[84:85]
	v_mul_f64 v[84:85], v[10:11], v[4:5]
	v_fma_f64 v[2:3], -v[2:3], v[84:85], v[10:11]
	v_div_fmas_f64 v[2:3], v[2:3], v[4:5], v[84:85]
	v_div_fixup_f64 v[2:3], v[2:3], v[8:9], v[6:7]
	v_fmac_f64_e32 v[8:9], v[6:7], v[2:3]
	v_div_scale_f64 v[4:5], s[2:3], v[8:9], v[8:9], 1.0
	v_rcp_f64_e32 v[6:7], v[4:5]
	s_nop 0
	v_fma_f64 v[10:11], -v[4:5], v[6:7], 1.0
	v_fmac_f64_e32 v[6:7], v[6:7], v[10:11]
	v_fma_f64 v[10:11], -v[4:5], v[6:7], 1.0
	v_fmac_f64_e32 v[6:7], v[6:7], v[10:11]
	v_div_scale_f64 v[10:11], vcc, 1.0, v[8:9], 1.0
	v_mul_f64 v[84:85], v[10:11], v[6:7]
	v_fma_f64 v[4:5], -v[4:5], v[84:85], v[10:11]
	s_nop 1
	v_div_fmas_f64 v[4:5], v[4:5], v[6:7], v[84:85]
	v_div_fixup_f64 v[4:5], v[4:5], v[8:9], 1.0
	v_mul_f64 v[2:3], v[2:3], v[4:5]
	v_xor_b32_e32 v5, 0x80000000, v5
	v_xor_b32_e32 v11, 0x80000000, v3
	v_mov_b32_e32 v10, v2
                                        ; implicit-def: $vgpr6_vgpr7
.LBB33_4:
	s_or_saveexec_b64 s[0:1], s[0:1]
	v_add_u32_e32 v1, 0, v72
	s_xor_b64 exec, exec, s[0:1]
	s_cbranch_execz .LBB33_6
; %bb.5:
	v_div_scale_f64 v[2:3], s[2:3], v[6:7], v[6:7], v[8:9]
	v_rcp_f64_e32 v[4:5], v[2:3]
	v_div_scale_f64 v[10:11], vcc, v[8:9], v[6:7], v[8:9]
	v_fma_f64 v[84:85], -v[2:3], v[4:5], 1.0
	v_fmac_f64_e32 v[4:5], v[4:5], v[84:85]
	v_fma_f64 v[84:85], -v[2:3], v[4:5], 1.0
	v_fmac_f64_e32 v[4:5], v[4:5], v[84:85]
	v_mul_f64 v[84:85], v[10:11], v[4:5]
	v_fma_f64 v[2:3], -v[2:3], v[84:85], v[10:11]
	v_div_fmas_f64 v[2:3], v[2:3], v[4:5], v[84:85]
	v_div_fixup_f64 v[4:5], v[2:3], v[6:7], v[8:9]
	v_fmac_f64_e32 v[6:7], v[8:9], v[4:5]
	v_div_scale_f64 v[2:3], s[2:3], v[6:7], v[6:7], 1.0
	v_rcp_f64_e32 v[8:9], v[2:3]
	s_nop 0
	v_fma_f64 v[10:11], -v[2:3], v[8:9], 1.0
	v_fmac_f64_e32 v[8:9], v[8:9], v[10:11]
	v_fma_f64 v[10:11], -v[2:3], v[8:9], 1.0
	v_fmac_f64_e32 v[8:9], v[8:9], v[10:11]
	v_div_scale_f64 v[10:11], vcc, 1.0, v[6:7], 1.0
	v_mul_f64 v[84:85], v[10:11], v[8:9]
	v_fma_f64 v[2:3], -v[2:3], v[84:85], v[10:11]
	s_nop 1
	v_div_fmas_f64 v[2:3], v[2:3], v[8:9], v[84:85]
	v_div_fixup_f64 v[2:3], v[2:3], v[6:7], 1.0
	v_xor_b32_e32 v11, 0x80000000, v3
	v_mov_b32_e32 v10, v2
	v_mul_f64 v[4:5], v[4:5], -v[2:3]
.LBB33_6:
	s_or_b64 exec, exec, s[0:1]
	scratch_store_dwordx4 v1, v[2:5], off
	s_nop 1
	v_xor_b32_e32 v5, 0x80000000, v5
	s_branch .LBB33_8
.LBB33_7:
	v_mov_b64_e32 v[4:5], 0
	v_mov_b64_e32 v[10:11], -1.0
.LBB33_8:
	v_add_u32_e32 v107, 16, v12
	v_add_u32_e32 v111, 32, v12
	;; [unrolled: 1-line block ×33, first 2 shown]
	v_mov_b32_e32 v12, v4
	v_mov_b32_e32 v13, v5
	ds_write_b128 v72, v[10:13]
	s_cmpk_eq_i32 s4, 0x79
	v_add_u32_e32 v11, 0x220, v72
	v_add_u32_e32 v10, 0, v72
	s_cbranch_scc1 .LBB33_268
; %bb.9:
	scratch_load_dwordx4 v[2:5], v1, off
	v_cmp_eq_u32_e64 s[0:1], 33, v0
	s_waitcnt vmcnt(0)
	ds_write_b128 v11, v[2:5]
	s_waitcnt lgkmcnt(0)
	; wave barrier
	s_waitcnt lgkmcnt(0)
	s_and_saveexec_b64 s[2:3], s[0:1]
	s_cbranch_execz .LBB33_13
; %bb.10:
	ds_read_b128 v[2:5], v11
	s_andn2_b64 vcc, exec, s[6:7]
	s_cbranch_vccnz .LBB33_12
; %bb.11:
	scratch_load_dwordx4 v[114:117], v10, off
	s_waitcnt vmcnt(0) lgkmcnt(0)
	v_mul_f64 v[12:13], v[2:3], v[116:117]
	v_mul_f64 v[6:7], v[4:5], v[116:117]
	v_fmac_f64_e32 v[12:13], v[4:5], v[114:115]
	v_fma_f64 v[2:3], v[2:3], v[114:115], -v[6:7]
	v_mov_b64_e32 v[4:5], v[12:13]
.LBB33_12:
	v_mov_b32_e32 v6, 0
	ds_read_b128 v[114:117], v6 offset:512
	s_waitcnt lgkmcnt(0)
	v_mul_f64 v[6:7], v[4:5], v[116:117]
	v_mul_f64 v[118:119], v[2:3], v[116:117]
	v_fma_f64 v[116:117], v[2:3], v[114:115], -v[6:7]
	v_fmac_f64_e32 v[118:119], v[4:5], v[114:115]
	scratch_store_dwordx4 off, v[116:119], off offset:512
.LBB33_13:
	s_or_b64 exec, exec, s[2:3]
	scratch_load_dwordx4 v[2:5], v73, off
	v_cmp_lt_u32_e64 s[2:3], 31, v0
	s_waitcnt vmcnt(0)
	ds_write_b128 v11, v[2:5]
	s_waitcnt lgkmcnt(0)
	; wave barrier
	s_waitcnt lgkmcnt(0)
	s_and_saveexec_b64 s[4:5], s[2:3]
	s_cbranch_execz .LBB33_19
; %bb.14:
	ds_read_b128 v[2:5], v11
	s_andn2_b64 vcc, exec, s[6:7]
	s_cbranch_vccnz .LBB33_16
; %bb.15:
	scratch_load_dwordx4 v[114:117], v10, off
	s_waitcnt vmcnt(0) lgkmcnt(0)
	v_mul_f64 v[12:13], v[2:3], v[116:117]
	v_mul_f64 v[6:7], v[4:5], v[116:117]
	v_fmac_f64_e32 v[12:13], v[4:5], v[114:115]
	v_fma_f64 v[2:3], v[2:3], v[114:115], -v[6:7]
	v_mov_b64_e32 v[4:5], v[12:13]
.LBB33_16:
	s_and_saveexec_b64 s[8:9], s[0:1]
	s_cbranch_execz .LBB33_18
; %bb.17:
	scratch_load_dwordx4 v[114:117], off, off offset:512
	v_mov_b32_e32 v6, 0
	ds_read_b128 v[118:121], v6 offset:1056
	s_waitcnt vmcnt(0) lgkmcnt(0)
	v_mul_f64 v[6:7], v[118:119], v[116:117]
	v_mul_f64 v[12:13], v[120:121], v[116:117]
	v_fmac_f64_e32 v[6:7], v[120:121], v[114:115]
	v_fma_f64 v[12:13], v[118:119], v[114:115], -v[12:13]
	v_add_f64 v[4:5], v[4:5], v[6:7]
	v_add_f64 v[2:3], v[2:3], v[12:13]
.LBB33_18:
	s_or_b64 exec, exec, s[8:9]
	v_mov_b32_e32 v6, 0
	ds_read_b128 v[114:117], v6 offset:496
	s_waitcnt lgkmcnt(0)
	v_mul_f64 v[6:7], v[4:5], v[116:117]
	v_mul_f64 v[118:119], v[2:3], v[116:117]
	v_fma_f64 v[116:117], v[2:3], v[114:115], -v[6:7]
	v_fmac_f64_e32 v[118:119], v[4:5], v[114:115]
	scratch_store_dwordx4 off, v[116:119], off offset:496
.LBB33_19:
	s_or_b64 exec, exec, s[4:5]
	scratch_load_dwordx4 v[2:5], v9, off
	v_cmp_lt_u32_e64 s[0:1], 30, v0
	s_waitcnt vmcnt(0)
	ds_write_b128 v11, v[2:5]
	s_waitcnt lgkmcnt(0)
	; wave barrier
	s_waitcnt lgkmcnt(0)
	s_and_saveexec_b64 s[4:5], s[0:1]
	s_cbranch_execz .LBB33_27
; %bb.20:
	ds_read_b128 v[2:5], v11
	s_andn2_b64 vcc, exec, s[6:7]
	s_cbranch_vccnz .LBB33_22
; %bb.21:
	scratch_load_dwordx4 v[114:117], v10, off
	s_waitcnt vmcnt(0) lgkmcnt(0)
	v_mul_f64 v[12:13], v[2:3], v[116:117]
	v_mul_f64 v[6:7], v[4:5], v[116:117]
	v_fmac_f64_e32 v[12:13], v[4:5], v[114:115]
	v_fma_f64 v[2:3], v[2:3], v[114:115], -v[6:7]
	v_mov_b64_e32 v[4:5], v[12:13]
.LBB33_22:
	s_and_saveexec_b64 s[8:9], s[2:3]
	s_cbranch_execz .LBB33_26
; %bb.23:
	v_mov_b32_e32 v7, 0
	v_subrev_u32_e32 v6, 31, v0
	v_add_u32_e32 v7, 0x1f8, v7
	s_movk_i32 s10, 0x410
	s_mov_b64 s[2:3], 0
.LBB33_24:                              ; =>This Inner Loop Header: Depth=1
	v_add_u32_e32 v12, -8, v7
	scratch_load_dwordx4 v[114:117], v12, off
	v_mov_b32_e32 v12, s10
	ds_read_b128 v[118:121], v12
	v_add_u32_e32 v6, -1, v6
	s_add_i32 s10, s10, 16
	v_cmp_eq_u32_e32 vcc, 0, v6
	v_add_u32_e32 v7, 16, v7
	s_or_b64 s[2:3], vcc, s[2:3]
	s_waitcnt vmcnt(0) lgkmcnt(0)
	v_mul_f64 v[12:13], v[120:121], v[116:117]
	v_mul_f64 v[116:117], v[118:119], v[116:117]
	v_fma_f64 v[12:13], v[118:119], v[114:115], -v[12:13]
	v_fmac_f64_e32 v[116:117], v[120:121], v[114:115]
	v_add_f64 v[2:3], v[2:3], v[12:13]
	v_add_f64 v[4:5], v[4:5], v[116:117]
	s_andn2_b64 exec, exec, s[2:3]
	s_cbranch_execnz .LBB33_24
; %bb.25:
	s_or_b64 exec, exec, s[2:3]
.LBB33_26:
	s_or_b64 exec, exec, s[8:9]
	v_mov_b32_e32 v6, 0
	ds_read_b128 v[114:117], v6 offset:480
	s_waitcnt lgkmcnt(0)
	v_mul_f64 v[6:7], v[4:5], v[116:117]
	v_mul_f64 v[118:119], v[2:3], v[116:117]
	v_fma_f64 v[116:117], v[2:3], v[114:115], -v[6:7]
	v_fmac_f64_e32 v[118:119], v[4:5], v[114:115]
	scratch_store_dwordx4 off, v[116:119], off offset:480
.LBB33_27:
	s_or_b64 exec, exec, s[4:5]
	scratch_load_dwordx4 v[2:5], v84, off
	v_cmp_lt_u32_e64 s[2:3], 29, v0
	s_waitcnt vmcnt(0)
	ds_write_b128 v11, v[2:5]
	s_waitcnt lgkmcnt(0)
	; wave barrier
	s_waitcnt lgkmcnt(0)
	s_and_saveexec_b64 s[4:5], s[2:3]
	s_cbranch_execz .LBB33_35
; %bb.28:
	ds_read_b128 v[2:5], v11
	s_andn2_b64 vcc, exec, s[6:7]
	s_cbranch_vccnz .LBB33_30
; %bb.29:
	scratch_load_dwordx4 v[114:117], v10, off
	s_waitcnt vmcnt(0) lgkmcnt(0)
	v_mul_f64 v[12:13], v[2:3], v[116:117]
	v_mul_f64 v[6:7], v[4:5], v[116:117]
	v_fmac_f64_e32 v[12:13], v[4:5], v[114:115]
	v_fma_f64 v[2:3], v[2:3], v[114:115], -v[6:7]
	v_mov_b64_e32 v[4:5], v[12:13]
.LBB33_30:
	s_and_saveexec_b64 s[8:9], s[0:1]
	s_cbranch_execz .LBB33_34
; %bb.31:
	v_mov_b32_e32 v7, 0
	v_subrev_u32_e32 v6, 30, v0
	v_add_u32_e32 v7, 0x1e8, v7
	s_movk_i32 s10, 0x400
	s_mov_b64 s[0:1], 0
.LBB33_32:                              ; =>This Inner Loop Header: Depth=1
	v_add_u32_e32 v12, -8, v7
	scratch_load_dwordx4 v[114:117], v12, off
	v_mov_b32_e32 v12, s10
	ds_read_b128 v[118:121], v12
	v_add_u32_e32 v6, -1, v6
	s_add_i32 s10, s10, 16
	v_cmp_eq_u32_e32 vcc, 0, v6
	v_add_u32_e32 v7, 16, v7
	s_or_b64 s[0:1], vcc, s[0:1]
	s_waitcnt vmcnt(0) lgkmcnt(0)
	v_mul_f64 v[12:13], v[120:121], v[116:117]
	v_mul_f64 v[116:117], v[118:119], v[116:117]
	v_fma_f64 v[12:13], v[118:119], v[114:115], -v[12:13]
	v_fmac_f64_e32 v[116:117], v[120:121], v[114:115]
	v_add_f64 v[2:3], v[2:3], v[12:13]
	v_add_f64 v[4:5], v[4:5], v[116:117]
	s_andn2_b64 exec, exec, s[0:1]
	s_cbranch_execnz .LBB33_32
; %bb.33:
	s_or_b64 exec, exec, s[0:1]
.LBB33_34:
	s_or_b64 exec, exec, s[8:9]
	v_mov_b32_e32 v6, 0
	ds_read_b128 v[114:117], v6 offset:464
	s_waitcnt lgkmcnt(0)
	v_mul_f64 v[6:7], v[4:5], v[116:117]
	v_mul_f64 v[118:119], v[2:3], v[116:117]
	v_fma_f64 v[116:117], v[2:3], v[114:115], -v[6:7]
	v_fmac_f64_e32 v[118:119], v[4:5], v[114:115]
	scratch_store_dwordx4 off, v[116:119], off offset:464
.LBB33_35:
	;; [unrolled: 63-line block ×10, first 2 shown]
	s_or_b64 exec, exec, s[4:5]
	scratch_load_dwordx4 v[2:5], v92, off
	v_cmp_lt_u32_e64 s[0:1], 20, v0
	s_waitcnt vmcnt(0)
	ds_write_b128 v11, v[2:5]
	s_waitcnt lgkmcnt(0)
	; wave barrier
	s_waitcnt lgkmcnt(0)
	s_and_saveexec_b64 s[4:5], s[0:1]
	s_cbranch_execz .LBB33_107
; %bb.100:
	ds_read_b128 v[2:5], v11
	s_andn2_b64 vcc, exec, s[6:7]
	s_cbranch_vccnz .LBB33_102
; %bb.101:
	scratch_load_dwordx4 v[114:117], v10, off
	s_waitcnt vmcnt(0) lgkmcnt(0)
	v_mul_f64 v[12:13], v[2:3], v[116:117]
	v_mul_f64 v[6:7], v[4:5], v[116:117]
	v_fmac_f64_e32 v[12:13], v[4:5], v[114:115]
	v_fma_f64 v[2:3], v[2:3], v[114:115], -v[6:7]
	v_mov_b64_e32 v[4:5], v[12:13]
.LBB33_102:
	s_and_saveexec_b64 s[8:9], s[2:3]
	s_cbranch_execz .LBB33_106
; %bb.103:
	v_mov_b32_e32 v7, 0
	v_subrev_u32_e32 v6, 21, v0
	v_add_u32_e32 v7, 0x158, v7
	s_movk_i32 s10, 0x370
	s_mov_b64 s[2:3], 0
.LBB33_104:                             ; =>This Inner Loop Header: Depth=1
	v_add_u32_e32 v12, -8, v7
	scratch_load_dwordx4 v[114:117], v12, off
	v_mov_b32_e32 v12, s10
	ds_read_b128 v[118:121], v12
	v_add_u32_e32 v6, -1, v6
	s_add_i32 s10, s10, 16
	v_cmp_eq_u32_e32 vcc, 0, v6
	v_add_u32_e32 v7, 16, v7
	s_or_b64 s[2:3], vcc, s[2:3]
	s_waitcnt vmcnt(0) lgkmcnt(0)
	v_mul_f64 v[12:13], v[120:121], v[116:117]
	v_mul_f64 v[116:117], v[118:119], v[116:117]
	v_fma_f64 v[12:13], v[118:119], v[114:115], -v[12:13]
	v_fmac_f64_e32 v[116:117], v[120:121], v[114:115]
	v_add_f64 v[2:3], v[2:3], v[12:13]
	v_add_f64 v[4:5], v[4:5], v[116:117]
	s_andn2_b64 exec, exec, s[2:3]
	s_cbranch_execnz .LBB33_104
; %bb.105:
	s_or_b64 exec, exec, s[2:3]
.LBB33_106:
	s_or_b64 exec, exec, s[8:9]
	v_mov_b32_e32 v6, 0
	ds_read_b128 v[114:117], v6 offset:320
	s_waitcnt lgkmcnt(0)
	v_mul_f64 v[6:7], v[4:5], v[116:117]
	v_mul_f64 v[118:119], v[2:3], v[116:117]
	v_fma_f64 v[116:117], v[2:3], v[114:115], -v[6:7]
	v_fmac_f64_e32 v[118:119], v[4:5], v[114:115]
	scratch_store_dwordx4 off, v[116:119], off offset:320
.LBB33_107:
	s_or_b64 exec, exec, s[4:5]
	scratch_load_dwordx4 v[2:5], v95, off
	v_cmp_lt_u32_e64 s[2:3], 19, v0
	s_waitcnt vmcnt(0)
	ds_write_b128 v11, v[2:5]
	s_waitcnt lgkmcnt(0)
	; wave barrier
	s_waitcnt lgkmcnt(0)
	s_and_saveexec_b64 s[4:5], s[2:3]
	s_cbranch_execz .LBB33_115
; %bb.108:
	ds_read_b128 v[2:5], v11
	s_andn2_b64 vcc, exec, s[6:7]
	s_cbranch_vccnz .LBB33_110
; %bb.109:
	scratch_load_dwordx4 v[114:117], v10, off
	s_waitcnt vmcnt(0) lgkmcnt(0)
	v_mul_f64 v[12:13], v[2:3], v[116:117]
	v_mul_f64 v[6:7], v[4:5], v[116:117]
	v_fmac_f64_e32 v[12:13], v[4:5], v[114:115]
	v_fma_f64 v[2:3], v[2:3], v[114:115], -v[6:7]
	v_mov_b64_e32 v[4:5], v[12:13]
.LBB33_110:
	s_and_saveexec_b64 s[8:9], s[0:1]
	s_cbranch_execz .LBB33_114
; %bb.111:
	v_mov_b32_e32 v7, 0
	v_subrev_u32_e32 v6, 20, v0
	v_add_u32_e32 v7, 0x148, v7
	s_movk_i32 s10, 0x360
	s_mov_b64 s[0:1], 0
.LBB33_112:                             ; =>This Inner Loop Header: Depth=1
	v_add_u32_e32 v12, -8, v7
	scratch_load_dwordx4 v[114:117], v12, off
	v_mov_b32_e32 v12, s10
	ds_read_b128 v[118:121], v12
	v_add_u32_e32 v6, -1, v6
	s_add_i32 s10, s10, 16
	v_cmp_eq_u32_e32 vcc, 0, v6
	v_add_u32_e32 v7, 16, v7
	s_or_b64 s[0:1], vcc, s[0:1]
	s_waitcnt vmcnt(0) lgkmcnt(0)
	v_mul_f64 v[12:13], v[120:121], v[116:117]
	v_mul_f64 v[116:117], v[118:119], v[116:117]
	v_fma_f64 v[12:13], v[118:119], v[114:115], -v[12:13]
	v_fmac_f64_e32 v[116:117], v[120:121], v[114:115]
	v_add_f64 v[2:3], v[2:3], v[12:13]
	v_add_f64 v[4:5], v[4:5], v[116:117]
	s_andn2_b64 exec, exec, s[0:1]
	s_cbranch_execnz .LBB33_112
; %bb.113:
	s_or_b64 exec, exec, s[0:1]
.LBB33_114:
	s_or_b64 exec, exec, s[8:9]
	v_mov_b32_e32 v6, 0
	ds_read_b128 v[114:117], v6 offset:304
	s_waitcnt lgkmcnt(0)
	v_mul_f64 v[6:7], v[4:5], v[116:117]
	v_mul_f64 v[118:119], v[2:3], v[116:117]
	v_fma_f64 v[116:117], v[2:3], v[114:115], -v[6:7]
	v_fmac_f64_e32 v[118:119], v[4:5], v[114:115]
	scratch_store_dwordx4 off, v[116:119], off offset:304
.LBB33_115:
	;; [unrolled: 63-line block ×5, first 2 shown]
	s_or_b64 exec, exec, s[4:5]
	scratch_load_dwordx4 v[2:5], v98, off
	v_cmp_lt_u32_e64 s[2:3], 15, v0
	s_waitcnt vmcnt(0)
	ds_write_b128 v11, v[2:5]
	s_waitcnt lgkmcnt(0)
	; wave barrier
	s_waitcnt lgkmcnt(0)
	s_and_saveexec_b64 s[4:5], s[2:3]
	s_cbranch_execz .LBB33_147
; %bb.140:
	ds_read_b128 v[2:5], v11
	s_andn2_b64 vcc, exec, s[6:7]
	s_cbranch_vccnz .LBB33_142
; %bb.141:
	scratch_load_dwordx4 v[114:117], v10, off
	s_waitcnt vmcnt(0) lgkmcnt(0)
	v_mul_f64 v[12:13], v[2:3], v[116:117]
	v_mul_f64 v[6:7], v[4:5], v[116:117]
	v_fmac_f64_e32 v[12:13], v[4:5], v[114:115]
	v_fma_f64 v[2:3], v[2:3], v[114:115], -v[6:7]
	v_mov_b64_e32 v[4:5], v[12:13]
.LBB33_142:
	s_and_saveexec_b64 s[8:9], s[0:1]
	s_cbranch_execz .LBB33_146
; %bb.143:
	v_mov_b32_e32 v7, 0
	v_add_u32_e32 v6, -16, v0
	v_add_u32_e32 v7, 0x108, v7
	s_movk_i32 s10, 0x320
	s_mov_b64 s[0:1], 0
.LBB33_144:                             ; =>This Inner Loop Header: Depth=1
	v_add_u32_e32 v12, -8, v7
	scratch_load_dwordx4 v[114:117], v12, off
	v_mov_b32_e32 v12, s10
	ds_read_b128 v[118:121], v12
	v_add_u32_e32 v6, -1, v6
	s_add_i32 s10, s10, 16
	v_cmp_eq_u32_e32 vcc, 0, v6
	v_add_u32_e32 v7, 16, v7
	s_or_b64 s[0:1], vcc, s[0:1]
	s_waitcnt vmcnt(0) lgkmcnt(0)
	v_mul_f64 v[12:13], v[120:121], v[116:117]
	v_mul_f64 v[116:117], v[118:119], v[116:117]
	v_fma_f64 v[12:13], v[118:119], v[114:115], -v[12:13]
	v_fmac_f64_e32 v[116:117], v[120:121], v[114:115]
	v_add_f64 v[2:3], v[2:3], v[12:13]
	v_add_f64 v[4:5], v[4:5], v[116:117]
	s_andn2_b64 exec, exec, s[0:1]
	s_cbranch_execnz .LBB33_144
; %bb.145:
	s_or_b64 exec, exec, s[0:1]
.LBB33_146:
	s_or_b64 exec, exec, s[8:9]
	v_mov_b32_e32 v6, 0
	ds_read_b128 v[114:117], v6 offset:240
	s_waitcnt lgkmcnt(0)
	v_mul_f64 v[6:7], v[4:5], v[116:117]
	v_mul_f64 v[118:119], v[2:3], v[116:117]
	v_fma_f64 v[116:117], v[2:3], v[114:115], -v[6:7]
	v_fmac_f64_e32 v[118:119], v[4:5], v[114:115]
	scratch_store_dwordx4 off, v[116:119], off offset:240
.LBB33_147:
	s_or_b64 exec, exec, s[4:5]
	scratch_load_dwordx4 v[2:5], v99, off
	v_cmp_lt_u32_e64 s[0:1], 14, v0
	s_waitcnt vmcnt(0)
	ds_write_b128 v11, v[2:5]
	s_waitcnt lgkmcnt(0)
	; wave barrier
	s_waitcnt lgkmcnt(0)
	s_and_saveexec_b64 s[4:5], s[0:1]
	s_cbranch_execz .LBB33_155
; %bb.148:
	ds_read_b128 v[2:5], v11
	s_andn2_b64 vcc, exec, s[6:7]
	s_cbranch_vccnz .LBB33_150
; %bb.149:
	scratch_load_dwordx4 v[114:117], v10, off
	s_waitcnt vmcnt(0) lgkmcnt(0)
	v_mul_f64 v[12:13], v[2:3], v[116:117]
	v_mul_f64 v[6:7], v[4:5], v[116:117]
	v_fmac_f64_e32 v[12:13], v[4:5], v[114:115]
	v_fma_f64 v[2:3], v[2:3], v[114:115], -v[6:7]
	v_mov_b64_e32 v[4:5], v[12:13]
.LBB33_150:
	s_and_saveexec_b64 s[8:9], s[2:3]
	s_cbranch_execz .LBB33_154
; %bb.151:
	v_mov_b32_e32 v7, 0
	v_add_u32_e32 v6, -15, v0
	v_add_u32_e32 v7, 0xf8, v7
	s_movk_i32 s10, 0x310
	s_mov_b64 s[2:3], 0
.LBB33_152:                             ; =>This Inner Loop Header: Depth=1
	v_add_u32_e32 v12, -8, v7
	scratch_load_dwordx4 v[114:117], v12, off
	v_mov_b32_e32 v12, s10
	ds_read_b128 v[118:121], v12
	v_add_u32_e32 v6, -1, v6
	s_add_i32 s10, s10, 16
	v_cmp_eq_u32_e32 vcc, 0, v6
	v_add_u32_e32 v7, 16, v7
	s_or_b64 s[2:3], vcc, s[2:3]
	s_waitcnt vmcnt(0) lgkmcnt(0)
	v_mul_f64 v[12:13], v[120:121], v[116:117]
	v_mul_f64 v[116:117], v[118:119], v[116:117]
	v_fma_f64 v[12:13], v[118:119], v[114:115], -v[12:13]
	v_fmac_f64_e32 v[116:117], v[120:121], v[114:115]
	v_add_f64 v[2:3], v[2:3], v[12:13]
	v_add_f64 v[4:5], v[4:5], v[116:117]
	s_andn2_b64 exec, exec, s[2:3]
	s_cbranch_execnz .LBB33_152
; %bb.153:
	s_or_b64 exec, exec, s[2:3]
.LBB33_154:
	s_or_b64 exec, exec, s[8:9]
	v_mov_b32_e32 v6, 0
	ds_read_b128 v[114:117], v6 offset:224
	s_waitcnt lgkmcnt(0)
	v_mul_f64 v[6:7], v[4:5], v[116:117]
	v_mul_f64 v[118:119], v[2:3], v[116:117]
	v_fma_f64 v[116:117], v[2:3], v[114:115], -v[6:7]
	v_fmac_f64_e32 v[118:119], v[4:5], v[114:115]
	scratch_store_dwordx4 off, v[116:119], off offset:224
.LBB33_155:
	;; [unrolled: 63-line block ×15, first 2 shown]
	s_or_b64 exec, exec, s[2:3]
	scratch_load_dwordx4 v[2:5], off, off
	v_cmp_ne_u32_e32 vcc, 0, v0
	s_mov_b64 s[2:3], 0
	s_mov_b64 s[4:5], 0
                                        ; implicit-def: $vgpr6_vgpr7
                                        ; implicit-def: $vgpr12
	s_waitcnt vmcnt(0)
	ds_write_b128 v11, v[2:5]
	s_waitcnt lgkmcnt(0)
	; wave barrier
	s_waitcnt lgkmcnt(0)
	s_and_saveexec_b64 s[8:9], vcc
	s_cbranch_execz .LBB33_267
; %bb.260:
	ds_read_b128 v[2:5], v11
	s_andn2_b64 vcc, exec, s[6:7]
	s_cbranch_vccnz .LBB33_262
; %bb.261:
	scratch_load_dwordx4 v[114:117], v10, off
	s_waitcnt vmcnt(0) lgkmcnt(0)
	v_mul_f64 v[12:13], v[2:3], v[116:117]
	v_mul_f64 v[6:7], v[4:5], v[116:117]
	v_fmac_f64_e32 v[12:13], v[4:5], v[114:115]
	v_fma_f64 v[2:3], v[2:3], v[114:115], -v[6:7]
	v_mov_b64_e32 v[4:5], v[12:13]
.LBB33_262:
	s_and_saveexec_b64 s[4:5], s[0:1]
	s_cbranch_execz .LBB33_266
; %bb.263:
	v_mov_b32_e32 v7, 0
	v_add_u32_e32 v6, -1, v0
	v_add_u32_e32 v7, 24, v7
	s_movk_i32 s10, 0x230
	s_mov_b64 s[0:1], 0
.LBB33_264:                             ; =>This Inner Loop Header: Depth=1
	v_add_u32_e32 v12, -8, v7
	scratch_load_dwordx4 v[114:117], v12, off
	v_mov_b32_e32 v12, s10
	ds_read_b128 v[118:121], v12
	v_add_u32_e32 v6, -1, v6
	s_add_i32 s10, s10, 16
	v_cmp_eq_u32_e32 vcc, 0, v6
	v_add_u32_e32 v7, 16, v7
	s_or_b64 s[0:1], vcc, s[0:1]
	s_waitcnt vmcnt(0) lgkmcnt(0)
	v_mul_f64 v[12:13], v[120:121], v[116:117]
	v_mul_f64 v[116:117], v[118:119], v[116:117]
	v_fma_f64 v[12:13], v[118:119], v[114:115], -v[12:13]
	v_fmac_f64_e32 v[116:117], v[120:121], v[114:115]
	v_add_f64 v[2:3], v[2:3], v[12:13]
	v_add_f64 v[4:5], v[4:5], v[116:117]
	s_andn2_b64 exec, exec, s[0:1]
	s_cbranch_execnz .LBB33_264
; %bb.265:
	s_or_b64 exec, exec, s[0:1]
.LBB33_266:
	s_or_b64 exec, exec, s[4:5]
	v_mov_b32_e32 v6, 0
	ds_read_b128 v[114:117], v6
	v_mov_b32_e32 v6, 0
	v_or_b32_e32 v12, 8, v6
	s_mov_b64 s[4:5], exec
	s_waitcnt lgkmcnt(0)
	v_mul_f64 v[118:119], v[4:5], v[116:117]
	v_mul_f64 v[6:7], v[2:3], v[116:117]
	v_fma_f64 v[2:3], v[2:3], v[114:115], -v[118:119]
	v_fmac_f64_e32 v[6:7], v[4:5], v[114:115]
	scratch_store_dwordx2 off, v[2:3], off
.LBB33_267:
	s_or_b64 exec, exec, s[8:9]
	s_and_b64 vcc, exec, s[2:3]
	s_cbranch_vccnz .LBB33_269
	s_branch .LBB33_528
.LBB33_268:
	s_mov_b64 s[4:5], 0
                                        ; implicit-def: $vgpr6_vgpr7
                                        ; implicit-def: $vgpr12
	s_cbranch_execz .LBB33_528
.LBB33_269:
	scratch_load_dwordx4 v[2:5], v107, off
	v_cndmask_b32_e64 v6, 0, 1, s[6:7]
	v_cmp_eq_u32_e64 s[2:3], 0, v0
	v_cmp_ne_u32_e64 s[0:1], 1, v6
	s_waitcnt vmcnt(0)
	ds_write_b128 v11, v[2:5]
	s_waitcnt lgkmcnt(0)
	; wave barrier
	s_waitcnt lgkmcnt(0)
	s_and_saveexec_b64 s[6:7], s[2:3]
	s_cbranch_execz .LBB33_273
; %bb.270:
	ds_read_b128 v[2:5], v11
	s_and_b64 vcc, exec, s[0:1]
	s_cbranch_vccnz .LBB33_272
; %bb.271:
	scratch_load_dwordx4 v[114:117], v10, off
	s_waitcnt vmcnt(0) lgkmcnt(0)
	v_mul_f64 v[12:13], v[2:3], v[116:117]
	v_mul_f64 v[6:7], v[4:5], v[116:117]
	v_fmac_f64_e32 v[12:13], v[4:5], v[114:115]
	v_fma_f64 v[2:3], v[2:3], v[114:115], -v[6:7]
	v_mov_b64_e32 v[4:5], v[12:13]
.LBB33_272:
	v_mov_b32_e32 v6, 0
	ds_read_b128 v[114:117], v6 offset:16
	s_waitcnt lgkmcnt(0)
	v_mul_f64 v[6:7], v[4:5], v[116:117]
	v_mul_f64 v[118:119], v[2:3], v[116:117]
	v_fma_f64 v[116:117], v[2:3], v[114:115], -v[6:7]
	v_fmac_f64_e32 v[118:119], v[4:5], v[114:115]
	scratch_store_dwordx4 off, v[116:119], off offset:16
.LBB33_273:
	s_or_b64 exec, exec, s[6:7]
	scratch_load_dwordx4 v[2:5], v111, off
	v_cmp_gt_u32_e32 vcc, 2, v0
	s_waitcnt vmcnt(0)
	ds_write_b128 v11, v[2:5]
	s_waitcnt lgkmcnt(0)
	; wave barrier
	s_waitcnt lgkmcnt(0)
	s_and_saveexec_b64 s[6:7], vcc
	s_cbranch_execz .LBB33_279
; %bb.274:
	ds_read_b128 v[2:5], v11
	s_and_b64 vcc, exec, s[0:1]
	s_cbranch_vccnz .LBB33_276
; %bb.275:
	scratch_load_dwordx4 v[114:117], v10, off
	s_waitcnt vmcnt(0) lgkmcnt(0)
	v_mul_f64 v[12:13], v[2:3], v[116:117]
	v_mul_f64 v[6:7], v[4:5], v[116:117]
	v_fmac_f64_e32 v[12:13], v[4:5], v[114:115]
	v_fma_f64 v[2:3], v[2:3], v[114:115], -v[6:7]
	v_mov_b64_e32 v[4:5], v[12:13]
.LBB33_276:
	s_and_saveexec_b64 s[8:9], s[2:3]
	s_cbranch_execz .LBB33_278
; %bb.277:
	scratch_load_dwordx4 v[114:117], v10, off offset:16
	ds_read_b128 v[118:121], v11 offset:16
	s_waitcnt vmcnt(0) lgkmcnt(0)
	v_mul_f64 v[6:7], v[120:121], v[116:117]
	v_mul_f64 v[12:13], v[118:119], v[116:117]
	v_fma_f64 v[6:7], v[118:119], v[114:115], -v[6:7]
	v_fmac_f64_e32 v[12:13], v[120:121], v[114:115]
	v_add_f64 v[2:3], v[2:3], v[6:7]
	v_add_f64 v[4:5], v[4:5], v[12:13]
.LBB33_278:
	s_or_b64 exec, exec, s[8:9]
	v_mov_b32_e32 v6, 0
	ds_read_b128 v[114:117], v6 offset:32
	s_waitcnt lgkmcnt(0)
	v_mul_f64 v[6:7], v[4:5], v[116:117]
	v_mul_f64 v[118:119], v[2:3], v[116:117]
	v_fma_f64 v[116:117], v[2:3], v[114:115], -v[6:7]
	v_fmac_f64_e32 v[118:119], v[4:5], v[114:115]
	scratch_store_dwordx4 off, v[116:119], off offset:32
.LBB33_279:
	s_or_b64 exec, exec, s[6:7]
	scratch_load_dwordx4 v[2:5], v109, off
	v_cmp_gt_u32_e32 vcc, 3, v0
	s_waitcnt vmcnt(0)
	ds_write_b128 v11, v[2:5]
	s_waitcnt lgkmcnt(0)
	; wave barrier
	s_waitcnt lgkmcnt(0)
	s_and_saveexec_b64 s[6:7], vcc
	s_cbranch_execz .LBB33_287
; %bb.280:
	ds_read_b128 v[2:5], v11
	s_and_b64 vcc, exec, s[0:1]
	s_cbranch_vccnz .LBB33_282
; %bb.281:
	scratch_load_dwordx4 v[114:117], v10, off
	s_waitcnt vmcnt(0) lgkmcnt(0)
	v_mul_f64 v[12:13], v[2:3], v[116:117]
	v_mul_f64 v[6:7], v[4:5], v[116:117]
	v_fmac_f64_e32 v[12:13], v[4:5], v[114:115]
	v_fma_f64 v[2:3], v[2:3], v[114:115], -v[6:7]
	v_mov_b64_e32 v[4:5], v[12:13]
.LBB33_282:
	v_cmp_ne_u32_e32 vcc, 2, v0
	s_and_saveexec_b64 s[8:9], vcc
	s_cbranch_execz .LBB33_286
; %bb.283:
	scratch_load_dwordx4 v[114:117], v10, off offset:16
	ds_read_b128 v[118:121], v11 offset:16
	s_waitcnt vmcnt(0) lgkmcnt(0)
	v_mul_f64 v[6:7], v[120:121], v[116:117]
	v_mul_f64 v[12:13], v[118:119], v[116:117]
	v_fma_f64 v[6:7], v[118:119], v[114:115], -v[6:7]
	v_fmac_f64_e32 v[12:13], v[120:121], v[114:115]
	v_add_f64 v[2:3], v[2:3], v[6:7]
	v_add_f64 v[4:5], v[4:5], v[12:13]
	s_and_saveexec_b64 s[10:11], s[2:3]
	s_cbranch_execz .LBB33_285
; %bb.284:
	scratch_load_dwordx4 v[114:117], off, off offset:32
	v_mov_b32_e32 v6, 0
	ds_read_b128 v[118:121], v6 offset:576
	s_waitcnt vmcnt(0) lgkmcnt(0)
	v_mul_f64 v[6:7], v[118:119], v[116:117]
	v_mul_f64 v[12:13], v[120:121], v[116:117]
	v_fmac_f64_e32 v[6:7], v[120:121], v[114:115]
	v_fma_f64 v[12:13], v[118:119], v[114:115], -v[12:13]
	v_add_f64 v[4:5], v[4:5], v[6:7]
	v_add_f64 v[2:3], v[2:3], v[12:13]
.LBB33_285:
	s_or_b64 exec, exec, s[10:11]
.LBB33_286:
	s_or_b64 exec, exec, s[8:9]
	v_mov_b32_e32 v6, 0
	ds_read_b128 v[114:117], v6 offset:48
	s_waitcnt lgkmcnt(0)
	v_mul_f64 v[6:7], v[4:5], v[116:117]
	v_mul_f64 v[118:119], v[2:3], v[116:117]
	v_fma_f64 v[116:117], v[2:3], v[114:115], -v[6:7]
	v_fmac_f64_e32 v[118:119], v[4:5], v[114:115]
	scratch_store_dwordx4 off, v[116:119], off offset:48
.LBB33_287:
	s_or_b64 exec, exec, s[6:7]
	scratch_load_dwordx4 v[2:5], v112, off
	v_cmp_gt_u32_e32 vcc, 4, v0
	s_waitcnt vmcnt(0)
	ds_write_b128 v11, v[2:5]
	s_waitcnt lgkmcnt(0)
	; wave barrier
	s_waitcnt lgkmcnt(0)
	s_and_saveexec_b64 s[2:3], vcc
	s_cbranch_execz .LBB33_295
; %bb.288:
	ds_read_b128 v[2:5], v11
	s_and_b64 vcc, exec, s[0:1]
	s_cbranch_vccnz .LBB33_290
; %bb.289:
	scratch_load_dwordx4 v[114:117], v10, off
	s_waitcnt vmcnt(0) lgkmcnt(0)
	v_mul_f64 v[12:13], v[2:3], v[116:117]
	v_mul_f64 v[6:7], v[4:5], v[116:117]
	v_fmac_f64_e32 v[12:13], v[4:5], v[114:115]
	v_fma_f64 v[2:3], v[2:3], v[114:115], -v[6:7]
	v_mov_b64_e32 v[4:5], v[12:13]
.LBB33_290:
	v_cmp_ne_u32_e32 vcc, 3, v0
	s_and_saveexec_b64 s[6:7], vcc
	s_cbranch_execz .LBB33_294
; %bb.291:
	v_mov_b32_e32 v7, 0
	v_add_u32_e32 v6, 0x230, v72
	v_add3_u32 v7, v72, v7, 24
	s_mov_b64 s[8:9], 0
	v_mov_b32_e32 v12, v0
.LBB33_292:                             ; =>This Inner Loop Header: Depth=1
	v_add_u32_e32 v13, -8, v7
	scratch_load_dwordx4 v[114:117], v13, off
	ds_read_b128 v[118:121], v6
	v_add_u32_e32 v12, 1, v12
	v_cmp_lt_u32_e32 vcc, 2, v12
	v_add_u32_e32 v6, 16, v6
	v_add_u32_e32 v7, 16, v7
	s_or_b64 s[8:9], vcc, s[8:9]
	s_waitcnt vmcnt(0) lgkmcnt(0)
	v_mul_f64 v[122:123], v[120:121], v[116:117]
	v_mul_f64 v[116:117], v[118:119], v[116:117]
	v_fma_f64 v[118:119], v[118:119], v[114:115], -v[122:123]
	v_fmac_f64_e32 v[116:117], v[120:121], v[114:115]
	v_add_f64 v[2:3], v[2:3], v[118:119]
	v_add_f64 v[4:5], v[4:5], v[116:117]
	s_andn2_b64 exec, exec, s[8:9]
	s_cbranch_execnz .LBB33_292
; %bb.293:
	s_or_b64 exec, exec, s[8:9]
.LBB33_294:
	s_or_b64 exec, exec, s[6:7]
	v_mov_b32_e32 v6, 0
	ds_read_b128 v[114:117], v6 offset:64
	s_waitcnt lgkmcnt(0)
	v_mul_f64 v[6:7], v[4:5], v[116:117]
	v_mul_f64 v[118:119], v[2:3], v[116:117]
	v_fma_f64 v[116:117], v[2:3], v[114:115], -v[6:7]
	v_fmac_f64_e32 v[118:119], v[4:5], v[114:115]
	scratch_store_dwordx4 off, v[116:119], off offset:64
.LBB33_295:
	s_or_b64 exec, exec, s[2:3]
	scratch_load_dwordx4 v[2:5], v110, off
	v_cmp_gt_u32_e32 vcc, 5, v0
	s_waitcnt vmcnt(0)
	ds_write_b128 v11, v[2:5]
	s_waitcnt lgkmcnt(0)
	; wave barrier
	s_waitcnt lgkmcnt(0)
	s_and_saveexec_b64 s[2:3], vcc
	s_cbranch_execz .LBB33_303
; %bb.296:
	ds_read_b128 v[2:5], v11
	s_and_b64 vcc, exec, s[0:1]
	s_cbranch_vccnz .LBB33_298
; %bb.297:
	scratch_load_dwordx4 v[114:117], v10, off
	s_waitcnt vmcnt(0) lgkmcnt(0)
	v_mul_f64 v[12:13], v[2:3], v[116:117]
	v_mul_f64 v[6:7], v[4:5], v[116:117]
	v_fmac_f64_e32 v[12:13], v[4:5], v[114:115]
	v_fma_f64 v[2:3], v[2:3], v[114:115], -v[6:7]
	v_mov_b64_e32 v[4:5], v[12:13]
.LBB33_298:
	v_cmp_ne_u32_e32 vcc, 4, v0
	s_and_saveexec_b64 s[6:7], vcc
	s_cbranch_execz .LBB33_302
; %bb.299:
	v_mov_b32_e32 v7, 0
	v_add_u32_e32 v6, 0x230, v72
	v_add3_u32 v7, v72, v7, 24
	s_mov_b64 s[8:9], 0
	v_mov_b32_e32 v12, v0
.LBB33_300:                             ; =>This Inner Loop Header: Depth=1
	v_add_u32_e32 v13, -8, v7
	scratch_load_dwordx4 v[114:117], v13, off
	ds_read_b128 v[118:121], v6
	v_add_u32_e32 v12, 1, v12
	v_cmp_lt_u32_e32 vcc, 3, v12
	v_add_u32_e32 v6, 16, v6
	v_add_u32_e32 v7, 16, v7
	s_or_b64 s[8:9], vcc, s[8:9]
	s_waitcnt vmcnt(0) lgkmcnt(0)
	v_mul_f64 v[122:123], v[120:121], v[116:117]
	v_mul_f64 v[116:117], v[118:119], v[116:117]
	v_fma_f64 v[118:119], v[118:119], v[114:115], -v[122:123]
	v_fmac_f64_e32 v[116:117], v[120:121], v[114:115]
	v_add_f64 v[2:3], v[2:3], v[118:119]
	v_add_f64 v[4:5], v[4:5], v[116:117]
	s_andn2_b64 exec, exec, s[8:9]
	s_cbranch_execnz .LBB33_300
; %bb.301:
	s_or_b64 exec, exec, s[8:9]
.LBB33_302:
	s_or_b64 exec, exec, s[6:7]
	v_mov_b32_e32 v6, 0
	ds_read_b128 v[114:117], v6 offset:80
	s_waitcnt lgkmcnt(0)
	v_mul_f64 v[6:7], v[4:5], v[116:117]
	v_mul_f64 v[118:119], v[2:3], v[116:117]
	v_fma_f64 v[116:117], v[2:3], v[114:115], -v[6:7]
	v_fmac_f64_e32 v[118:119], v[4:5], v[114:115]
	scratch_store_dwordx4 off, v[116:119], off offset:80
.LBB33_303:
	;; [unrolled: 63-line block ×28, first 2 shown]
	s_or_b64 exec, exec, s[2:3]
	scratch_load_dwordx4 v[2:5], v1, off
	v_cmp_gt_u32_e64 s[2:3], 32, v0
	s_waitcnt vmcnt(0)
	ds_write_b128 v11, v[2:5]
	s_waitcnt lgkmcnt(0)
	; wave barrier
	s_waitcnt lgkmcnt(0)
	s_and_saveexec_b64 s[6:7], s[2:3]
	s_cbranch_execz .LBB33_519
; %bb.512:
	ds_read_b128 v[2:5], v11
	s_and_b64 vcc, exec, s[0:1]
	s_cbranch_vccnz .LBB33_514
; %bb.513:
	scratch_load_dwordx4 v[114:117], v10, off
	s_waitcnt vmcnt(0) lgkmcnt(0)
	v_mul_f64 v[12:13], v[2:3], v[116:117]
	v_mul_f64 v[6:7], v[4:5], v[116:117]
	v_fmac_f64_e32 v[12:13], v[4:5], v[114:115]
	v_fma_f64 v[2:3], v[2:3], v[114:115], -v[6:7]
	v_mov_b64_e32 v[4:5], v[12:13]
.LBB33_514:
	v_cmp_ne_u32_e32 vcc, 31, v0
	s_and_saveexec_b64 s[8:9], vcc
	s_cbranch_execz .LBB33_518
; %bb.515:
	v_mov_b32_e32 v7, 0
	v_add_u32_e32 v6, 0x230, v72
	v_add3_u32 v7, v72, v7, 24
	s_mov_b64 s[10:11], 0
	v_mov_b32_e32 v12, v0
.LBB33_516:                             ; =>This Inner Loop Header: Depth=1
	v_add_u32_e32 v13, -8, v7
	scratch_load_dwordx4 v[114:117], v13, off
	ds_read_b128 v[118:121], v6
	v_add_u32_e32 v12, 1, v12
	v_cmp_lt_u32_e32 vcc, 30, v12
	v_add_u32_e32 v6, 16, v6
	v_add_u32_e32 v7, 16, v7
	s_or_b64 s[10:11], vcc, s[10:11]
	s_waitcnt vmcnt(0) lgkmcnt(0)
	v_mul_f64 v[122:123], v[120:121], v[116:117]
	v_mul_f64 v[116:117], v[118:119], v[116:117]
	v_fma_f64 v[118:119], v[118:119], v[114:115], -v[122:123]
	v_fmac_f64_e32 v[116:117], v[120:121], v[114:115]
	v_add_f64 v[2:3], v[2:3], v[118:119]
	v_add_f64 v[4:5], v[4:5], v[116:117]
	s_andn2_b64 exec, exec, s[10:11]
	s_cbranch_execnz .LBB33_516
; %bb.517:
	s_or_b64 exec, exec, s[10:11]
.LBB33_518:
	s_or_b64 exec, exec, s[8:9]
	v_mov_b32_e32 v6, 0
	ds_read_b128 v[114:117], v6 offset:512
	s_waitcnt lgkmcnt(0)
	v_mul_f64 v[6:7], v[4:5], v[116:117]
	v_mul_f64 v[118:119], v[2:3], v[116:117]
	v_fma_f64 v[116:117], v[2:3], v[114:115], -v[6:7]
	v_fmac_f64_e32 v[118:119], v[4:5], v[114:115]
	scratch_store_dwordx4 off, v[116:119], off offset:512
.LBB33_519:
	s_or_b64 exec, exec, s[6:7]
	scratch_load_dwordx4 v[2:5], v8, off
	v_cmp_ne_u32_e32 vcc, 33, v0
                                        ; implicit-def: $vgpr6_vgpr7
                                        ; implicit-def: $vgpr12
	s_waitcnt vmcnt(0)
	ds_write_b128 v11, v[2:5]
	s_waitcnt lgkmcnt(0)
	; wave barrier
	s_waitcnt lgkmcnt(0)
	s_and_saveexec_b64 s[6:7], vcc
	s_cbranch_execz .LBB33_527
; %bb.520:
	ds_read_b128 v[2:5], v11
	s_and_b64 vcc, exec, s[0:1]
	s_cbranch_vccnz .LBB33_522
; %bb.521:
	scratch_load_dwordx4 v[10:13], v10, off
	s_waitcnt vmcnt(0) lgkmcnt(0)
	v_mul_f64 v[6:7], v[4:5], v[12:13]
	v_mul_f64 v[12:13], v[2:3], v[12:13]
	v_fmac_f64_e32 v[12:13], v[4:5], v[10:11]
	v_fma_f64 v[2:3], v[2:3], v[10:11], -v[6:7]
	v_mov_b64_e32 v[4:5], v[12:13]
.LBB33_522:
	s_and_saveexec_b64 s[0:1], s[2:3]
	s_cbranch_execz .LBB33_526
; %bb.523:
	v_mov_b32_e32 v7, 0
	v_add_u32_e32 v6, 0x230, v72
	v_add3_u32 v7, v72, v7, 24
	s_mov_b64 s[2:3], 0
.LBB33_524:                             ; =>This Inner Loop Header: Depth=1
	v_add_u32_e32 v10, -8, v7
	scratch_load_dwordx4 v[10:13], v10, off
	ds_read_b128 v[114:117], v6
	v_add_u32_e32 v0, 1, v0
	v_cmp_lt_u32_e32 vcc, 31, v0
	v_add_u32_e32 v6, 16, v6
	v_add_u32_e32 v7, 16, v7
	s_or_b64 s[2:3], vcc, s[2:3]
	s_waitcnt vmcnt(0) lgkmcnt(0)
	v_mul_f64 v[118:119], v[116:117], v[12:13]
	v_mul_f64 v[12:13], v[114:115], v[12:13]
	v_fma_f64 v[114:115], v[114:115], v[10:11], -v[118:119]
	v_fmac_f64_e32 v[12:13], v[116:117], v[10:11]
	v_add_f64 v[2:3], v[2:3], v[114:115]
	v_add_f64 v[4:5], v[4:5], v[12:13]
	s_andn2_b64 exec, exec, s[2:3]
	s_cbranch_execnz .LBB33_524
; %bb.525:
	s_or_b64 exec, exec, s[2:3]
.LBB33_526:
	s_or_b64 exec, exec, s[0:1]
	v_mov_b32_e32 v0, 0
	ds_read_b128 v[114:117], v0 offset:528
	v_mov_b32_e32 v0, 0
	v_add_u32_e32 v12, 0x218, v0
	s_or_b64 s[4:5], s[4:5], exec
	s_waitcnt lgkmcnt(0)
	v_mul_f64 v[10:11], v[4:5], v[116:117]
	v_mul_f64 v[6:7], v[2:3], v[116:117]
	v_fma_f64 v[2:3], v[2:3], v[114:115], -v[10:11]
	v_fmac_f64_e32 v[6:7], v[4:5], v[114:115]
	scratch_store_dwordx2 off, v[2:3], off offset:528
.LBB33_527:
	s_or_b64 exec, exec, s[6:7]
.LBB33_528:
	s_and_saveexec_b64 s[0:1], s[4:5]
	s_cbranch_execz .LBB33_530
; %bb.529:
	scratch_store_dwordx2 v12, v[6:7], off
.LBB33_530:
	s_or_b64 exec, exec, s[0:1]
	scratch_load_dwordx4 v[2:5], off, off
	scratch_load_dwordx4 v[10:13], v107, off
	scratch_load_dwordx4 v[114:117], v111, off
	scratch_load_dwordx4 v[118:121], v109, off
	scratch_load_dwordx4 v[122:125], v112, off
	scratch_load_dwordx4 v[126:129], v110, off
                                        ; kill: killed $vgpr111
                                        ; kill: killed $vgpr112
                                        ; kill: killed $vgpr107
                                        ; kill: killed $vgpr109
                                        ; kill: killed $vgpr110
	s_nop 0
	scratch_load_dwordx4 v[108:111], v108, off
	s_waitcnt vmcnt(6)
	global_store_dwordx4 v[48:49], v[2:5], off
	scratch_load_dwordx4 v[2:5], v106, off
	s_nop 0
	scratch_load_dwordx4 v[130:133], v105, off
	s_waitcnt vmcnt(8)
	global_store_dwordx4 v[46:47], v[10:13], off
	scratch_load_dwordx4 v[10:13], v104, off
	;; [unrolled: 5-line block ×4, first 2 shown]
	s_waitcnt vmcnt(13)
	global_store_dwordx4 v[54:55], v[122:125], off
	scratch_load_dwordx4 v[100:103], v99, off
	scratch_load_dwordx4 v[116:119], v98, off
	s_waitcnt vmcnt(15)
	global_store_dwordx4 v[56:57], v[126:129], off
	scratch_load_dwordx4 v[54:57], v97, off
	s_nop 0
	scratch_load_dwordx4 v[120:123], v96, off
	s_waitcnt vmcnt(17)
	global_store_dwordx4 v[58:59], v[108:111], off
	scratch_load_dwordx4 v[96:99], v94, off
	s_nop 0
	;; [unrolled: 5-line block ×3, first 2 shown]
	scratch_load_dwordx4 v[58:61], v93, off
	s_waitcnt vmcnt(20)
	global_store_dwordx4 v[62:63], v[130:133], off
	scratch_load_dwordx4 v[92:95], v90, off
	scratch_load_dwordx4 v[124:127], v91, off
	s_waitcnt vmcnt(21)
	global_store_dwordx4 v[64:65], v[10:13], off
	scratch_load_dwordx4 v[10:13], v88, off
	s_nop 0
	scratch_load_dwordx4 v[62:65], v89, off
	s_waitcnt vmcnt(23)
	global_store_dwordx4 v[66:67], v[46:49], off
	scratch_load_dwordx4 v[46:49], v87, off
	s_nop 0
	;; [unrolled: 5-line block ×5, first 2 shown]
	scratch_load_dwordx4 v[70:73], v8, off
	s_waitcnt vmcnt(28)
	global_store_dwordx4 v[14:15], v[100:103], off
	s_waitcnt vmcnt(28)
	global_store_dwordx4 v[16:17], v[116:119], off
	;; [unrolled: 2-line block ×20, first 2 shown]
.LBB33_531:
	s_endpgm
	.section	.rodata,"a",@progbits
	.p2align	6, 0x0
	.amdhsa_kernel _ZN9rocsolver6v33100L18trti2_kernel_smallILi34E19rocblas_complex_numIdEPS3_EEv13rocblas_fill_17rocblas_diagonal_T1_iil
		.amdhsa_group_segment_fixed_size 1088
		.amdhsa_private_segment_fixed_size 560
		.amdhsa_kernarg_size 32
		.amdhsa_user_sgpr_count 2
		.amdhsa_user_sgpr_dispatch_ptr 0
		.amdhsa_user_sgpr_queue_ptr 0
		.amdhsa_user_sgpr_kernarg_segment_ptr 1
		.amdhsa_user_sgpr_dispatch_id 0
		.amdhsa_user_sgpr_kernarg_preload_length 0
		.amdhsa_user_sgpr_kernarg_preload_offset 0
		.amdhsa_user_sgpr_private_segment_size 0
		.amdhsa_uses_dynamic_stack 0
		.amdhsa_enable_private_segment 1
		.amdhsa_system_sgpr_workgroup_id_x 1
		.amdhsa_system_sgpr_workgroup_id_y 0
		.amdhsa_system_sgpr_workgroup_id_z 0
		.amdhsa_system_sgpr_workgroup_info 0
		.amdhsa_system_vgpr_workitem_id 0
		.amdhsa_next_free_vgpr 134
		.amdhsa_next_free_sgpr 12
		.amdhsa_accum_offset 136
		.amdhsa_reserve_vcc 1
		.amdhsa_float_round_mode_32 0
		.amdhsa_float_round_mode_16_64 0
		.amdhsa_float_denorm_mode_32 3
		.amdhsa_float_denorm_mode_16_64 3
		.amdhsa_dx10_clamp 1
		.amdhsa_ieee_mode 1
		.amdhsa_fp16_overflow 0
		.amdhsa_tg_split 0
		.amdhsa_exception_fp_ieee_invalid_op 0
		.amdhsa_exception_fp_denorm_src 0
		.amdhsa_exception_fp_ieee_div_zero 0
		.amdhsa_exception_fp_ieee_overflow 0
		.amdhsa_exception_fp_ieee_underflow 0
		.amdhsa_exception_fp_ieee_inexact 0
		.amdhsa_exception_int_div_zero 0
	.end_amdhsa_kernel
	.section	.text._ZN9rocsolver6v33100L18trti2_kernel_smallILi34E19rocblas_complex_numIdEPS3_EEv13rocblas_fill_17rocblas_diagonal_T1_iil,"axG",@progbits,_ZN9rocsolver6v33100L18trti2_kernel_smallILi34E19rocblas_complex_numIdEPS3_EEv13rocblas_fill_17rocblas_diagonal_T1_iil,comdat
.Lfunc_end33:
	.size	_ZN9rocsolver6v33100L18trti2_kernel_smallILi34E19rocblas_complex_numIdEPS3_EEv13rocblas_fill_17rocblas_diagonal_T1_iil, .Lfunc_end33-_ZN9rocsolver6v33100L18trti2_kernel_smallILi34E19rocblas_complex_numIdEPS3_EEv13rocblas_fill_17rocblas_diagonal_T1_iil
                                        ; -- End function
	.section	.AMDGPU.csdata,"",@progbits
; Kernel info:
; codeLenInByte = 22328
; NumSgprs: 18
; NumVgprs: 134
; NumAgprs: 0
; TotalNumVgprs: 134
; ScratchSize: 560
; MemoryBound: 0
; FloatMode: 240
; IeeeMode: 1
; LDSByteSize: 1088 bytes/workgroup (compile time only)
; SGPRBlocks: 2
; VGPRBlocks: 16
; NumSGPRsForWavesPerEU: 18
; NumVGPRsForWavesPerEU: 134
; AccumOffset: 136
; Occupancy: 3
; WaveLimiterHint : 0
; COMPUTE_PGM_RSRC2:SCRATCH_EN: 1
; COMPUTE_PGM_RSRC2:USER_SGPR: 2
; COMPUTE_PGM_RSRC2:TRAP_HANDLER: 0
; COMPUTE_PGM_RSRC2:TGID_X_EN: 1
; COMPUTE_PGM_RSRC2:TGID_Y_EN: 0
; COMPUTE_PGM_RSRC2:TGID_Z_EN: 0
; COMPUTE_PGM_RSRC2:TIDIG_COMP_CNT: 0
; COMPUTE_PGM_RSRC3_GFX90A:ACCUM_OFFSET: 33
; COMPUTE_PGM_RSRC3_GFX90A:TG_SPLIT: 0
	.section	.text._ZN9rocsolver6v33100L18trti2_kernel_smallILi35E19rocblas_complex_numIdEPS3_EEv13rocblas_fill_17rocblas_diagonal_T1_iil,"axG",@progbits,_ZN9rocsolver6v33100L18trti2_kernel_smallILi35E19rocblas_complex_numIdEPS3_EEv13rocblas_fill_17rocblas_diagonal_T1_iil,comdat
	.globl	_ZN9rocsolver6v33100L18trti2_kernel_smallILi35E19rocblas_complex_numIdEPS3_EEv13rocblas_fill_17rocblas_diagonal_T1_iil ; -- Begin function _ZN9rocsolver6v33100L18trti2_kernel_smallILi35E19rocblas_complex_numIdEPS3_EEv13rocblas_fill_17rocblas_diagonal_T1_iil
	.p2align	8
	.type	_ZN9rocsolver6v33100L18trti2_kernel_smallILi35E19rocblas_complex_numIdEPS3_EEv13rocblas_fill_17rocblas_diagonal_T1_iil,@function
_ZN9rocsolver6v33100L18trti2_kernel_smallILi35E19rocblas_complex_numIdEPS3_EEv13rocblas_fill_17rocblas_diagonal_T1_iil: ; @_ZN9rocsolver6v33100L18trti2_kernel_smallILi35E19rocblas_complex_numIdEPS3_EEv13rocblas_fill_17rocblas_diagonal_T1_iil
; %bb.0:
	v_cmp_gt_u32_e32 vcc, 35, v0
	s_and_saveexec_b64 s[4:5], vcc
	s_cbranch_execz .LBB34_547
; %bb.1:
	s_load_dwordx8 s[4:11], s[0:1], 0x0
	s_ashr_i32 s3, s2, 31
	v_lshlrev_b32_e32 v64, 4, v0
	v_mov_b32_e32 v65, 0
	s_waitcnt lgkmcnt(0)
	s_ashr_i32 s1, s8, 31
	s_mov_b32 s0, s8
	s_mul_i32 s8, s2, s11
	s_mul_hi_u32 s11, s2, s10
	s_add_i32 s8, s11, s8
	s_mul_i32 s3, s3, s10
	s_add_i32 s3, s8, s3
	s_mul_i32 s2, s2, s10
	s_lshl_b64 s[2:3], s[2:3], 4
	s_add_u32 s2, s6, s2
	s_addc_u32 s3, s7, s3
	s_lshl_b64 s[0:1], s[0:1], 4
	s_add_u32 s0, s2, s0
	s_addc_u32 s1, s3, s1
	v_lshl_add_u64 v[16:17], s[0:1], 0, v[64:65]
	s_ashr_i32 s3, s9, 31
	s_mov_b32 s2, s9
	v_lshl_add_u64 v[14:15], s[2:3], 4, v[16:17]
	s_add_i32 s2, s9, s9
	v_add_u32_e32 v20, s2, v0
	v_add_u32_e32 v22, s9, v20
	v_ashrrev_i32_e32 v21, 31, v20
	v_ashrrev_i32_e32 v23, 31, v22
	v_add_u32_e32 v24, s9, v22
	v_lshl_add_u64 v[18:19], v[20:21], 4, s[0:1]
	v_lshl_add_u64 v[20:21], v[22:23], 4, s[0:1]
	v_ashrrev_i32_e32 v25, 31, v24
	global_load_dwordx4 v[2:5], v64, s[0:1]
	global_load_dwordx4 v[6:9], v[14:15], off
	global_load_dwordx4 v[10:13], v[18:19], off
	v_lshl_add_u64 v[22:23], v[24:25], 4, s[0:1]
	global_load_dwordx4 v[52:55], v[20:21], off
	global_load_dwordx4 v[56:59], v[22:23], off
	v_add_u32_e32 v24, s9, v24
	v_add_u32_e32 v26, s9, v24
	;; [unrolled: 1-line block ×13, first 2 shown]
	v_ashrrev_i32_e32 v25, 31, v24
	v_ashrrev_i32_e32 v29, 31, v28
	;; [unrolled: 1-line block ×7, first 2 shown]
	v_add_u32_e32 v50, s9, v48
	v_lshl_add_u64 v[24:25], v[24:25], 4, s[0:1]
	v_ashrrev_i32_e32 v27, 31, v26
	v_lshl_add_u64 v[28:29], v[28:29], 4, s[0:1]
	v_ashrrev_i32_e32 v31, 31, v30
	;; [unrolled: 2-line block ×7, first 2 shown]
	v_add_u32_e32 v118, s9, v50
	v_lshl_add_u64 v[26:27], v[26:27], 4, s[0:1]
	global_load_dwordx4 v[60:63], v[24:25], off
	global_load_dwordx4 v[66:69], v[26:27], off
	v_lshl_add_u64 v[30:31], v[30:31], 4, s[0:1]
	global_load_dwordx4 v[70:73], v[28:29], off
	global_load_dwordx4 v[74:77], v[30:31], off
	;; [unrolled: 3-line block ×7, first 2 shown]
	v_ashrrev_i32_e32 v119, 31, v118
	s_cmpk_lg_i32 s5, 0x84
	s_cselect_b64 s[6:7], -1, 0
	s_cmpk_eq_i32 s5, 0x84
	s_waitcnt vmcnt(18)
	scratch_store_dwordx4 off, v[2:5], off
	s_waitcnt vmcnt(18)
	scratch_store_dwordx4 off, v[6:9], off offset:16
	s_waitcnt vmcnt(18)
	scratch_store_dwordx4 off, v[10:13], off offset:32
	;; [unrolled: 2-line block ×4, first 2 shown]
	v_add_u32_e32 v10, s9, v118
	v_ashrrev_i32_e32 v11, 31, v10
	v_lshl_add_u64 v[54:55], v[10:11], 4, s[0:1]
	v_add_u32_e32 v10, s9, v10
	v_ashrrev_i32_e32 v11, 31, v10
	v_add_u32_e32 v122, s9, v10
	v_lshl_add_u64 v[52:53], v[118:119], 4, s[0:1]
	v_lshl_add_u64 v[56:57], v[10:11], 4, s[0:1]
	v_ashrrev_i32_e32 v123, 31, v122
	global_load_dwordx4 v[2:5], v[52:53], off
	global_load_dwordx4 v[6:9], v[54:55], off
	v_lshl_add_u64 v[58:59], v[122:123], 4, s[0:1]
	global_load_dwordx4 v[10:13], v[56:57], off
	global_load_dwordx4 v[118:121], v[58:59], off
	s_waitcnt vmcnt(22)
	scratch_store_dwordx4 off, v[60:63], off offset:80
	s_waitcnt vmcnt(22)
	scratch_store_dwordx4 off, v[66:69], off offset:96
	;; [unrolled: 2-line block ×18, first 2 shown]
	v_add_u32_e32 v2, s9, v122
	v_add_u32_e32 v10, s9, v2
	v_ashrrev_i32_e32 v11, 31, v10
	v_lshl_add_u64 v[62:63], v[10:11], 4, s[0:1]
	v_add_u32_e32 v10, s9, v10
	v_add_u32_e32 v70, s9, v10
	;; [unrolled: 1-line block ×9, first 2 shown]
	v_ashrrev_i32_e32 v71, 31, v70
	v_ashrrev_i32_e32 v73, 31, v72
	;; [unrolled: 1-line block ×10, first 2 shown]
	v_lshl_add_u64 v[68:69], v[70:71], 4, s[0:1]
	v_lshl_add_u64 v[70:71], v[72:73], 4, s[0:1]
	;; [unrolled: 1-line block ×8, first 2 shown]
	v_add_u32_e32 v84, s9, v84
	v_lshl_add_u64 v[60:61], v[2:3], 4, s[0:1]
	v_lshl_add_u64 v[66:67], v[10:11], 4, s[0:1]
	v_ashrrev_i32_e32 v85, 31, v84
	global_load_dwordx4 v[2:5], v[60:61], off
	global_load_dwordx4 v[6:9], v[62:63], off
	;; [unrolled: 1-line block ×10, first 2 shown]
	v_lshl_add_u64 v[84:85], v[84:85], 4, s[0:1]
	global_load_dwordx4 v[114:117], v[82:83], off
	global_load_dwordx4 v[118:121], v[84:85], off
	s_waitcnt vmcnt(11)
	scratch_store_dwordx4 off, v[2:5], off offset:368
	s_waitcnt vmcnt(11)
	scratch_store_dwordx4 off, v[6:9], off offset:384
	;; [unrolled: 2-line block ×12, first 2 shown]
	v_mov_b32_e32 v12, 0
	s_cbranch_scc1 .LBB34_7
; %bb.2:
	scratch_load_dwordx4 v[6:9], v64, off
                                        ; implicit-def: $vgpr10_vgpr11
	s_waitcnt vmcnt(0)
	v_xor_b32_e32 v1, 0x80000000, v7
	v_cmp_gt_f64_e32 vcc, 0, v[6:7]
	v_xor_b32_e32 v4, 0x80000000, v9
	v_mov_b32_e32 v2, v6
	v_cndmask_b32_e32 v3, v7, v1, vcc
	v_cmp_gt_f64_e32 vcc, 0, v[8:9]
	s_nop 1
	v_cndmask_b32_e32 v5, v9, v4, vcc
	v_mov_b32_e32 v4, v8
	v_cmp_ngt_f64_e32 vcc, v[2:3], v[4:5]
                                        ; implicit-def: $vgpr2_vgpr3
	s_and_saveexec_b64 s[0:1], vcc
	s_xor_b64 s[0:1], exec, s[0:1]
	s_cbranch_execz .LBB34_4
; %bb.3:
	v_div_scale_f64 v[2:3], s[2:3], v[8:9], v[8:9], v[6:7]
	v_rcp_f64_e32 v[4:5], v[2:3]
	v_div_scale_f64 v[10:11], vcc, v[6:7], v[8:9], v[6:7]
	v_fma_f64 v[86:87], -v[2:3], v[4:5], 1.0
	v_fmac_f64_e32 v[4:5], v[4:5], v[86:87]
	v_fma_f64 v[86:87], -v[2:3], v[4:5], 1.0
	v_fmac_f64_e32 v[4:5], v[4:5], v[86:87]
	v_mul_f64 v[86:87], v[10:11], v[4:5]
	v_fma_f64 v[2:3], -v[2:3], v[86:87], v[10:11]
	v_div_fmas_f64 v[2:3], v[2:3], v[4:5], v[86:87]
	v_div_fixup_f64 v[2:3], v[2:3], v[8:9], v[6:7]
	v_fmac_f64_e32 v[8:9], v[6:7], v[2:3]
	v_div_scale_f64 v[4:5], s[2:3], v[8:9], v[8:9], 1.0
	v_rcp_f64_e32 v[6:7], v[4:5]
	s_nop 0
	v_fma_f64 v[10:11], -v[4:5], v[6:7], 1.0
	v_fmac_f64_e32 v[6:7], v[6:7], v[10:11]
	v_fma_f64 v[10:11], -v[4:5], v[6:7], 1.0
	v_fmac_f64_e32 v[6:7], v[6:7], v[10:11]
	v_div_scale_f64 v[10:11], vcc, 1.0, v[8:9], 1.0
	v_mul_f64 v[86:87], v[10:11], v[6:7]
	v_fma_f64 v[4:5], -v[4:5], v[86:87], v[10:11]
	s_nop 1
	v_div_fmas_f64 v[4:5], v[4:5], v[6:7], v[86:87]
	v_div_fixup_f64 v[4:5], v[4:5], v[8:9], 1.0
	v_mul_f64 v[2:3], v[2:3], v[4:5]
	v_xor_b32_e32 v5, 0x80000000, v5
	v_xor_b32_e32 v11, 0x80000000, v3
	v_mov_b32_e32 v10, v2
                                        ; implicit-def: $vgpr6_vgpr7
.LBB34_4:
	s_or_saveexec_b64 s[0:1], s[0:1]
	v_add_u32_e32 v1, 0, v64
	s_xor_b64 exec, exec, s[0:1]
	s_cbranch_execz .LBB34_6
; %bb.5:
	v_div_scale_f64 v[2:3], s[2:3], v[6:7], v[6:7], v[8:9]
	v_rcp_f64_e32 v[4:5], v[2:3]
	v_div_scale_f64 v[10:11], vcc, v[8:9], v[6:7], v[8:9]
	v_fma_f64 v[86:87], -v[2:3], v[4:5], 1.0
	v_fmac_f64_e32 v[4:5], v[4:5], v[86:87]
	v_fma_f64 v[86:87], -v[2:3], v[4:5], 1.0
	v_fmac_f64_e32 v[4:5], v[4:5], v[86:87]
	v_mul_f64 v[86:87], v[10:11], v[4:5]
	v_fma_f64 v[2:3], -v[2:3], v[86:87], v[10:11]
	v_div_fmas_f64 v[2:3], v[2:3], v[4:5], v[86:87]
	v_div_fixup_f64 v[4:5], v[2:3], v[6:7], v[8:9]
	v_fmac_f64_e32 v[6:7], v[8:9], v[4:5]
	v_div_scale_f64 v[2:3], s[2:3], v[6:7], v[6:7], 1.0
	v_rcp_f64_e32 v[8:9], v[2:3]
	s_nop 0
	v_fma_f64 v[10:11], -v[2:3], v[8:9], 1.0
	v_fmac_f64_e32 v[8:9], v[8:9], v[10:11]
	v_fma_f64 v[10:11], -v[2:3], v[8:9], 1.0
	v_fmac_f64_e32 v[8:9], v[8:9], v[10:11]
	v_div_scale_f64 v[10:11], vcc, 1.0, v[6:7], 1.0
	v_mul_f64 v[86:87], v[10:11], v[8:9]
	v_fma_f64 v[2:3], -v[2:3], v[86:87], v[10:11]
	s_nop 1
	v_div_fmas_f64 v[2:3], v[2:3], v[8:9], v[86:87]
	v_div_fixup_f64 v[2:3], v[2:3], v[6:7], 1.0
	v_xor_b32_e32 v11, 0x80000000, v3
	v_mov_b32_e32 v10, v2
	v_mul_f64 v[4:5], v[4:5], -v[2:3]
.LBB34_6:
	s_or_b64 exec, exec, s[0:1]
	scratch_store_dwordx4 v1, v[2:5], off
	s_nop 1
	v_xor_b32_e32 v5, 0x80000000, v5
	s_branch .LBB34_8
.LBB34_7:
	v_mov_b64_e32 v[4:5], 0
	v_mov_b64_e32 v[10:11], -1.0
.LBB34_8:
	v_add_u32_e32 v113, 16, v12
	v_add_u32_e32 v111, 32, v12
	;; [unrolled: 1-line block ×34, first 2 shown]
	v_mov_b32_e32 v12, v4
	v_mov_b32_e32 v13, v5
	ds_write_b128 v64, v[10:13]
	s_cmpk_eq_i32 s4, 0x79
	v_add_u32_e32 v11, 0x230, v64
	v_add_u32_e32 v10, 0, v64
	s_cbranch_scc1 .LBB34_276
; %bb.9:
	scratch_load_dwordx4 v[2:5], v1, off
	v_cmp_eq_u32_e64 s[0:1], 34, v0
	s_waitcnt vmcnt(0)
	ds_write_b128 v11, v[2:5]
	s_waitcnt lgkmcnt(0)
	; wave barrier
	s_waitcnt lgkmcnt(0)
	s_and_saveexec_b64 s[2:3], s[0:1]
	s_cbranch_execz .LBB34_13
; %bb.10:
	ds_read_b128 v[2:5], v11
	s_andn2_b64 vcc, exec, s[6:7]
	s_cbranch_vccnz .LBB34_12
; %bb.11:
	scratch_load_dwordx4 v[116:119], v10, off
	s_waitcnt vmcnt(0) lgkmcnt(0)
	v_mul_f64 v[12:13], v[2:3], v[118:119]
	v_mul_f64 v[6:7], v[4:5], v[118:119]
	v_fmac_f64_e32 v[12:13], v[4:5], v[116:117]
	v_fma_f64 v[2:3], v[2:3], v[116:117], -v[6:7]
	v_mov_b64_e32 v[4:5], v[12:13]
.LBB34_12:
	v_mov_b32_e32 v6, 0
	ds_read_b128 v[116:119], v6 offset:528
	s_waitcnt lgkmcnt(0)
	v_mul_f64 v[6:7], v[4:5], v[118:119]
	v_mul_f64 v[120:121], v[2:3], v[118:119]
	v_fma_f64 v[118:119], v[2:3], v[116:117], -v[6:7]
	v_fmac_f64_e32 v[120:121], v[4:5], v[116:117]
	scratch_store_dwordx4 off, v[118:121], off offset:528
.LBB34_13:
	s_or_b64 exec, exec, s[2:3]
	scratch_load_dwordx4 v[2:5], v9, off
	v_cmp_lt_u32_e64 s[2:3], 32, v0
	s_waitcnt vmcnt(0)
	ds_write_b128 v11, v[2:5]
	s_waitcnt lgkmcnt(0)
	; wave barrier
	s_waitcnt lgkmcnt(0)
	s_and_saveexec_b64 s[4:5], s[2:3]
	s_cbranch_execz .LBB34_19
; %bb.14:
	ds_read_b128 v[2:5], v11
	s_andn2_b64 vcc, exec, s[6:7]
	s_cbranch_vccnz .LBB34_16
; %bb.15:
	scratch_load_dwordx4 v[116:119], v10, off
	s_waitcnt vmcnt(0) lgkmcnt(0)
	v_mul_f64 v[12:13], v[2:3], v[118:119]
	v_mul_f64 v[6:7], v[4:5], v[118:119]
	v_fmac_f64_e32 v[12:13], v[4:5], v[116:117]
	v_fma_f64 v[2:3], v[2:3], v[116:117], -v[6:7]
	v_mov_b64_e32 v[4:5], v[12:13]
.LBB34_16:
	s_and_saveexec_b64 s[8:9], s[0:1]
	s_cbranch_execz .LBB34_18
; %bb.17:
	scratch_load_dwordx4 v[116:119], off, off offset:528
	v_mov_b32_e32 v6, 0
	ds_read_b128 v[120:123], v6 offset:1088
	s_waitcnt vmcnt(0) lgkmcnt(0)
	v_mul_f64 v[6:7], v[120:121], v[118:119]
	v_mul_f64 v[12:13], v[122:123], v[118:119]
	v_fmac_f64_e32 v[6:7], v[122:123], v[116:117]
	v_fma_f64 v[12:13], v[120:121], v[116:117], -v[12:13]
	v_add_f64 v[4:5], v[4:5], v[6:7]
	v_add_f64 v[2:3], v[2:3], v[12:13]
.LBB34_18:
	s_or_b64 exec, exec, s[8:9]
	v_mov_b32_e32 v6, 0
	ds_read_b128 v[116:119], v6 offset:512
	s_waitcnt lgkmcnt(0)
	v_mul_f64 v[6:7], v[4:5], v[118:119]
	v_mul_f64 v[120:121], v[2:3], v[118:119]
	v_fma_f64 v[118:119], v[2:3], v[116:117], -v[6:7]
	v_fmac_f64_e32 v[120:121], v[4:5], v[116:117]
	scratch_store_dwordx4 off, v[118:121], off offset:512
.LBB34_19:
	s_or_b64 exec, exec, s[4:5]
	scratch_load_dwordx4 v[2:5], v65, off
	v_cmp_lt_u32_e64 s[0:1], 31, v0
	s_waitcnt vmcnt(0)
	ds_write_b128 v11, v[2:5]
	s_waitcnt lgkmcnt(0)
	; wave barrier
	s_waitcnt lgkmcnt(0)
	s_and_saveexec_b64 s[4:5], s[0:1]
	s_cbranch_execz .LBB34_27
; %bb.20:
	ds_read_b128 v[2:5], v11
	s_andn2_b64 vcc, exec, s[6:7]
	s_cbranch_vccnz .LBB34_22
; %bb.21:
	scratch_load_dwordx4 v[116:119], v10, off
	s_waitcnt vmcnt(0) lgkmcnt(0)
	v_mul_f64 v[12:13], v[2:3], v[118:119]
	v_mul_f64 v[6:7], v[4:5], v[118:119]
	v_fmac_f64_e32 v[12:13], v[4:5], v[116:117]
	v_fma_f64 v[2:3], v[2:3], v[116:117], -v[6:7]
	v_mov_b64_e32 v[4:5], v[12:13]
.LBB34_22:
	s_and_saveexec_b64 s[8:9], s[2:3]
	s_cbranch_execz .LBB34_26
; %bb.23:
	v_mov_b32_e32 v7, 0
	v_subrev_u32_e32 v6, 32, v0
	v_add_u32_e32 v7, 0x208, v7
	s_movk_i32 s10, 0x430
	s_mov_b64 s[2:3], 0
.LBB34_24:                              ; =>This Inner Loop Header: Depth=1
	v_add_u32_e32 v12, -8, v7
	scratch_load_dwordx4 v[116:119], v12, off
	v_mov_b32_e32 v12, s10
	ds_read_b128 v[120:123], v12
	v_add_u32_e32 v6, -1, v6
	s_add_i32 s10, s10, 16
	v_cmp_eq_u32_e32 vcc, 0, v6
	v_add_u32_e32 v7, 16, v7
	s_or_b64 s[2:3], vcc, s[2:3]
	s_waitcnt vmcnt(0) lgkmcnt(0)
	v_mul_f64 v[12:13], v[122:123], v[118:119]
	v_mul_f64 v[118:119], v[120:121], v[118:119]
	v_fma_f64 v[12:13], v[120:121], v[116:117], -v[12:13]
	v_fmac_f64_e32 v[118:119], v[122:123], v[116:117]
	v_add_f64 v[2:3], v[2:3], v[12:13]
	v_add_f64 v[4:5], v[4:5], v[118:119]
	s_andn2_b64 exec, exec, s[2:3]
	s_cbranch_execnz .LBB34_24
; %bb.25:
	s_or_b64 exec, exec, s[2:3]
.LBB34_26:
	s_or_b64 exec, exec, s[8:9]
	v_mov_b32_e32 v6, 0
	ds_read_b128 v[116:119], v6 offset:496
	s_waitcnt lgkmcnt(0)
	v_mul_f64 v[6:7], v[4:5], v[118:119]
	v_mul_f64 v[120:121], v[2:3], v[118:119]
	v_fma_f64 v[118:119], v[2:3], v[116:117], -v[6:7]
	v_fmac_f64_e32 v[120:121], v[4:5], v[116:117]
	scratch_store_dwordx4 off, v[118:121], off offset:496
.LBB34_27:
	s_or_b64 exec, exec, s[4:5]
	scratch_load_dwordx4 v[2:5], v86, off
	v_cmp_lt_u32_e64 s[2:3], 30, v0
	s_waitcnt vmcnt(0)
	ds_write_b128 v11, v[2:5]
	s_waitcnt lgkmcnt(0)
	; wave barrier
	s_waitcnt lgkmcnt(0)
	s_and_saveexec_b64 s[4:5], s[2:3]
	s_cbranch_execz .LBB34_35
; %bb.28:
	ds_read_b128 v[2:5], v11
	s_andn2_b64 vcc, exec, s[6:7]
	s_cbranch_vccnz .LBB34_30
; %bb.29:
	scratch_load_dwordx4 v[116:119], v10, off
	s_waitcnt vmcnt(0) lgkmcnt(0)
	v_mul_f64 v[12:13], v[2:3], v[118:119]
	v_mul_f64 v[6:7], v[4:5], v[118:119]
	v_fmac_f64_e32 v[12:13], v[4:5], v[116:117]
	v_fma_f64 v[2:3], v[2:3], v[116:117], -v[6:7]
	v_mov_b64_e32 v[4:5], v[12:13]
.LBB34_30:
	s_and_saveexec_b64 s[8:9], s[0:1]
	s_cbranch_execz .LBB34_34
; %bb.31:
	v_mov_b32_e32 v7, 0
	v_subrev_u32_e32 v6, 31, v0
	v_add_u32_e32 v7, 0x1f8, v7
	s_movk_i32 s10, 0x420
	s_mov_b64 s[0:1], 0
.LBB34_32:                              ; =>This Inner Loop Header: Depth=1
	v_add_u32_e32 v12, -8, v7
	scratch_load_dwordx4 v[116:119], v12, off
	v_mov_b32_e32 v12, s10
	ds_read_b128 v[120:123], v12
	v_add_u32_e32 v6, -1, v6
	s_add_i32 s10, s10, 16
	v_cmp_eq_u32_e32 vcc, 0, v6
	v_add_u32_e32 v7, 16, v7
	s_or_b64 s[0:1], vcc, s[0:1]
	s_waitcnt vmcnt(0) lgkmcnt(0)
	v_mul_f64 v[12:13], v[122:123], v[118:119]
	v_mul_f64 v[118:119], v[120:121], v[118:119]
	v_fma_f64 v[12:13], v[120:121], v[116:117], -v[12:13]
	v_fmac_f64_e32 v[118:119], v[122:123], v[116:117]
	v_add_f64 v[2:3], v[2:3], v[12:13]
	v_add_f64 v[4:5], v[4:5], v[118:119]
	s_andn2_b64 exec, exec, s[0:1]
	s_cbranch_execnz .LBB34_32
; %bb.33:
	s_or_b64 exec, exec, s[0:1]
.LBB34_34:
	s_or_b64 exec, exec, s[8:9]
	v_mov_b32_e32 v6, 0
	ds_read_b128 v[116:119], v6 offset:480
	s_waitcnt lgkmcnt(0)
	v_mul_f64 v[6:7], v[4:5], v[118:119]
	v_mul_f64 v[120:121], v[2:3], v[118:119]
	v_fma_f64 v[118:119], v[2:3], v[116:117], -v[6:7]
	v_fmac_f64_e32 v[120:121], v[4:5], v[116:117]
	scratch_store_dwordx4 off, v[118:121], off offset:480
.LBB34_35:
	s_or_b64 exec, exec, s[4:5]
	scratch_load_dwordx4 v[2:5], v87, off
	v_cmp_lt_u32_e64 s[0:1], 29, v0
	s_waitcnt vmcnt(0)
	ds_write_b128 v11, v[2:5]
	s_waitcnt lgkmcnt(0)
	; wave barrier
	s_waitcnt lgkmcnt(0)
	s_and_saveexec_b64 s[4:5], s[0:1]
	s_cbranch_execz .LBB34_43
; %bb.36:
	ds_read_b128 v[2:5], v11
	s_andn2_b64 vcc, exec, s[6:7]
	s_cbranch_vccnz .LBB34_38
; %bb.37:
	scratch_load_dwordx4 v[116:119], v10, off
	s_waitcnt vmcnt(0) lgkmcnt(0)
	v_mul_f64 v[12:13], v[2:3], v[118:119]
	v_mul_f64 v[6:7], v[4:5], v[118:119]
	v_fmac_f64_e32 v[12:13], v[4:5], v[116:117]
	v_fma_f64 v[2:3], v[2:3], v[116:117], -v[6:7]
	v_mov_b64_e32 v[4:5], v[12:13]
.LBB34_38:
	s_and_saveexec_b64 s[8:9], s[2:3]
	s_cbranch_execz .LBB34_42
; %bb.39:
	v_mov_b32_e32 v7, 0
	v_subrev_u32_e32 v6, 30, v0
	v_add_u32_e32 v7, 0x1e8, v7
	s_movk_i32 s10, 0x410
	s_mov_b64 s[2:3], 0
.LBB34_40:                              ; =>This Inner Loop Header: Depth=1
	v_add_u32_e32 v12, -8, v7
	scratch_load_dwordx4 v[116:119], v12, off
	v_mov_b32_e32 v12, s10
	ds_read_b128 v[120:123], v12
	v_add_u32_e32 v6, -1, v6
	s_add_i32 s10, s10, 16
	v_cmp_eq_u32_e32 vcc, 0, v6
	v_add_u32_e32 v7, 16, v7
	s_or_b64 s[2:3], vcc, s[2:3]
	s_waitcnt vmcnt(0) lgkmcnt(0)
	v_mul_f64 v[12:13], v[122:123], v[118:119]
	v_mul_f64 v[118:119], v[120:121], v[118:119]
	v_fma_f64 v[12:13], v[120:121], v[116:117], -v[12:13]
	v_fmac_f64_e32 v[118:119], v[122:123], v[116:117]
	v_add_f64 v[2:3], v[2:3], v[12:13]
	v_add_f64 v[4:5], v[4:5], v[118:119]
	s_andn2_b64 exec, exec, s[2:3]
	s_cbranch_execnz .LBB34_40
; %bb.41:
	s_or_b64 exec, exec, s[2:3]
.LBB34_42:
	s_or_b64 exec, exec, s[8:9]
	v_mov_b32_e32 v6, 0
	ds_read_b128 v[116:119], v6 offset:464
	s_waitcnt lgkmcnt(0)
	v_mul_f64 v[6:7], v[4:5], v[118:119]
	v_mul_f64 v[120:121], v[2:3], v[118:119]
	v_fma_f64 v[118:119], v[2:3], v[116:117], -v[6:7]
	v_fmac_f64_e32 v[120:121], v[4:5], v[116:117]
	scratch_store_dwordx4 off, v[118:121], off offset:464
.LBB34_43:
	s_or_b64 exec, exec, s[4:5]
	scratch_load_dwordx4 v[2:5], v88, off
	v_cmp_lt_u32_e64 s[2:3], 28, v0
	s_waitcnt vmcnt(0)
	ds_write_b128 v11, v[2:5]
	s_waitcnt lgkmcnt(0)
	; wave barrier
	s_waitcnt lgkmcnt(0)
	s_and_saveexec_b64 s[4:5], s[2:3]
	s_cbranch_execz .LBB34_51
; %bb.44:
	ds_read_b128 v[2:5], v11
	s_andn2_b64 vcc, exec, s[6:7]
	s_cbranch_vccnz .LBB34_46
; %bb.45:
	scratch_load_dwordx4 v[116:119], v10, off
	s_waitcnt vmcnt(0) lgkmcnt(0)
	v_mul_f64 v[12:13], v[2:3], v[118:119]
	v_mul_f64 v[6:7], v[4:5], v[118:119]
	v_fmac_f64_e32 v[12:13], v[4:5], v[116:117]
	v_fma_f64 v[2:3], v[2:3], v[116:117], -v[6:7]
	v_mov_b64_e32 v[4:5], v[12:13]
.LBB34_46:
	s_and_saveexec_b64 s[8:9], s[0:1]
	s_cbranch_execz .LBB34_50
; %bb.47:
	v_mov_b32_e32 v7, 0
	v_subrev_u32_e32 v6, 29, v0
	v_add_u32_e32 v7, 0x1d8, v7
	s_movk_i32 s10, 0x400
	s_mov_b64 s[0:1], 0
.LBB34_48:                              ; =>This Inner Loop Header: Depth=1
	v_add_u32_e32 v12, -8, v7
	scratch_load_dwordx4 v[116:119], v12, off
	v_mov_b32_e32 v12, s10
	ds_read_b128 v[120:123], v12
	v_add_u32_e32 v6, -1, v6
	s_add_i32 s10, s10, 16
	v_cmp_eq_u32_e32 vcc, 0, v6
	v_add_u32_e32 v7, 16, v7
	s_or_b64 s[0:1], vcc, s[0:1]
	s_waitcnt vmcnt(0) lgkmcnt(0)
	v_mul_f64 v[12:13], v[122:123], v[118:119]
	v_mul_f64 v[118:119], v[120:121], v[118:119]
	v_fma_f64 v[12:13], v[120:121], v[116:117], -v[12:13]
	v_fmac_f64_e32 v[118:119], v[122:123], v[116:117]
	v_add_f64 v[2:3], v[2:3], v[12:13]
	v_add_f64 v[4:5], v[4:5], v[118:119]
	s_andn2_b64 exec, exec, s[0:1]
	s_cbranch_execnz .LBB34_48
; %bb.49:
	s_or_b64 exec, exec, s[0:1]
.LBB34_50:
	s_or_b64 exec, exec, s[8:9]
	v_mov_b32_e32 v6, 0
	ds_read_b128 v[116:119], v6 offset:448
	s_waitcnt lgkmcnt(0)
	v_mul_f64 v[6:7], v[4:5], v[118:119]
	v_mul_f64 v[120:121], v[2:3], v[118:119]
	v_fma_f64 v[118:119], v[2:3], v[116:117], -v[6:7]
	v_fmac_f64_e32 v[120:121], v[4:5], v[116:117]
	scratch_store_dwordx4 off, v[118:121], off offset:448
.LBB34_51:
	s_or_b64 exec, exec, s[4:5]
	scratch_load_dwordx4 v[2:5], v89, off
	v_cmp_lt_u32_e64 s[0:1], 27, v0
	s_waitcnt vmcnt(0)
	ds_write_b128 v11, v[2:5]
	s_waitcnt lgkmcnt(0)
	; wave barrier
	s_waitcnt lgkmcnt(0)
	s_and_saveexec_b64 s[4:5], s[0:1]
	s_cbranch_execz .LBB34_59
; %bb.52:
	ds_read_b128 v[2:5], v11
	s_andn2_b64 vcc, exec, s[6:7]
	s_cbranch_vccnz .LBB34_54
; %bb.53:
	scratch_load_dwordx4 v[116:119], v10, off
	s_waitcnt vmcnt(0) lgkmcnt(0)
	v_mul_f64 v[12:13], v[2:3], v[118:119]
	v_mul_f64 v[6:7], v[4:5], v[118:119]
	v_fmac_f64_e32 v[12:13], v[4:5], v[116:117]
	v_fma_f64 v[2:3], v[2:3], v[116:117], -v[6:7]
	v_mov_b64_e32 v[4:5], v[12:13]
.LBB34_54:
	s_and_saveexec_b64 s[8:9], s[2:3]
	s_cbranch_execz .LBB34_58
; %bb.55:
	v_mov_b32_e32 v7, 0
	v_subrev_u32_e32 v6, 28, v0
	v_add_u32_e32 v7, 0x1c8, v7
	s_movk_i32 s10, 0x3f0
	s_mov_b64 s[2:3], 0
.LBB34_56:                              ; =>This Inner Loop Header: Depth=1
	v_add_u32_e32 v12, -8, v7
	scratch_load_dwordx4 v[116:119], v12, off
	v_mov_b32_e32 v12, s10
	ds_read_b128 v[120:123], v12
	v_add_u32_e32 v6, -1, v6
	s_add_i32 s10, s10, 16
	v_cmp_eq_u32_e32 vcc, 0, v6
	v_add_u32_e32 v7, 16, v7
	s_or_b64 s[2:3], vcc, s[2:3]
	s_waitcnt vmcnt(0) lgkmcnt(0)
	v_mul_f64 v[12:13], v[122:123], v[118:119]
	v_mul_f64 v[118:119], v[120:121], v[118:119]
	v_fma_f64 v[12:13], v[120:121], v[116:117], -v[12:13]
	v_fmac_f64_e32 v[118:119], v[122:123], v[116:117]
	v_add_f64 v[2:3], v[2:3], v[12:13]
	v_add_f64 v[4:5], v[4:5], v[118:119]
	s_andn2_b64 exec, exec, s[2:3]
	s_cbranch_execnz .LBB34_56
; %bb.57:
	s_or_b64 exec, exec, s[2:3]
.LBB34_58:
	s_or_b64 exec, exec, s[8:9]
	v_mov_b32_e32 v6, 0
	ds_read_b128 v[116:119], v6 offset:432
	s_waitcnt lgkmcnt(0)
	v_mul_f64 v[6:7], v[4:5], v[118:119]
	v_mul_f64 v[120:121], v[2:3], v[118:119]
	v_fma_f64 v[118:119], v[2:3], v[116:117], -v[6:7]
	v_fmac_f64_e32 v[120:121], v[4:5], v[116:117]
	scratch_store_dwordx4 off, v[118:121], off offset:432
.LBB34_59:
	s_or_b64 exec, exec, s[4:5]
	scratch_load_dwordx4 v[2:5], v91, off
	v_cmp_lt_u32_e64 s[2:3], 26, v0
	s_waitcnt vmcnt(0)
	ds_write_b128 v11, v[2:5]
	s_waitcnt lgkmcnt(0)
	; wave barrier
	s_waitcnt lgkmcnt(0)
	s_and_saveexec_b64 s[4:5], s[2:3]
	s_cbranch_execz .LBB34_67
; %bb.60:
	ds_read_b128 v[2:5], v11
	s_andn2_b64 vcc, exec, s[6:7]
	s_cbranch_vccnz .LBB34_62
; %bb.61:
	scratch_load_dwordx4 v[116:119], v10, off
	s_waitcnt vmcnt(0) lgkmcnt(0)
	v_mul_f64 v[12:13], v[2:3], v[118:119]
	v_mul_f64 v[6:7], v[4:5], v[118:119]
	v_fmac_f64_e32 v[12:13], v[4:5], v[116:117]
	v_fma_f64 v[2:3], v[2:3], v[116:117], -v[6:7]
	v_mov_b64_e32 v[4:5], v[12:13]
.LBB34_62:
	s_and_saveexec_b64 s[8:9], s[0:1]
	s_cbranch_execz .LBB34_66
; %bb.63:
	v_mov_b32_e32 v7, 0
	v_subrev_u32_e32 v6, 27, v0
	v_add_u32_e32 v7, 0x1b8, v7
	s_movk_i32 s10, 0x3e0
	s_mov_b64 s[0:1], 0
.LBB34_64:                              ; =>This Inner Loop Header: Depth=1
	v_add_u32_e32 v12, -8, v7
	scratch_load_dwordx4 v[116:119], v12, off
	v_mov_b32_e32 v12, s10
	ds_read_b128 v[120:123], v12
	v_add_u32_e32 v6, -1, v6
	s_add_i32 s10, s10, 16
	v_cmp_eq_u32_e32 vcc, 0, v6
	v_add_u32_e32 v7, 16, v7
	s_or_b64 s[0:1], vcc, s[0:1]
	s_waitcnt vmcnt(0) lgkmcnt(0)
	v_mul_f64 v[12:13], v[122:123], v[118:119]
	v_mul_f64 v[118:119], v[120:121], v[118:119]
	v_fma_f64 v[12:13], v[120:121], v[116:117], -v[12:13]
	v_fmac_f64_e32 v[118:119], v[122:123], v[116:117]
	v_add_f64 v[2:3], v[2:3], v[12:13]
	v_add_f64 v[4:5], v[4:5], v[118:119]
	s_andn2_b64 exec, exec, s[0:1]
	s_cbranch_execnz .LBB34_64
; %bb.65:
	s_or_b64 exec, exec, s[0:1]
.LBB34_66:
	s_or_b64 exec, exec, s[8:9]
	v_mov_b32_e32 v6, 0
	ds_read_b128 v[116:119], v6 offset:416
	s_waitcnt lgkmcnt(0)
	v_mul_f64 v[6:7], v[4:5], v[118:119]
	v_mul_f64 v[120:121], v[2:3], v[118:119]
	v_fma_f64 v[118:119], v[2:3], v[116:117], -v[6:7]
	v_fmac_f64_e32 v[120:121], v[4:5], v[116:117]
	scratch_store_dwordx4 off, v[118:121], off offset:416
.LBB34_67:
	s_or_b64 exec, exec, s[4:5]
	scratch_load_dwordx4 v[2:5], v90, off
	v_cmp_lt_u32_e64 s[0:1], 25, v0
	s_waitcnt vmcnt(0)
	ds_write_b128 v11, v[2:5]
	s_waitcnt lgkmcnt(0)
	; wave barrier
	s_waitcnt lgkmcnt(0)
	s_and_saveexec_b64 s[4:5], s[0:1]
	s_cbranch_execz .LBB34_75
; %bb.68:
	ds_read_b128 v[2:5], v11
	s_andn2_b64 vcc, exec, s[6:7]
	s_cbranch_vccnz .LBB34_70
; %bb.69:
	scratch_load_dwordx4 v[116:119], v10, off
	s_waitcnt vmcnt(0) lgkmcnt(0)
	v_mul_f64 v[12:13], v[2:3], v[118:119]
	v_mul_f64 v[6:7], v[4:5], v[118:119]
	v_fmac_f64_e32 v[12:13], v[4:5], v[116:117]
	v_fma_f64 v[2:3], v[2:3], v[116:117], -v[6:7]
	v_mov_b64_e32 v[4:5], v[12:13]
.LBB34_70:
	s_and_saveexec_b64 s[8:9], s[2:3]
	s_cbranch_execz .LBB34_74
; %bb.71:
	v_mov_b32_e32 v7, 0
	v_subrev_u32_e32 v6, 26, v0
	v_add_u32_e32 v7, 0x1a8, v7
	s_movk_i32 s10, 0x3d0
	s_mov_b64 s[2:3], 0
.LBB34_72:                              ; =>This Inner Loop Header: Depth=1
	v_add_u32_e32 v12, -8, v7
	scratch_load_dwordx4 v[116:119], v12, off
	v_mov_b32_e32 v12, s10
	ds_read_b128 v[120:123], v12
	v_add_u32_e32 v6, -1, v6
	s_add_i32 s10, s10, 16
	v_cmp_eq_u32_e32 vcc, 0, v6
	v_add_u32_e32 v7, 16, v7
	s_or_b64 s[2:3], vcc, s[2:3]
	s_waitcnt vmcnt(0) lgkmcnt(0)
	v_mul_f64 v[12:13], v[122:123], v[118:119]
	v_mul_f64 v[118:119], v[120:121], v[118:119]
	v_fma_f64 v[12:13], v[120:121], v[116:117], -v[12:13]
	v_fmac_f64_e32 v[118:119], v[122:123], v[116:117]
	v_add_f64 v[2:3], v[2:3], v[12:13]
	v_add_f64 v[4:5], v[4:5], v[118:119]
	s_andn2_b64 exec, exec, s[2:3]
	s_cbranch_execnz .LBB34_72
; %bb.73:
	s_or_b64 exec, exec, s[2:3]
.LBB34_74:
	s_or_b64 exec, exec, s[8:9]
	v_mov_b32_e32 v6, 0
	ds_read_b128 v[116:119], v6 offset:400
	s_waitcnt lgkmcnt(0)
	v_mul_f64 v[6:7], v[4:5], v[118:119]
	v_mul_f64 v[120:121], v[2:3], v[118:119]
	v_fma_f64 v[118:119], v[2:3], v[116:117], -v[6:7]
	v_fmac_f64_e32 v[120:121], v[4:5], v[116:117]
	scratch_store_dwordx4 off, v[118:121], off offset:400
.LBB34_75:
	s_or_b64 exec, exec, s[4:5]
	scratch_load_dwordx4 v[2:5], v93, off
	v_cmp_lt_u32_e64 s[2:3], 24, v0
	s_waitcnt vmcnt(0)
	ds_write_b128 v11, v[2:5]
	s_waitcnt lgkmcnt(0)
	; wave barrier
	s_waitcnt lgkmcnt(0)
	s_and_saveexec_b64 s[4:5], s[2:3]
	s_cbranch_execz .LBB34_83
; %bb.76:
	ds_read_b128 v[2:5], v11
	s_andn2_b64 vcc, exec, s[6:7]
	s_cbranch_vccnz .LBB34_78
; %bb.77:
	scratch_load_dwordx4 v[116:119], v10, off
	s_waitcnt vmcnt(0) lgkmcnt(0)
	v_mul_f64 v[12:13], v[2:3], v[118:119]
	v_mul_f64 v[6:7], v[4:5], v[118:119]
	v_fmac_f64_e32 v[12:13], v[4:5], v[116:117]
	v_fma_f64 v[2:3], v[2:3], v[116:117], -v[6:7]
	v_mov_b64_e32 v[4:5], v[12:13]
.LBB34_78:
	s_and_saveexec_b64 s[8:9], s[0:1]
	s_cbranch_execz .LBB34_82
; %bb.79:
	v_mov_b32_e32 v7, 0
	v_subrev_u32_e32 v6, 25, v0
	v_add_u32_e32 v7, 0x198, v7
	s_movk_i32 s10, 0x3c0
	s_mov_b64 s[0:1], 0
.LBB34_80:                              ; =>This Inner Loop Header: Depth=1
	v_add_u32_e32 v12, -8, v7
	scratch_load_dwordx4 v[116:119], v12, off
	v_mov_b32_e32 v12, s10
	ds_read_b128 v[120:123], v12
	v_add_u32_e32 v6, -1, v6
	s_add_i32 s10, s10, 16
	v_cmp_eq_u32_e32 vcc, 0, v6
	v_add_u32_e32 v7, 16, v7
	s_or_b64 s[0:1], vcc, s[0:1]
	s_waitcnt vmcnt(0) lgkmcnt(0)
	v_mul_f64 v[12:13], v[122:123], v[118:119]
	v_mul_f64 v[118:119], v[120:121], v[118:119]
	v_fma_f64 v[12:13], v[120:121], v[116:117], -v[12:13]
	v_fmac_f64_e32 v[118:119], v[122:123], v[116:117]
	v_add_f64 v[2:3], v[2:3], v[12:13]
	v_add_f64 v[4:5], v[4:5], v[118:119]
	s_andn2_b64 exec, exec, s[0:1]
	s_cbranch_execnz .LBB34_80
; %bb.81:
	s_or_b64 exec, exec, s[0:1]
.LBB34_82:
	s_or_b64 exec, exec, s[8:9]
	v_mov_b32_e32 v6, 0
	ds_read_b128 v[116:119], v6 offset:384
	s_waitcnt lgkmcnt(0)
	v_mul_f64 v[6:7], v[4:5], v[118:119]
	v_mul_f64 v[120:121], v[2:3], v[118:119]
	v_fma_f64 v[118:119], v[2:3], v[116:117], -v[6:7]
	v_fmac_f64_e32 v[120:121], v[4:5], v[116:117]
	scratch_store_dwordx4 off, v[118:121], off offset:384
.LBB34_83:
	s_or_b64 exec, exec, s[4:5]
	scratch_load_dwordx4 v[2:5], v92, off
	v_cmp_lt_u32_e64 s[0:1], 23, v0
	s_waitcnt vmcnt(0)
	ds_write_b128 v11, v[2:5]
	s_waitcnt lgkmcnt(0)
	; wave barrier
	s_waitcnt lgkmcnt(0)
	s_and_saveexec_b64 s[4:5], s[0:1]
	s_cbranch_execz .LBB34_91
; %bb.84:
	ds_read_b128 v[2:5], v11
	s_andn2_b64 vcc, exec, s[6:7]
	s_cbranch_vccnz .LBB34_86
; %bb.85:
	scratch_load_dwordx4 v[116:119], v10, off
	s_waitcnt vmcnt(0) lgkmcnt(0)
	v_mul_f64 v[12:13], v[2:3], v[118:119]
	v_mul_f64 v[6:7], v[4:5], v[118:119]
	v_fmac_f64_e32 v[12:13], v[4:5], v[116:117]
	v_fma_f64 v[2:3], v[2:3], v[116:117], -v[6:7]
	v_mov_b64_e32 v[4:5], v[12:13]
.LBB34_86:
	s_and_saveexec_b64 s[8:9], s[2:3]
	s_cbranch_execz .LBB34_90
; %bb.87:
	v_mov_b32_e32 v7, 0
	v_subrev_u32_e32 v6, 24, v0
	v_add_u32_e32 v7, 0x188, v7
	s_movk_i32 s10, 0x3b0
	s_mov_b64 s[2:3], 0
.LBB34_88:                              ; =>This Inner Loop Header: Depth=1
	v_add_u32_e32 v12, -8, v7
	scratch_load_dwordx4 v[116:119], v12, off
	v_mov_b32_e32 v12, s10
	ds_read_b128 v[120:123], v12
	v_add_u32_e32 v6, -1, v6
	s_add_i32 s10, s10, 16
	v_cmp_eq_u32_e32 vcc, 0, v6
	v_add_u32_e32 v7, 16, v7
	s_or_b64 s[2:3], vcc, s[2:3]
	s_waitcnt vmcnt(0) lgkmcnt(0)
	v_mul_f64 v[12:13], v[122:123], v[118:119]
	v_mul_f64 v[118:119], v[120:121], v[118:119]
	v_fma_f64 v[12:13], v[120:121], v[116:117], -v[12:13]
	v_fmac_f64_e32 v[118:119], v[122:123], v[116:117]
	v_add_f64 v[2:3], v[2:3], v[12:13]
	v_add_f64 v[4:5], v[4:5], v[118:119]
	s_andn2_b64 exec, exec, s[2:3]
	s_cbranch_execnz .LBB34_88
; %bb.89:
	s_or_b64 exec, exec, s[2:3]
.LBB34_90:
	s_or_b64 exec, exec, s[8:9]
	v_mov_b32_e32 v6, 0
	ds_read_b128 v[116:119], v6 offset:368
	s_waitcnt lgkmcnt(0)
	v_mul_f64 v[6:7], v[4:5], v[118:119]
	v_mul_f64 v[120:121], v[2:3], v[118:119]
	v_fma_f64 v[118:119], v[2:3], v[116:117], -v[6:7]
	v_fmac_f64_e32 v[120:121], v[4:5], v[116:117]
	scratch_store_dwordx4 off, v[118:121], off offset:368
.LBB34_91:
	s_or_b64 exec, exec, s[4:5]
	scratch_load_dwordx4 v[2:5], v95, off
	v_cmp_lt_u32_e64 s[2:3], 22, v0
	s_waitcnt vmcnt(0)
	ds_write_b128 v11, v[2:5]
	s_waitcnt lgkmcnt(0)
	; wave barrier
	s_waitcnt lgkmcnt(0)
	s_and_saveexec_b64 s[4:5], s[2:3]
	s_cbranch_execz .LBB34_99
; %bb.92:
	ds_read_b128 v[2:5], v11
	s_andn2_b64 vcc, exec, s[6:7]
	s_cbranch_vccnz .LBB34_94
; %bb.93:
	scratch_load_dwordx4 v[116:119], v10, off
	s_waitcnt vmcnt(0) lgkmcnt(0)
	v_mul_f64 v[12:13], v[2:3], v[118:119]
	v_mul_f64 v[6:7], v[4:5], v[118:119]
	v_fmac_f64_e32 v[12:13], v[4:5], v[116:117]
	v_fma_f64 v[2:3], v[2:3], v[116:117], -v[6:7]
	v_mov_b64_e32 v[4:5], v[12:13]
.LBB34_94:
	s_and_saveexec_b64 s[8:9], s[0:1]
	s_cbranch_execz .LBB34_98
; %bb.95:
	v_mov_b32_e32 v7, 0
	v_subrev_u32_e32 v6, 23, v0
	v_add_u32_e32 v7, 0x178, v7
	s_movk_i32 s10, 0x3a0
	s_mov_b64 s[0:1], 0
.LBB34_96:                              ; =>This Inner Loop Header: Depth=1
	v_add_u32_e32 v12, -8, v7
	scratch_load_dwordx4 v[116:119], v12, off
	v_mov_b32_e32 v12, s10
	ds_read_b128 v[120:123], v12
	v_add_u32_e32 v6, -1, v6
	s_add_i32 s10, s10, 16
	v_cmp_eq_u32_e32 vcc, 0, v6
	v_add_u32_e32 v7, 16, v7
	s_or_b64 s[0:1], vcc, s[0:1]
	s_waitcnt vmcnt(0) lgkmcnt(0)
	v_mul_f64 v[12:13], v[122:123], v[118:119]
	v_mul_f64 v[118:119], v[120:121], v[118:119]
	v_fma_f64 v[12:13], v[120:121], v[116:117], -v[12:13]
	v_fmac_f64_e32 v[118:119], v[122:123], v[116:117]
	v_add_f64 v[2:3], v[2:3], v[12:13]
	v_add_f64 v[4:5], v[4:5], v[118:119]
	s_andn2_b64 exec, exec, s[0:1]
	s_cbranch_execnz .LBB34_96
; %bb.97:
	s_or_b64 exec, exec, s[0:1]
.LBB34_98:
	s_or_b64 exec, exec, s[8:9]
	v_mov_b32_e32 v6, 0
	ds_read_b128 v[116:119], v6 offset:352
	s_waitcnt lgkmcnt(0)
	v_mul_f64 v[6:7], v[4:5], v[118:119]
	v_mul_f64 v[120:121], v[2:3], v[118:119]
	v_fma_f64 v[118:119], v[2:3], v[116:117], -v[6:7]
	v_fmac_f64_e32 v[120:121], v[4:5], v[116:117]
	scratch_store_dwordx4 off, v[118:121], off offset:352
.LBB34_99:
	s_or_b64 exec, exec, s[4:5]
	scratch_load_dwordx4 v[2:5], v94, off
	v_cmp_lt_u32_e64 s[0:1], 21, v0
	s_waitcnt vmcnt(0)
	ds_write_b128 v11, v[2:5]
	s_waitcnt lgkmcnt(0)
	; wave barrier
	s_waitcnt lgkmcnt(0)
	s_and_saveexec_b64 s[4:5], s[0:1]
	s_cbranch_execz .LBB34_107
; %bb.100:
	ds_read_b128 v[2:5], v11
	s_andn2_b64 vcc, exec, s[6:7]
	s_cbranch_vccnz .LBB34_102
; %bb.101:
	scratch_load_dwordx4 v[116:119], v10, off
	s_waitcnt vmcnt(0) lgkmcnt(0)
	v_mul_f64 v[12:13], v[2:3], v[118:119]
	v_mul_f64 v[6:7], v[4:5], v[118:119]
	v_fmac_f64_e32 v[12:13], v[4:5], v[116:117]
	v_fma_f64 v[2:3], v[2:3], v[116:117], -v[6:7]
	v_mov_b64_e32 v[4:5], v[12:13]
.LBB34_102:
	s_and_saveexec_b64 s[8:9], s[2:3]
	s_cbranch_execz .LBB34_106
; %bb.103:
	v_mov_b32_e32 v7, 0
	v_subrev_u32_e32 v6, 22, v0
	v_add_u32_e32 v7, 0x168, v7
	s_movk_i32 s10, 0x390
	s_mov_b64 s[2:3], 0
.LBB34_104:                             ; =>This Inner Loop Header: Depth=1
	v_add_u32_e32 v12, -8, v7
	scratch_load_dwordx4 v[116:119], v12, off
	v_mov_b32_e32 v12, s10
	ds_read_b128 v[120:123], v12
	v_add_u32_e32 v6, -1, v6
	s_add_i32 s10, s10, 16
	v_cmp_eq_u32_e32 vcc, 0, v6
	v_add_u32_e32 v7, 16, v7
	s_or_b64 s[2:3], vcc, s[2:3]
	s_waitcnt vmcnt(0) lgkmcnt(0)
	v_mul_f64 v[12:13], v[122:123], v[118:119]
	v_mul_f64 v[118:119], v[120:121], v[118:119]
	v_fma_f64 v[12:13], v[120:121], v[116:117], -v[12:13]
	v_fmac_f64_e32 v[118:119], v[122:123], v[116:117]
	v_add_f64 v[2:3], v[2:3], v[12:13]
	v_add_f64 v[4:5], v[4:5], v[118:119]
	s_andn2_b64 exec, exec, s[2:3]
	s_cbranch_execnz .LBB34_104
; %bb.105:
	s_or_b64 exec, exec, s[2:3]
.LBB34_106:
	s_or_b64 exec, exec, s[8:9]
	v_mov_b32_e32 v6, 0
	ds_read_b128 v[116:119], v6 offset:336
	s_waitcnt lgkmcnt(0)
	v_mul_f64 v[6:7], v[4:5], v[118:119]
	v_mul_f64 v[120:121], v[2:3], v[118:119]
	v_fma_f64 v[118:119], v[2:3], v[116:117], -v[6:7]
	v_fmac_f64_e32 v[120:121], v[4:5], v[116:117]
	scratch_store_dwordx4 off, v[118:121], off offset:336
.LBB34_107:
	s_or_b64 exec, exec, s[4:5]
	scratch_load_dwordx4 v[2:5], v96, off
	v_cmp_lt_u32_e64 s[2:3], 20, v0
	s_waitcnt vmcnt(0)
	ds_write_b128 v11, v[2:5]
	s_waitcnt lgkmcnt(0)
	; wave barrier
	s_waitcnt lgkmcnt(0)
	s_and_saveexec_b64 s[4:5], s[2:3]
	s_cbranch_execz .LBB34_115
; %bb.108:
	ds_read_b128 v[2:5], v11
	s_andn2_b64 vcc, exec, s[6:7]
	s_cbranch_vccnz .LBB34_110
; %bb.109:
	scratch_load_dwordx4 v[116:119], v10, off
	s_waitcnt vmcnt(0) lgkmcnt(0)
	v_mul_f64 v[12:13], v[2:3], v[118:119]
	v_mul_f64 v[6:7], v[4:5], v[118:119]
	v_fmac_f64_e32 v[12:13], v[4:5], v[116:117]
	v_fma_f64 v[2:3], v[2:3], v[116:117], -v[6:7]
	v_mov_b64_e32 v[4:5], v[12:13]
.LBB34_110:
	s_and_saveexec_b64 s[8:9], s[0:1]
	s_cbranch_execz .LBB34_114
; %bb.111:
	v_mov_b32_e32 v7, 0
	v_subrev_u32_e32 v6, 21, v0
	v_add_u32_e32 v7, 0x158, v7
	s_movk_i32 s10, 0x380
	s_mov_b64 s[0:1], 0
.LBB34_112:                             ; =>This Inner Loop Header: Depth=1
	v_add_u32_e32 v12, -8, v7
	scratch_load_dwordx4 v[116:119], v12, off
	v_mov_b32_e32 v12, s10
	ds_read_b128 v[120:123], v12
	v_add_u32_e32 v6, -1, v6
	s_add_i32 s10, s10, 16
	v_cmp_eq_u32_e32 vcc, 0, v6
	v_add_u32_e32 v7, 16, v7
	s_or_b64 s[0:1], vcc, s[0:1]
	s_waitcnt vmcnt(0) lgkmcnt(0)
	v_mul_f64 v[12:13], v[122:123], v[118:119]
	v_mul_f64 v[118:119], v[120:121], v[118:119]
	v_fma_f64 v[12:13], v[120:121], v[116:117], -v[12:13]
	v_fmac_f64_e32 v[118:119], v[122:123], v[116:117]
	v_add_f64 v[2:3], v[2:3], v[12:13]
	v_add_f64 v[4:5], v[4:5], v[118:119]
	s_andn2_b64 exec, exec, s[0:1]
	s_cbranch_execnz .LBB34_112
; %bb.113:
	s_or_b64 exec, exec, s[0:1]
.LBB34_114:
	s_or_b64 exec, exec, s[8:9]
	v_mov_b32_e32 v6, 0
	ds_read_b128 v[116:119], v6 offset:320
	s_waitcnt lgkmcnt(0)
	v_mul_f64 v[6:7], v[4:5], v[118:119]
	v_mul_f64 v[120:121], v[2:3], v[118:119]
	v_fma_f64 v[118:119], v[2:3], v[116:117], -v[6:7]
	v_fmac_f64_e32 v[120:121], v[4:5], v[116:117]
	scratch_store_dwordx4 off, v[118:121], off offset:320
.LBB34_115:
	;; [unrolled: 63-line block ×6, first 2 shown]
	s_or_b64 exec, exec, s[4:5]
	scratch_load_dwordx4 v[2:5], v101, off
	v_cmp_lt_u32_e64 s[0:1], 15, v0
	s_waitcnt vmcnt(0)
	ds_write_b128 v11, v[2:5]
	s_waitcnt lgkmcnt(0)
	; wave barrier
	s_waitcnt lgkmcnt(0)
	s_and_saveexec_b64 s[4:5], s[0:1]
	s_cbranch_execz .LBB34_155
; %bb.148:
	ds_read_b128 v[2:5], v11
	s_andn2_b64 vcc, exec, s[6:7]
	s_cbranch_vccnz .LBB34_150
; %bb.149:
	scratch_load_dwordx4 v[116:119], v10, off
	s_waitcnt vmcnt(0) lgkmcnt(0)
	v_mul_f64 v[12:13], v[2:3], v[118:119]
	v_mul_f64 v[6:7], v[4:5], v[118:119]
	v_fmac_f64_e32 v[12:13], v[4:5], v[116:117]
	v_fma_f64 v[2:3], v[2:3], v[116:117], -v[6:7]
	v_mov_b64_e32 v[4:5], v[12:13]
.LBB34_150:
	s_and_saveexec_b64 s[8:9], s[2:3]
	s_cbranch_execz .LBB34_154
; %bb.151:
	v_mov_b32_e32 v7, 0
	v_add_u32_e32 v6, -16, v0
	v_add_u32_e32 v7, 0x108, v7
	s_movk_i32 s10, 0x330
	s_mov_b64 s[2:3], 0
.LBB34_152:                             ; =>This Inner Loop Header: Depth=1
	v_add_u32_e32 v12, -8, v7
	scratch_load_dwordx4 v[116:119], v12, off
	v_mov_b32_e32 v12, s10
	ds_read_b128 v[120:123], v12
	v_add_u32_e32 v6, -1, v6
	s_add_i32 s10, s10, 16
	v_cmp_eq_u32_e32 vcc, 0, v6
	v_add_u32_e32 v7, 16, v7
	s_or_b64 s[2:3], vcc, s[2:3]
	s_waitcnt vmcnt(0) lgkmcnt(0)
	v_mul_f64 v[12:13], v[122:123], v[118:119]
	v_mul_f64 v[118:119], v[120:121], v[118:119]
	v_fma_f64 v[12:13], v[120:121], v[116:117], -v[12:13]
	v_fmac_f64_e32 v[118:119], v[122:123], v[116:117]
	v_add_f64 v[2:3], v[2:3], v[12:13]
	v_add_f64 v[4:5], v[4:5], v[118:119]
	s_andn2_b64 exec, exec, s[2:3]
	s_cbranch_execnz .LBB34_152
; %bb.153:
	s_or_b64 exec, exec, s[2:3]
.LBB34_154:
	s_or_b64 exec, exec, s[8:9]
	v_mov_b32_e32 v6, 0
	ds_read_b128 v[116:119], v6 offset:240
	s_waitcnt lgkmcnt(0)
	v_mul_f64 v[6:7], v[4:5], v[118:119]
	v_mul_f64 v[120:121], v[2:3], v[118:119]
	v_fma_f64 v[118:119], v[2:3], v[116:117], -v[6:7]
	v_fmac_f64_e32 v[120:121], v[4:5], v[116:117]
	scratch_store_dwordx4 off, v[118:121], off offset:240
.LBB34_155:
	s_or_b64 exec, exec, s[4:5]
	scratch_load_dwordx4 v[2:5], v102, off
	v_cmp_lt_u32_e64 s[2:3], 14, v0
	s_waitcnt vmcnt(0)
	ds_write_b128 v11, v[2:5]
	s_waitcnt lgkmcnt(0)
	; wave barrier
	s_waitcnt lgkmcnt(0)
	s_and_saveexec_b64 s[4:5], s[2:3]
	s_cbranch_execz .LBB34_163
; %bb.156:
	ds_read_b128 v[2:5], v11
	s_andn2_b64 vcc, exec, s[6:7]
	s_cbranch_vccnz .LBB34_158
; %bb.157:
	scratch_load_dwordx4 v[116:119], v10, off
	s_waitcnt vmcnt(0) lgkmcnt(0)
	v_mul_f64 v[12:13], v[2:3], v[118:119]
	v_mul_f64 v[6:7], v[4:5], v[118:119]
	v_fmac_f64_e32 v[12:13], v[4:5], v[116:117]
	v_fma_f64 v[2:3], v[2:3], v[116:117], -v[6:7]
	v_mov_b64_e32 v[4:5], v[12:13]
.LBB34_158:
	s_and_saveexec_b64 s[8:9], s[0:1]
	s_cbranch_execz .LBB34_162
; %bb.159:
	v_mov_b32_e32 v7, 0
	v_add_u32_e32 v6, -15, v0
	v_add_u32_e32 v7, 0xf8, v7
	s_movk_i32 s10, 0x320
	s_mov_b64 s[0:1], 0
.LBB34_160:                             ; =>This Inner Loop Header: Depth=1
	v_add_u32_e32 v12, -8, v7
	scratch_load_dwordx4 v[116:119], v12, off
	v_mov_b32_e32 v12, s10
	ds_read_b128 v[120:123], v12
	v_add_u32_e32 v6, -1, v6
	s_add_i32 s10, s10, 16
	v_cmp_eq_u32_e32 vcc, 0, v6
	v_add_u32_e32 v7, 16, v7
	s_or_b64 s[0:1], vcc, s[0:1]
	s_waitcnt vmcnt(0) lgkmcnt(0)
	v_mul_f64 v[12:13], v[122:123], v[118:119]
	v_mul_f64 v[118:119], v[120:121], v[118:119]
	v_fma_f64 v[12:13], v[120:121], v[116:117], -v[12:13]
	v_fmac_f64_e32 v[118:119], v[122:123], v[116:117]
	v_add_f64 v[2:3], v[2:3], v[12:13]
	v_add_f64 v[4:5], v[4:5], v[118:119]
	s_andn2_b64 exec, exec, s[0:1]
	s_cbranch_execnz .LBB34_160
; %bb.161:
	s_or_b64 exec, exec, s[0:1]
.LBB34_162:
	s_or_b64 exec, exec, s[8:9]
	v_mov_b32_e32 v6, 0
	ds_read_b128 v[116:119], v6 offset:224
	s_waitcnt lgkmcnt(0)
	v_mul_f64 v[6:7], v[4:5], v[118:119]
	v_mul_f64 v[120:121], v[2:3], v[118:119]
	v_fma_f64 v[118:119], v[2:3], v[116:117], -v[6:7]
	v_fmac_f64_e32 v[120:121], v[4:5], v[116:117]
	scratch_store_dwordx4 off, v[118:121], off offset:224
.LBB34_163:
	;; [unrolled: 63-line block ×15, first 2 shown]
	s_or_b64 exec, exec, s[4:5]
	scratch_load_dwordx4 v[2:5], off, off
	v_cmp_ne_u32_e32 vcc, 0, v0
	s_mov_b64 s[2:3], 0
	s_mov_b64 s[4:5], 0
                                        ; implicit-def: $vgpr6_vgpr7
                                        ; implicit-def: $vgpr12
	s_waitcnt vmcnt(0)
	ds_write_b128 v11, v[2:5]
	s_waitcnt lgkmcnt(0)
	; wave barrier
	s_waitcnt lgkmcnt(0)
	s_and_saveexec_b64 s[8:9], vcc
	s_cbranch_execz .LBB34_275
; %bb.268:
	ds_read_b128 v[2:5], v11
	s_andn2_b64 vcc, exec, s[6:7]
	s_cbranch_vccnz .LBB34_270
; %bb.269:
	scratch_load_dwordx4 v[116:119], v10, off
	s_waitcnt vmcnt(0) lgkmcnt(0)
	v_mul_f64 v[12:13], v[2:3], v[118:119]
	v_mul_f64 v[6:7], v[4:5], v[118:119]
	v_fmac_f64_e32 v[12:13], v[4:5], v[116:117]
	v_fma_f64 v[2:3], v[2:3], v[116:117], -v[6:7]
	v_mov_b64_e32 v[4:5], v[12:13]
.LBB34_270:
	s_and_saveexec_b64 s[4:5], s[0:1]
	s_cbranch_execz .LBB34_274
; %bb.271:
	v_mov_b32_e32 v7, 0
	v_add_u32_e32 v6, -1, v0
	v_add_u32_e32 v7, 24, v7
	s_movk_i32 s10, 0x240
	s_mov_b64 s[0:1], 0
.LBB34_272:                             ; =>This Inner Loop Header: Depth=1
	v_add_u32_e32 v12, -8, v7
	scratch_load_dwordx4 v[116:119], v12, off
	v_mov_b32_e32 v12, s10
	ds_read_b128 v[120:123], v12
	v_add_u32_e32 v6, -1, v6
	s_add_i32 s10, s10, 16
	v_cmp_eq_u32_e32 vcc, 0, v6
	v_add_u32_e32 v7, 16, v7
	s_or_b64 s[0:1], vcc, s[0:1]
	s_waitcnt vmcnt(0) lgkmcnt(0)
	v_mul_f64 v[12:13], v[122:123], v[118:119]
	v_mul_f64 v[118:119], v[120:121], v[118:119]
	v_fma_f64 v[12:13], v[120:121], v[116:117], -v[12:13]
	v_fmac_f64_e32 v[118:119], v[122:123], v[116:117]
	v_add_f64 v[2:3], v[2:3], v[12:13]
	v_add_f64 v[4:5], v[4:5], v[118:119]
	s_andn2_b64 exec, exec, s[0:1]
	s_cbranch_execnz .LBB34_272
; %bb.273:
	s_or_b64 exec, exec, s[0:1]
.LBB34_274:
	s_or_b64 exec, exec, s[4:5]
	v_mov_b32_e32 v6, 0
	ds_read_b128 v[116:119], v6
	v_mov_b32_e32 v6, 0
	v_or_b32_e32 v12, 8, v6
	s_mov_b64 s[4:5], exec
	s_waitcnt lgkmcnt(0)
	v_mul_f64 v[120:121], v[4:5], v[118:119]
	v_mul_f64 v[6:7], v[2:3], v[118:119]
	v_fma_f64 v[2:3], v[2:3], v[116:117], -v[120:121]
	v_fmac_f64_e32 v[6:7], v[4:5], v[116:117]
	scratch_store_dwordx2 off, v[2:3], off
.LBB34_275:
	s_or_b64 exec, exec, s[8:9]
	s_and_b64 vcc, exec, s[2:3]
	s_cbranch_vccnz .LBB34_277
	s_branch .LBB34_544
.LBB34_276:
	s_mov_b64 s[4:5], 0
                                        ; implicit-def: $vgpr6_vgpr7
                                        ; implicit-def: $vgpr12
	s_cbranch_execz .LBB34_544
.LBB34_277:
	scratch_load_dwordx4 v[2:5], v113, off
	v_cndmask_b32_e64 v6, 0, 1, s[6:7]
	v_cmp_eq_u32_e64 s[2:3], 0, v0
	v_cmp_ne_u32_e64 s[0:1], 1, v6
	s_waitcnt vmcnt(0)
	ds_write_b128 v11, v[2:5]
	s_waitcnt lgkmcnt(0)
	; wave barrier
	s_waitcnt lgkmcnt(0)
	s_and_saveexec_b64 s[6:7], s[2:3]
	s_cbranch_execz .LBB34_281
; %bb.278:
	ds_read_b128 v[2:5], v11
	s_and_b64 vcc, exec, s[0:1]
	s_cbranch_vccnz .LBB34_280
; %bb.279:
	scratch_load_dwordx4 v[116:119], v10, off
	s_waitcnt vmcnt(0) lgkmcnt(0)
	v_mul_f64 v[12:13], v[2:3], v[118:119]
	v_mul_f64 v[6:7], v[4:5], v[118:119]
	v_fmac_f64_e32 v[12:13], v[4:5], v[116:117]
	v_fma_f64 v[2:3], v[2:3], v[116:117], -v[6:7]
	v_mov_b64_e32 v[4:5], v[12:13]
.LBB34_280:
	v_mov_b32_e32 v6, 0
	ds_read_b128 v[116:119], v6 offset:16
	s_waitcnt lgkmcnt(0)
	v_mul_f64 v[6:7], v[4:5], v[118:119]
	v_mul_f64 v[120:121], v[2:3], v[118:119]
	v_fma_f64 v[118:119], v[2:3], v[116:117], -v[6:7]
	v_fmac_f64_e32 v[120:121], v[4:5], v[116:117]
	scratch_store_dwordx4 off, v[118:121], off offset:16
.LBB34_281:
	s_or_b64 exec, exec, s[6:7]
	scratch_load_dwordx4 v[2:5], v111, off
	v_cmp_gt_u32_e32 vcc, 2, v0
	s_waitcnt vmcnt(0)
	ds_write_b128 v11, v[2:5]
	s_waitcnt lgkmcnt(0)
	; wave barrier
	s_waitcnt lgkmcnt(0)
	s_and_saveexec_b64 s[6:7], vcc
	s_cbranch_execz .LBB34_287
; %bb.282:
	ds_read_b128 v[2:5], v11
	s_and_b64 vcc, exec, s[0:1]
	s_cbranch_vccnz .LBB34_284
; %bb.283:
	scratch_load_dwordx4 v[116:119], v10, off
	s_waitcnt vmcnt(0) lgkmcnt(0)
	v_mul_f64 v[12:13], v[2:3], v[118:119]
	v_mul_f64 v[6:7], v[4:5], v[118:119]
	v_fmac_f64_e32 v[12:13], v[4:5], v[116:117]
	v_fma_f64 v[2:3], v[2:3], v[116:117], -v[6:7]
	v_mov_b64_e32 v[4:5], v[12:13]
.LBB34_284:
	s_and_saveexec_b64 s[8:9], s[2:3]
	s_cbranch_execz .LBB34_286
; %bb.285:
	scratch_load_dwordx4 v[116:119], v10, off offset:16
	ds_read_b128 v[120:123], v11 offset:16
	s_waitcnt vmcnt(0) lgkmcnt(0)
	v_mul_f64 v[6:7], v[122:123], v[118:119]
	v_mul_f64 v[12:13], v[120:121], v[118:119]
	v_fma_f64 v[6:7], v[120:121], v[116:117], -v[6:7]
	v_fmac_f64_e32 v[12:13], v[122:123], v[116:117]
	v_add_f64 v[2:3], v[2:3], v[6:7]
	v_add_f64 v[4:5], v[4:5], v[12:13]
.LBB34_286:
	s_or_b64 exec, exec, s[8:9]
	v_mov_b32_e32 v6, 0
	ds_read_b128 v[116:119], v6 offset:32
	s_waitcnt lgkmcnt(0)
	v_mul_f64 v[6:7], v[4:5], v[118:119]
	v_mul_f64 v[120:121], v[2:3], v[118:119]
	v_fma_f64 v[118:119], v[2:3], v[116:117], -v[6:7]
	v_fmac_f64_e32 v[120:121], v[4:5], v[116:117]
	scratch_store_dwordx4 off, v[118:121], off offset:32
.LBB34_287:
	s_or_b64 exec, exec, s[6:7]
	scratch_load_dwordx4 v[2:5], v114, off
	v_cmp_gt_u32_e32 vcc, 3, v0
	s_waitcnt vmcnt(0)
	ds_write_b128 v11, v[2:5]
	s_waitcnt lgkmcnt(0)
	; wave barrier
	s_waitcnt lgkmcnt(0)
	s_and_saveexec_b64 s[6:7], vcc
	s_cbranch_execz .LBB34_295
; %bb.288:
	ds_read_b128 v[2:5], v11
	s_and_b64 vcc, exec, s[0:1]
	s_cbranch_vccnz .LBB34_290
; %bb.289:
	scratch_load_dwordx4 v[116:119], v10, off
	s_waitcnt vmcnt(0) lgkmcnt(0)
	v_mul_f64 v[12:13], v[2:3], v[118:119]
	v_mul_f64 v[6:7], v[4:5], v[118:119]
	v_fmac_f64_e32 v[12:13], v[4:5], v[116:117]
	v_fma_f64 v[2:3], v[2:3], v[116:117], -v[6:7]
	v_mov_b64_e32 v[4:5], v[12:13]
.LBB34_290:
	v_cmp_ne_u32_e32 vcc, 2, v0
	s_and_saveexec_b64 s[8:9], vcc
	s_cbranch_execz .LBB34_294
; %bb.291:
	scratch_load_dwordx4 v[116:119], v10, off offset:16
	ds_read_b128 v[120:123], v11 offset:16
	s_waitcnt vmcnt(0) lgkmcnt(0)
	v_mul_f64 v[6:7], v[122:123], v[118:119]
	v_mul_f64 v[12:13], v[120:121], v[118:119]
	v_fma_f64 v[6:7], v[120:121], v[116:117], -v[6:7]
	v_fmac_f64_e32 v[12:13], v[122:123], v[116:117]
	v_add_f64 v[2:3], v[2:3], v[6:7]
	v_add_f64 v[4:5], v[4:5], v[12:13]
	s_and_saveexec_b64 s[10:11], s[2:3]
	s_cbranch_execz .LBB34_293
; %bb.292:
	scratch_load_dwordx4 v[116:119], off, off offset:32
	v_mov_b32_e32 v6, 0
	ds_read_b128 v[120:123], v6 offset:592
	s_waitcnt vmcnt(0) lgkmcnt(0)
	v_mul_f64 v[6:7], v[120:121], v[118:119]
	v_mul_f64 v[12:13], v[122:123], v[118:119]
	v_fmac_f64_e32 v[6:7], v[122:123], v[116:117]
	v_fma_f64 v[12:13], v[120:121], v[116:117], -v[12:13]
	v_add_f64 v[4:5], v[4:5], v[6:7]
	v_add_f64 v[2:3], v[2:3], v[12:13]
.LBB34_293:
	s_or_b64 exec, exec, s[10:11]
.LBB34_294:
	s_or_b64 exec, exec, s[8:9]
	v_mov_b32_e32 v6, 0
	ds_read_b128 v[116:119], v6 offset:48
	s_waitcnt lgkmcnt(0)
	v_mul_f64 v[6:7], v[4:5], v[118:119]
	v_mul_f64 v[120:121], v[2:3], v[118:119]
	v_fma_f64 v[118:119], v[2:3], v[116:117], -v[6:7]
	v_fmac_f64_e32 v[120:121], v[4:5], v[116:117]
	scratch_store_dwordx4 off, v[118:121], off offset:48
.LBB34_295:
	s_or_b64 exec, exec, s[6:7]
	scratch_load_dwordx4 v[2:5], v112, off
	v_cmp_gt_u32_e32 vcc, 4, v0
	s_waitcnt vmcnt(0)
	ds_write_b128 v11, v[2:5]
	s_waitcnt lgkmcnt(0)
	; wave barrier
	s_waitcnt lgkmcnt(0)
	s_and_saveexec_b64 s[2:3], vcc
	s_cbranch_execz .LBB34_303
; %bb.296:
	ds_read_b128 v[2:5], v11
	s_and_b64 vcc, exec, s[0:1]
	s_cbranch_vccnz .LBB34_298
; %bb.297:
	scratch_load_dwordx4 v[116:119], v10, off
	s_waitcnt vmcnt(0) lgkmcnt(0)
	v_mul_f64 v[12:13], v[2:3], v[118:119]
	v_mul_f64 v[6:7], v[4:5], v[118:119]
	v_fmac_f64_e32 v[12:13], v[4:5], v[116:117]
	v_fma_f64 v[2:3], v[2:3], v[116:117], -v[6:7]
	v_mov_b64_e32 v[4:5], v[12:13]
.LBB34_298:
	v_cmp_ne_u32_e32 vcc, 3, v0
	s_and_saveexec_b64 s[6:7], vcc
	s_cbranch_execz .LBB34_302
; %bb.299:
	v_mov_b32_e32 v7, 0
	v_add_u32_e32 v6, 0x240, v64
	v_add3_u32 v7, v64, v7, 24
	s_mov_b64 s[8:9], 0
	v_mov_b32_e32 v12, v0
.LBB34_300:                             ; =>This Inner Loop Header: Depth=1
	v_add_u32_e32 v13, -8, v7
	scratch_load_dwordx4 v[116:119], v13, off
	ds_read_b128 v[120:123], v6
	v_add_u32_e32 v12, 1, v12
	v_cmp_lt_u32_e32 vcc, 2, v12
	v_add_u32_e32 v6, 16, v6
	v_add_u32_e32 v7, 16, v7
	s_or_b64 s[8:9], vcc, s[8:9]
	s_waitcnt vmcnt(0) lgkmcnt(0)
	v_mul_f64 v[124:125], v[122:123], v[118:119]
	v_mul_f64 v[118:119], v[120:121], v[118:119]
	v_fma_f64 v[120:121], v[120:121], v[116:117], -v[124:125]
	v_fmac_f64_e32 v[118:119], v[122:123], v[116:117]
	v_add_f64 v[2:3], v[2:3], v[120:121]
	v_add_f64 v[4:5], v[4:5], v[118:119]
	s_andn2_b64 exec, exec, s[8:9]
	s_cbranch_execnz .LBB34_300
; %bb.301:
	s_or_b64 exec, exec, s[8:9]
.LBB34_302:
	s_or_b64 exec, exec, s[6:7]
	v_mov_b32_e32 v6, 0
	ds_read_b128 v[116:119], v6 offset:64
	s_waitcnt lgkmcnt(0)
	v_mul_f64 v[6:7], v[4:5], v[118:119]
	v_mul_f64 v[120:121], v[2:3], v[118:119]
	v_fma_f64 v[118:119], v[2:3], v[116:117], -v[6:7]
	v_fmac_f64_e32 v[120:121], v[4:5], v[116:117]
	scratch_store_dwordx4 off, v[118:121], off offset:64
.LBB34_303:
	s_or_b64 exec, exec, s[2:3]
	scratch_load_dwordx4 v[2:5], v115, off
	v_cmp_gt_u32_e32 vcc, 5, v0
	s_waitcnt vmcnt(0)
	ds_write_b128 v11, v[2:5]
	s_waitcnt lgkmcnt(0)
	; wave barrier
	s_waitcnt lgkmcnt(0)
	s_and_saveexec_b64 s[2:3], vcc
	s_cbranch_execz .LBB34_311
; %bb.304:
	ds_read_b128 v[2:5], v11
	s_and_b64 vcc, exec, s[0:1]
	s_cbranch_vccnz .LBB34_306
; %bb.305:
	scratch_load_dwordx4 v[116:119], v10, off
	s_waitcnt vmcnt(0) lgkmcnt(0)
	v_mul_f64 v[12:13], v[2:3], v[118:119]
	v_mul_f64 v[6:7], v[4:5], v[118:119]
	v_fmac_f64_e32 v[12:13], v[4:5], v[116:117]
	v_fma_f64 v[2:3], v[2:3], v[116:117], -v[6:7]
	v_mov_b64_e32 v[4:5], v[12:13]
.LBB34_306:
	v_cmp_ne_u32_e32 vcc, 4, v0
	s_and_saveexec_b64 s[6:7], vcc
	s_cbranch_execz .LBB34_310
; %bb.307:
	v_mov_b32_e32 v7, 0
	v_add_u32_e32 v6, 0x240, v64
	v_add3_u32 v7, v64, v7, 24
	s_mov_b64 s[8:9], 0
	v_mov_b32_e32 v12, v0
.LBB34_308:                             ; =>This Inner Loop Header: Depth=1
	v_add_u32_e32 v13, -8, v7
	scratch_load_dwordx4 v[116:119], v13, off
	ds_read_b128 v[120:123], v6
	v_add_u32_e32 v12, 1, v12
	v_cmp_lt_u32_e32 vcc, 3, v12
	v_add_u32_e32 v6, 16, v6
	v_add_u32_e32 v7, 16, v7
	s_or_b64 s[8:9], vcc, s[8:9]
	s_waitcnt vmcnt(0) lgkmcnt(0)
	v_mul_f64 v[124:125], v[122:123], v[118:119]
	v_mul_f64 v[118:119], v[120:121], v[118:119]
	v_fma_f64 v[120:121], v[120:121], v[116:117], -v[124:125]
	v_fmac_f64_e32 v[118:119], v[122:123], v[116:117]
	v_add_f64 v[2:3], v[2:3], v[120:121]
	v_add_f64 v[4:5], v[4:5], v[118:119]
	s_andn2_b64 exec, exec, s[8:9]
	s_cbranch_execnz .LBB34_308
; %bb.309:
	s_or_b64 exec, exec, s[8:9]
.LBB34_310:
	s_or_b64 exec, exec, s[6:7]
	v_mov_b32_e32 v6, 0
	ds_read_b128 v[116:119], v6 offset:80
	s_waitcnt lgkmcnt(0)
	v_mul_f64 v[6:7], v[4:5], v[118:119]
	v_mul_f64 v[120:121], v[2:3], v[118:119]
	v_fma_f64 v[118:119], v[2:3], v[116:117], -v[6:7]
	v_fmac_f64_e32 v[120:121], v[4:5], v[116:117]
	scratch_store_dwordx4 off, v[118:121], off offset:80
.LBB34_311:
	;; [unrolled: 63-line block ×29, first 2 shown]
	s_or_b64 exec, exec, s[2:3]
	scratch_load_dwordx4 v[2:5], v1, off
	v_cmp_gt_u32_e64 s[2:3], 33, v0
	s_waitcnt vmcnt(0)
	ds_write_b128 v11, v[2:5]
	s_waitcnt lgkmcnt(0)
	; wave barrier
	s_waitcnt lgkmcnt(0)
	s_and_saveexec_b64 s[6:7], s[2:3]
	s_cbranch_execz .LBB34_535
; %bb.528:
	ds_read_b128 v[2:5], v11
	s_and_b64 vcc, exec, s[0:1]
	s_cbranch_vccnz .LBB34_530
; %bb.529:
	scratch_load_dwordx4 v[116:119], v10, off
	s_waitcnt vmcnt(0) lgkmcnt(0)
	v_mul_f64 v[12:13], v[2:3], v[118:119]
	v_mul_f64 v[6:7], v[4:5], v[118:119]
	v_fmac_f64_e32 v[12:13], v[4:5], v[116:117]
	v_fma_f64 v[2:3], v[2:3], v[116:117], -v[6:7]
	v_mov_b64_e32 v[4:5], v[12:13]
.LBB34_530:
	v_cmp_ne_u32_e32 vcc, 32, v0
	s_and_saveexec_b64 s[8:9], vcc
	s_cbranch_execz .LBB34_534
; %bb.531:
	v_mov_b32_e32 v7, 0
	v_add_u32_e32 v6, 0x240, v64
	v_add3_u32 v7, v64, v7, 24
	s_mov_b64 s[10:11], 0
	v_mov_b32_e32 v12, v0
.LBB34_532:                             ; =>This Inner Loop Header: Depth=1
	v_add_u32_e32 v13, -8, v7
	scratch_load_dwordx4 v[116:119], v13, off
	ds_read_b128 v[120:123], v6
	v_add_u32_e32 v12, 1, v12
	v_cmp_lt_u32_e32 vcc, 31, v12
	v_add_u32_e32 v6, 16, v6
	v_add_u32_e32 v7, 16, v7
	s_or_b64 s[10:11], vcc, s[10:11]
	s_waitcnt vmcnt(0) lgkmcnt(0)
	v_mul_f64 v[124:125], v[122:123], v[118:119]
	v_mul_f64 v[118:119], v[120:121], v[118:119]
	v_fma_f64 v[120:121], v[120:121], v[116:117], -v[124:125]
	v_fmac_f64_e32 v[118:119], v[122:123], v[116:117]
	v_add_f64 v[2:3], v[2:3], v[120:121]
	v_add_f64 v[4:5], v[4:5], v[118:119]
	s_andn2_b64 exec, exec, s[10:11]
	s_cbranch_execnz .LBB34_532
; %bb.533:
	s_or_b64 exec, exec, s[10:11]
.LBB34_534:
	s_or_b64 exec, exec, s[8:9]
	v_mov_b32_e32 v6, 0
	ds_read_b128 v[116:119], v6 offset:528
	s_waitcnt lgkmcnt(0)
	v_mul_f64 v[6:7], v[4:5], v[118:119]
	v_mul_f64 v[120:121], v[2:3], v[118:119]
	v_fma_f64 v[118:119], v[2:3], v[116:117], -v[6:7]
	v_fmac_f64_e32 v[120:121], v[4:5], v[116:117]
	scratch_store_dwordx4 off, v[118:121], off offset:528
.LBB34_535:
	s_or_b64 exec, exec, s[6:7]
	scratch_load_dwordx4 v[2:5], v8, off
	v_cmp_ne_u32_e32 vcc, 34, v0
                                        ; implicit-def: $vgpr6_vgpr7
                                        ; implicit-def: $vgpr12
	s_waitcnt vmcnt(0)
	ds_write_b128 v11, v[2:5]
	s_waitcnt lgkmcnt(0)
	; wave barrier
	s_waitcnt lgkmcnt(0)
	s_and_saveexec_b64 s[6:7], vcc
	s_cbranch_execz .LBB34_543
; %bb.536:
	ds_read_b128 v[2:5], v11
	s_and_b64 vcc, exec, s[0:1]
	s_cbranch_vccnz .LBB34_538
; %bb.537:
	scratch_load_dwordx4 v[10:13], v10, off
	s_waitcnt vmcnt(0) lgkmcnt(0)
	v_mul_f64 v[6:7], v[4:5], v[12:13]
	v_mul_f64 v[12:13], v[2:3], v[12:13]
	v_fmac_f64_e32 v[12:13], v[4:5], v[10:11]
	v_fma_f64 v[2:3], v[2:3], v[10:11], -v[6:7]
	v_mov_b64_e32 v[4:5], v[12:13]
.LBB34_538:
	s_and_saveexec_b64 s[0:1], s[2:3]
	s_cbranch_execz .LBB34_542
; %bb.539:
	v_mov_b32_e32 v7, 0
	v_add_u32_e32 v6, 0x240, v64
	v_add3_u32 v7, v64, v7, 24
	s_mov_b64 s[2:3], 0
.LBB34_540:                             ; =>This Inner Loop Header: Depth=1
	v_add_u32_e32 v10, -8, v7
	scratch_load_dwordx4 v[10:13], v10, off
	ds_read_b128 v[116:119], v6
	v_add_u32_e32 v0, 1, v0
	v_cmp_lt_u32_e32 vcc, 32, v0
	v_add_u32_e32 v6, 16, v6
	v_add_u32_e32 v7, 16, v7
	s_or_b64 s[2:3], vcc, s[2:3]
	s_waitcnt vmcnt(0) lgkmcnt(0)
	v_mul_f64 v[120:121], v[118:119], v[12:13]
	v_mul_f64 v[12:13], v[116:117], v[12:13]
	v_fma_f64 v[116:117], v[116:117], v[10:11], -v[120:121]
	v_fmac_f64_e32 v[12:13], v[118:119], v[10:11]
	v_add_f64 v[2:3], v[2:3], v[116:117]
	v_add_f64 v[4:5], v[4:5], v[12:13]
	s_andn2_b64 exec, exec, s[2:3]
	s_cbranch_execnz .LBB34_540
; %bb.541:
	s_or_b64 exec, exec, s[2:3]
.LBB34_542:
	s_or_b64 exec, exec, s[0:1]
	v_mov_b32_e32 v0, 0
	ds_read_b128 v[116:119], v0 offset:544
	v_mov_b32_e32 v0, 0
	v_add_u32_e32 v12, 0x228, v0
	s_or_b64 s[4:5], s[4:5], exec
	s_waitcnt lgkmcnt(0)
	v_mul_f64 v[10:11], v[4:5], v[118:119]
	v_mul_f64 v[6:7], v[2:3], v[118:119]
	v_fma_f64 v[2:3], v[2:3], v[116:117], -v[10:11]
	v_fmac_f64_e32 v[6:7], v[4:5], v[116:117]
	scratch_store_dwordx2 off, v[2:3], off offset:544
.LBB34_543:
	s_or_b64 exec, exec, s[6:7]
.LBB34_544:
	s_and_saveexec_b64 s[0:1], s[4:5]
	s_cbranch_execz .LBB34_546
; %bb.545:
	scratch_store_dwordx2 v12, v[6:7], off
.LBB34_546:
	s_or_b64 exec, exec, s[0:1]
	scratch_load_dwordx4 v[2:5], off, off
	scratch_load_dwordx4 v[10:13], v113, off
	scratch_load_dwordx4 v[116:119], v111, off
	;; [unrolled: 1-line block ×5, first 2 shown]
	s_waitcnt vmcnt(5)
	global_store_dwordx4 v[16:17], v[2:5], off
	scratch_load_dwordx4 v[2:5], v109, off
	s_nop 0
	scratch_load_dwordx4 v[112:115], v110, off
	s_waitcnt vmcnt(7)
	global_store_dwordx4 v[14:15], v[10:13], off
	scratch_load_dwordx4 v[10:13], v108, off
	s_nop 0
	scratch_load_dwordx4 v[14:17], v107, off
	;; [unrolled: 5-line block ×4, first 2 shown]
	s_nop 0
	scratch_load_dwordx4 v[102:105], v102, off
	s_waitcnt vmcnt(14)
	global_store_dwordx4 v[22:23], v[124:127], off
	s_waitcnt vmcnt(14)
	global_store_dwordx4 v[24:25], v[128:131], off
	scratch_load_dwordx4 v[22:25], v101, off
	s_nop 0
	scratch_load_dwordx4 v[124:127], v100, off
	s_waitcnt vmcnt(15)
	global_store_dwordx4 v[26:27], v[2:5], off
	scratch_load_dwordx4 v[2:5], v99, off
	s_nop 0
	scratch_load_dwordx4 v[128:131], v98, off
	;; [unrolled: 5-line block ×10, first 2 shown]
	s_waitcnt vmcnt(28)
	global_store_dwordx4 v[44:45], v[22:25], off
	s_waitcnt vmcnt(28)
	global_store_dwordx4 v[46:47], v[124:127], off
	;; [unrolled: 2-line block ×20, first 2 shown]
.LBB34_547:
	s_endpgm
	.section	.rodata,"a",@progbits
	.p2align	6, 0x0
	.amdhsa_kernel _ZN9rocsolver6v33100L18trti2_kernel_smallILi35E19rocblas_complex_numIdEPS3_EEv13rocblas_fill_17rocblas_diagonal_T1_iil
		.amdhsa_group_segment_fixed_size 1120
		.amdhsa_private_segment_fixed_size 576
		.amdhsa_kernarg_size 32
		.amdhsa_user_sgpr_count 2
		.amdhsa_user_sgpr_dispatch_ptr 0
		.amdhsa_user_sgpr_queue_ptr 0
		.amdhsa_user_sgpr_kernarg_segment_ptr 1
		.amdhsa_user_sgpr_dispatch_id 0
		.amdhsa_user_sgpr_kernarg_preload_length 0
		.amdhsa_user_sgpr_kernarg_preload_offset 0
		.amdhsa_user_sgpr_private_segment_size 0
		.amdhsa_uses_dynamic_stack 0
		.amdhsa_enable_private_segment 1
		.amdhsa_system_sgpr_workgroup_id_x 1
		.amdhsa_system_sgpr_workgroup_id_y 0
		.amdhsa_system_sgpr_workgroup_id_z 0
		.amdhsa_system_sgpr_workgroup_info 0
		.amdhsa_system_vgpr_workitem_id 0
		.amdhsa_next_free_vgpr 136
		.amdhsa_next_free_sgpr 12
		.amdhsa_accum_offset 136
		.amdhsa_reserve_vcc 1
		.amdhsa_float_round_mode_32 0
		.amdhsa_float_round_mode_16_64 0
		.amdhsa_float_denorm_mode_32 3
		.amdhsa_float_denorm_mode_16_64 3
		.amdhsa_dx10_clamp 1
		.amdhsa_ieee_mode 1
		.amdhsa_fp16_overflow 0
		.amdhsa_tg_split 0
		.amdhsa_exception_fp_ieee_invalid_op 0
		.amdhsa_exception_fp_denorm_src 0
		.amdhsa_exception_fp_ieee_div_zero 0
		.amdhsa_exception_fp_ieee_overflow 0
		.amdhsa_exception_fp_ieee_underflow 0
		.amdhsa_exception_fp_ieee_inexact 0
		.amdhsa_exception_int_div_zero 0
	.end_amdhsa_kernel
	.section	.text._ZN9rocsolver6v33100L18trti2_kernel_smallILi35E19rocblas_complex_numIdEPS3_EEv13rocblas_fill_17rocblas_diagonal_T1_iil,"axG",@progbits,_ZN9rocsolver6v33100L18trti2_kernel_smallILi35E19rocblas_complex_numIdEPS3_EEv13rocblas_fill_17rocblas_diagonal_T1_iil,comdat
.Lfunc_end34:
	.size	_ZN9rocsolver6v33100L18trti2_kernel_smallILi35E19rocblas_complex_numIdEPS3_EEv13rocblas_fill_17rocblas_diagonal_T1_iil, .Lfunc_end34-_ZN9rocsolver6v33100L18trti2_kernel_smallILi35E19rocblas_complex_numIdEPS3_EEv13rocblas_fill_17rocblas_diagonal_T1_iil
                                        ; -- End function
	.section	.AMDGPU.csdata,"",@progbits
; Kernel info:
; codeLenInByte = 23004
; NumSgprs: 18
; NumVgprs: 136
; NumAgprs: 0
; TotalNumVgprs: 136
; ScratchSize: 576
; MemoryBound: 0
; FloatMode: 240
; IeeeMode: 1
; LDSByteSize: 1120 bytes/workgroup (compile time only)
; SGPRBlocks: 2
; VGPRBlocks: 16
; NumSGPRsForWavesPerEU: 18
; NumVGPRsForWavesPerEU: 136
; AccumOffset: 136
; Occupancy: 3
; WaveLimiterHint : 0
; COMPUTE_PGM_RSRC2:SCRATCH_EN: 1
; COMPUTE_PGM_RSRC2:USER_SGPR: 2
; COMPUTE_PGM_RSRC2:TRAP_HANDLER: 0
; COMPUTE_PGM_RSRC2:TGID_X_EN: 1
; COMPUTE_PGM_RSRC2:TGID_Y_EN: 0
; COMPUTE_PGM_RSRC2:TGID_Z_EN: 0
; COMPUTE_PGM_RSRC2:TIDIG_COMP_CNT: 0
; COMPUTE_PGM_RSRC3_GFX90A:ACCUM_OFFSET: 33
; COMPUTE_PGM_RSRC3_GFX90A:TG_SPLIT: 0
	.section	.text._ZN9rocsolver6v33100L18trti2_kernel_smallILi36E19rocblas_complex_numIdEPS3_EEv13rocblas_fill_17rocblas_diagonal_T1_iil,"axG",@progbits,_ZN9rocsolver6v33100L18trti2_kernel_smallILi36E19rocblas_complex_numIdEPS3_EEv13rocblas_fill_17rocblas_diagonal_T1_iil,comdat
	.globl	_ZN9rocsolver6v33100L18trti2_kernel_smallILi36E19rocblas_complex_numIdEPS3_EEv13rocblas_fill_17rocblas_diagonal_T1_iil ; -- Begin function _ZN9rocsolver6v33100L18trti2_kernel_smallILi36E19rocblas_complex_numIdEPS3_EEv13rocblas_fill_17rocblas_diagonal_T1_iil
	.p2align	8
	.type	_ZN9rocsolver6v33100L18trti2_kernel_smallILi36E19rocblas_complex_numIdEPS3_EEv13rocblas_fill_17rocblas_diagonal_T1_iil,@function
_ZN9rocsolver6v33100L18trti2_kernel_smallILi36E19rocblas_complex_numIdEPS3_EEv13rocblas_fill_17rocblas_diagonal_T1_iil: ; @_ZN9rocsolver6v33100L18trti2_kernel_smallILi36E19rocblas_complex_numIdEPS3_EEv13rocblas_fill_17rocblas_diagonal_T1_iil
; %bb.0:
	v_cmp_gt_u32_e32 vcc, 36, v0
	s_and_saveexec_b64 s[4:5], vcc
	s_cbranch_execz .LBB35_563
; %bb.1:
	s_load_dwordx8 s[4:11], s[0:1], 0x0
	s_ashr_i32 s3, s2, 31
	v_lshlrev_b32_e32 v86, 4, v0
	v_mov_b32_e32 v87, 0
	v_mov_b32_e32 v1, 0
	s_waitcnt lgkmcnt(0)
	s_ashr_i32 s1, s8, 31
	s_mov_b32 s0, s8
	s_mul_i32 s8, s2, s11
	s_mul_hi_u32 s11, s2, s10
	s_add_i32 s8, s11, s8
	s_mul_i32 s3, s3, s10
	s_add_i32 s3, s8, s3
	s_mul_i32 s2, s2, s10
	s_lshl_b64 s[2:3], s[2:3], 4
	s_add_u32 s2, s6, s2
	s_addc_u32 s3, s7, s3
	s_lshl_b64 s[0:1], s[0:1], 4
	s_add_u32 s0, s2, s0
	s_addc_u32 s1, s3, s1
	v_lshl_add_u64 v[58:59], s[0:1], 0, v[86:87]
	s_ashr_i32 s3, s9, 31
	s_mov_b32 s2, s9
	v_lshl_add_u64 v[60:61], s[2:3], 4, v[58:59]
	s_add_i32 s2, s9, s9
	v_add_u32_e32 v14, s2, v0
	v_ashrrev_i32_e32 v15, 31, v14
	v_lshl_add_u64 v[62:63], v[14:15], 4, s[0:1]
	v_add_u32_e32 v14, s9, v14
	v_add_u32_e32 v22, s9, v14
	v_ashrrev_i32_e32 v23, 31, v22
	v_lshl_add_u64 v[66:67], v[22:23], 4, s[0:1]
	v_add_u32_e32 v22, s9, v22
	;; [unrolled: 4-line block ×5, first 2 shown]
	v_add_u32_e32 v54, s9, v46
	v_add_u32_e32 v88, s9, v54
	v_ashrrev_i32_e32 v15, 31, v14
	v_ashrrev_i32_e32 v23, 31, v22
	v_ashrrev_i32_e32 v31, 31, v30
	v_ashrrev_i32_e32 v39, 31, v38
	v_ashrrev_i32_e32 v47, 31, v46
	v_ashrrev_i32_e32 v89, 31, v88
	v_lshl_add_u64 v[64:65], v[14:15], 4, s[0:1]
	v_lshl_add_u64 v[68:69], v[22:23], 4, s[0:1]
	;; [unrolled: 1-line block ×5, first 2 shown]
	v_ashrrev_i32_e32 v55, 31, v54
	v_lshl_add_u64 v[84:85], v[88:89], 4, s[0:1]
	global_load_dwordx4 v[2:5], v86, s[0:1]
	global_load_dwordx4 v[6:9], v[60:61], off
	global_load_dwordx4 v[10:13], v[62:63], off
	global_load_dwordx4 v[14:17], v[64:65], off
	global_load_dwordx4 v[18:21], v[66:67], off
	global_load_dwordx4 v[22:25], v[68:69], off
	global_load_dwordx4 v[26:29], v[70:71], off
	global_load_dwordx4 v[30:33], v[72:73], off
	global_load_dwordx4 v[34:37], v[74:75], off
	global_load_dwordx4 v[38:41], v[76:77], off
	global_load_dwordx4 v[42:45], v[78:79], off
	v_lshl_add_u64 v[82:83], v[54:55], 4, s[0:1]
	global_load_dwordx4 v[46:49], v[80:81], off
	global_load_dwordx4 v[50:53], v[82:83], off
	;; [unrolled: 1-line block ×3, first 2 shown]
	v_add_u32_e32 v94, s9, v88
	v_add_u32_e32 v96, s9, v94
	;; [unrolled: 1-line block ×22, first 2 shown]
	v_ashrrev_i32_e32 v89, 31, v88
	v_lshl_add_u64 v[88:89], v[88:89], 4, s[0:1]
	global_load_dwordx4 v[90:93], v[88:89], off
	v_ashrrev_i32_e32 v95, 31, v94
	v_ashrrev_i32_e32 v97, 31, v96
	;; [unrolled: 1-line block ×19, first 2 shown]
	s_waitcnt vmcnt(14)
	scratch_store_dwordx4 off, v[2:5], off
	s_waitcnt vmcnt(14)
	scratch_store_dwordx4 off, v[6:9], off offset:16
	s_waitcnt vmcnt(14)
	scratch_store_dwordx4 off, v[10:13], off offset:32
	;; [unrolled: 2-line block ×12, first 2 shown]
	v_lshl_add_u64 v[14:15], v[94:95], 4, s[0:1]
	s_waitcnt vmcnt(14)
	scratch_store_dwordx4 off, v[54:57], off offset:208
	v_lshl_add_u64 v[16:17], v[96:97], 4, s[0:1]
	v_lshl_add_u64 v[20:21], v[100:101], 4, s[0:1]
	;; [unrolled: 1-line block ×9, first 2 shown]
	v_ashrrev_i32_e32 v153, 31, v152
	v_lshl_add_u64 v[52:53], v[158:159], 4, s[0:1]
	v_ashrrev_i32_e32 v161, 31, v160
	global_load_dwordx4 v[2:5], v[14:15], off
	v_lshl_add_u64 v[18:19], v[98:99], 4, s[0:1]
	global_load_dwordx4 v[6:9], v[16:17], off
	global_load_dwordx4 v[10:13], v[18:19], off
	v_lshl_add_u64 v[22:23], v[102:103], 4, s[0:1]
	global_load_dwordx4 v[94:97], v[20:21], off
	;; [unrolled: 3-line block ×10, first 2 shown]
	global_load_dwordx4 v[162:165], v[54:55], off
	s_cmpk_lg_i32 s5, 0x84
	s_cselect_b64 s[6:7], -1, 0
	s_cmpk_eq_i32 s5, 0x84
	s_waitcnt vmcnt(20)
	scratch_store_dwordx4 off, v[2:5], off offset:224
	s_waitcnt vmcnt(20)
	scratch_store_dwordx4 off, v[6:9], off offset:240
	;; [unrolled: 2-line block ×21, first 2 shown]
	scratch_store_dwordx4 off, v[90:93], off offset:560
	s_cbranch_scc1 .LBB35_7
; %bb.2:
	scratch_load_dwordx4 v[6:9], v86, off
                                        ; implicit-def: $vgpr10_vgpr11
	s_waitcnt vmcnt(0)
	v_xor_b32_e32 v3, 0x80000000, v7
	v_cmp_gt_f64_e32 vcc, 0, v[6:7]
	v_xor_b32_e32 v4, 0x80000000, v9
	v_mov_b32_e32 v2, v6
	v_cndmask_b32_e32 v3, v7, v3, vcc
	v_cmp_gt_f64_e32 vcc, 0, v[8:9]
	s_nop 1
	v_cndmask_b32_e32 v5, v9, v4, vcc
	v_mov_b32_e32 v4, v8
	v_cmp_ngt_f64_e32 vcc, v[2:3], v[4:5]
                                        ; implicit-def: $vgpr2_vgpr3
	s_and_saveexec_b64 s[0:1], vcc
	s_xor_b64 s[0:1], exec, s[0:1]
	s_cbranch_execz .LBB35_4
; %bb.3:
	v_div_scale_f64 v[2:3], s[2:3], v[8:9], v[8:9], v[6:7]
	v_rcp_f64_e32 v[4:5], v[2:3]
	v_div_scale_f64 v[10:11], vcc, v[6:7], v[8:9], v[6:7]
	v_fma_f64 v[12:13], -v[2:3], v[4:5], 1.0
	v_fmac_f64_e32 v[4:5], v[4:5], v[12:13]
	v_fma_f64 v[12:13], -v[2:3], v[4:5], 1.0
	v_fmac_f64_e32 v[4:5], v[4:5], v[12:13]
	v_mul_f64 v[12:13], v[10:11], v[4:5]
	v_fma_f64 v[2:3], -v[2:3], v[12:13], v[10:11]
	v_div_fmas_f64 v[2:3], v[2:3], v[4:5], v[12:13]
	v_div_fixup_f64 v[2:3], v[2:3], v[8:9], v[6:7]
	v_fmac_f64_e32 v[8:9], v[6:7], v[2:3]
	v_div_scale_f64 v[4:5], s[2:3], v[8:9], v[8:9], 1.0
	v_rcp_f64_e32 v[6:7], v[4:5]
	s_nop 0
	v_fma_f64 v[10:11], -v[4:5], v[6:7], 1.0
	v_fmac_f64_e32 v[6:7], v[6:7], v[10:11]
	v_fma_f64 v[10:11], -v[4:5], v[6:7], 1.0
	v_fmac_f64_e32 v[6:7], v[6:7], v[10:11]
	v_div_scale_f64 v[10:11], vcc, 1.0, v[8:9], 1.0
	v_mul_f64 v[12:13], v[10:11], v[6:7]
	v_fma_f64 v[4:5], -v[4:5], v[12:13], v[10:11]
	s_nop 1
	v_div_fmas_f64 v[4:5], v[4:5], v[6:7], v[12:13]
	v_div_fixup_f64 v[4:5], v[4:5], v[8:9], 1.0
	v_mul_f64 v[2:3], v[2:3], v[4:5]
	v_xor_b32_e32 v5, 0x80000000, v5
	v_xor_b32_e32 v11, 0x80000000, v3
	v_mov_b32_e32 v10, v2
                                        ; implicit-def: $vgpr6_vgpr7
.LBB35_4:
	s_or_saveexec_b64 s[0:1], s[0:1]
	v_add_u32_e32 v12, 0, v86
	s_xor_b64 exec, exec, s[0:1]
	s_cbranch_execz .LBB35_6
; %bb.5:
	v_div_scale_f64 v[2:3], s[2:3], v[6:7], v[6:7], v[8:9]
	v_rcp_f64_e32 v[4:5], v[2:3]
	v_div_scale_f64 v[10:11], vcc, v[8:9], v[6:7], v[8:9]
	v_fma_f64 v[56:57], -v[2:3], v[4:5], 1.0
	v_fmac_f64_e32 v[4:5], v[4:5], v[56:57]
	v_fma_f64 v[56:57], -v[2:3], v[4:5], 1.0
	v_fmac_f64_e32 v[4:5], v[4:5], v[56:57]
	v_mul_f64 v[56:57], v[10:11], v[4:5]
	v_fma_f64 v[2:3], -v[2:3], v[56:57], v[10:11]
	v_div_fmas_f64 v[2:3], v[2:3], v[4:5], v[56:57]
	v_div_fixup_f64 v[4:5], v[2:3], v[6:7], v[8:9]
	v_fmac_f64_e32 v[6:7], v[8:9], v[4:5]
	v_div_scale_f64 v[2:3], s[2:3], v[6:7], v[6:7], 1.0
	v_rcp_f64_e32 v[8:9], v[2:3]
	s_nop 0
	v_fma_f64 v[10:11], -v[2:3], v[8:9], 1.0
	v_fmac_f64_e32 v[8:9], v[8:9], v[10:11]
	v_fma_f64 v[10:11], -v[2:3], v[8:9], 1.0
	v_fmac_f64_e32 v[8:9], v[8:9], v[10:11]
	v_div_scale_f64 v[10:11], vcc, 1.0, v[6:7], 1.0
	v_mul_f64 v[56:57], v[10:11], v[8:9]
	v_fma_f64 v[2:3], -v[2:3], v[56:57], v[10:11]
	s_nop 1
	v_div_fmas_f64 v[2:3], v[2:3], v[8:9], v[56:57]
	v_div_fixup_f64 v[2:3], v[2:3], v[6:7], 1.0
	v_xor_b32_e32 v11, 0x80000000, v3
	v_mov_b32_e32 v10, v2
	v_mul_f64 v[4:5], v[4:5], -v[2:3]
.LBB35_6:
	s_or_b64 exec, exec, s[0:1]
	scratch_store_dwordx4 v12, v[2:5], off
	s_nop 1
	v_xor_b32_e32 v5, 0x80000000, v5
	s_branch .LBB35_8
.LBB35_7:
	v_mov_b64_e32 v[4:5], 0
	v_mov_b64_e32 v[10:11], -1.0
.LBB35_8:
	v_mov_b32_e32 v12, v4
	v_mov_b32_e32 v13, v5
	v_add_u32_e32 v116, 16, v1
	v_add_u32_e32 v114, 32, v1
	;; [unrolled: 1-line block ×35, first 2 shown]
	ds_write_b128 v86, v[10:13]
	s_cmpk_eq_i32 s4, 0x79
	v_add_u32_e32 v11, 0x240, v86
	v_add_u32_e32 v10, 0, v86
	s_cbranch_scc1 .LBB35_284
; %bb.9:
	scratch_load_dwordx4 v[2:5], v8, off
	v_cmp_eq_u32_e64 s[0:1], 35, v0
	s_waitcnt vmcnt(0)
	ds_write_b128 v11, v[2:5]
	s_waitcnt lgkmcnt(0)
	; wave barrier
	s_waitcnt lgkmcnt(0)
	s_and_saveexec_b64 s[2:3], s[0:1]
	s_cbranch_execz .LBB35_13
; %bb.10:
	ds_read_b128 v[2:5], v11
	s_andn2_b64 vcc, exec, s[6:7]
	s_cbranch_vccnz .LBB35_12
; %bb.11:
	scratch_load_dwordx4 v[120:123], v10, off
	s_waitcnt vmcnt(0) lgkmcnt(0)
	v_mul_f64 v[12:13], v[2:3], v[122:123]
	v_mul_f64 v[6:7], v[4:5], v[122:123]
	v_fmac_f64_e32 v[12:13], v[4:5], v[120:121]
	v_fma_f64 v[2:3], v[2:3], v[120:121], -v[6:7]
	v_mov_b64_e32 v[4:5], v[12:13]
.LBB35_12:
	v_mov_b32_e32 v6, 0
	ds_read_b128 v[120:123], v6 offset:544
	s_waitcnt lgkmcnt(0)
	v_mul_f64 v[6:7], v[4:5], v[122:123]
	v_mul_f64 v[124:125], v[2:3], v[122:123]
	v_fma_f64 v[122:123], v[2:3], v[120:121], -v[6:7]
	v_fmac_f64_e32 v[124:125], v[4:5], v[120:121]
	scratch_store_dwordx4 off, v[122:125], off offset:544
.LBB35_13:
	s_or_b64 exec, exec, s[2:3]
	scratch_load_dwordx4 v[2:5], v9, off
	v_cmp_lt_u32_e64 s[2:3], 33, v0
	s_waitcnt vmcnt(0)
	ds_write_b128 v11, v[2:5]
	s_waitcnt lgkmcnt(0)
	; wave barrier
	s_waitcnt lgkmcnt(0)
	s_and_saveexec_b64 s[4:5], s[2:3]
	s_cbranch_execz .LBB35_19
; %bb.14:
	ds_read_b128 v[2:5], v11
	s_andn2_b64 vcc, exec, s[6:7]
	s_cbranch_vccnz .LBB35_16
; %bb.15:
	scratch_load_dwordx4 v[120:123], v10, off
	s_waitcnt vmcnt(0) lgkmcnt(0)
	v_mul_f64 v[12:13], v[2:3], v[122:123]
	v_mul_f64 v[6:7], v[4:5], v[122:123]
	v_fmac_f64_e32 v[12:13], v[4:5], v[120:121]
	v_fma_f64 v[2:3], v[2:3], v[120:121], -v[6:7]
	v_mov_b64_e32 v[4:5], v[12:13]
.LBB35_16:
	s_and_saveexec_b64 s[8:9], s[0:1]
	s_cbranch_execz .LBB35_18
; %bb.17:
	scratch_load_dwordx4 v[120:123], off, off offset:544
	v_mov_b32_e32 v6, 0
	ds_read_b128 v[124:127], v6 offset:1120
	s_waitcnt vmcnt(0) lgkmcnt(0)
	v_mul_f64 v[6:7], v[124:125], v[122:123]
	v_mul_f64 v[12:13], v[126:127], v[122:123]
	v_fmac_f64_e32 v[6:7], v[126:127], v[120:121]
	v_fma_f64 v[12:13], v[124:125], v[120:121], -v[12:13]
	v_add_f64 v[4:5], v[4:5], v[6:7]
	v_add_f64 v[2:3], v[2:3], v[12:13]
.LBB35_18:
	s_or_b64 exec, exec, s[8:9]
	v_mov_b32_e32 v6, 0
	ds_read_b128 v[120:123], v6 offset:528
	s_waitcnt lgkmcnt(0)
	v_mul_f64 v[6:7], v[4:5], v[122:123]
	v_mul_f64 v[124:125], v[2:3], v[122:123]
	v_fma_f64 v[122:123], v[2:3], v[120:121], -v[6:7]
	v_fmac_f64_e32 v[124:125], v[4:5], v[120:121]
	scratch_store_dwordx4 off, v[122:125], off offset:528
.LBB35_19:
	s_or_b64 exec, exec, s[4:5]
	scratch_load_dwordx4 v[2:5], v56, off
	v_cmp_lt_u32_e64 s[0:1], 32, v0
	s_waitcnt vmcnt(0)
	ds_write_b128 v11, v[2:5]
	s_waitcnt lgkmcnt(0)
	; wave barrier
	s_waitcnt lgkmcnt(0)
	s_and_saveexec_b64 s[4:5], s[0:1]
	s_cbranch_execz .LBB35_27
; %bb.20:
	ds_read_b128 v[2:5], v11
	s_andn2_b64 vcc, exec, s[6:7]
	s_cbranch_vccnz .LBB35_22
; %bb.21:
	scratch_load_dwordx4 v[120:123], v10, off
	s_waitcnt vmcnt(0) lgkmcnt(0)
	v_mul_f64 v[12:13], v[2:3], v[122:123]
	v_mul_f64 v[6:7], v[4:5], v[122:123]
	v_fmac_f64_e32 v[12:13], v[4:5], v[120:121]
	v_fma_f64 v[2:3], v[2:3], v[120:121], -v[6:7]
	v_mov_b64_e32 v[4:5], v[12:13]
.LBB35_22:
	s_and_saveexec_b64 s[8:9], s[2:3]
	s_cbranch_execz .LBB35_26
; %bb.23:
	v_mov_b32_e32 v7, 0
	v_subrev_u32_e32 v6, 33, v0
	v_add_u32_e32 v7, 0x218, v7
	s_movk_i32 s10, 0x450
	s_mov_b64 s[2:3], 0
.LBB35_24:                              ; =>This Inner Loop Header: Depth=1
	v_add_u32_e32 v12, -8, v7
	scratch_load_dwordx4 v[120:123], v12, off
	v_mov_b32_e32 v12, s10
	ds_read_b128 v[124:127], v12
	v_add_u32_e32 v6, -1, v6
	s_add_i32 s10, s10, 16
	v_cmp_eq_u32_e32 vcc, 0, v6
	v_add_u32_e32 v7, 16, v7
	s_or_b64 s[2:3], vcc, s[2:3]
	s_waitcnt vmcnt(0) lgkmcnt(0)
	v_mul_f64 v[12:13], v[126:127], v[122:123]
	v_mul_f64 v[122:123], v[124:125], v[122:123]
	v_fma_f64 v[12:13], v[124:125], v[120:121], -v[12:13]
	v_fmac_f64_e32 v[122:123], v[126:127], v[120:121]
	v_add_f64 v[2:3], v[2:3], v[12:13]
	v_add_f64 v[4:5], v[4:5], v[122:123]
	s_andn2_b64 exec, exec, s[2:3]
	s_cbranch_execnz .LBB35_24
; %bb.25:
	s_or_b64 exec, exec, s[2:3]
.LBB35_26:
	s_or_b64 exec, exec, s[8:9]
	v_mov_b32_e32 v6, 0
	ds_read_b128 v[120:123], v6 offset:512
	s_waitcnt lgkmcnt(0)
	v_mul_f64 v[6:7], v[4:5], v[122:123]
	v_mul_f64 v[124:125], v[2:3], v[122:123]
	v_fma_f64 v[122:123], v[2:3], v[120:121], -v[6:7]
	v_fmac_f64_e32 v[124:125], v[4:5], v[120:121]
	scratch_store_dwordx4 off, v[122:125], off offset:512
.LBB35_27:
	s_or_b64 exec, exec, s[4:5]
	scratch_load_dwordx4 v[2:5], v57, off
	v_cmp_lt_u32_e64 s[2:3], 31, v0
	s_waitcnt vmcnt(0)
	ds_write_b128 v11, v[2:5]
	s_waitcnt lgkmcnt(0)
	; wave barrier
	s_waitcnt lgkmcnt(0)
	s_and_saveexec_b64 s[4:5], s[2:3]
	s_cbranch_execz .LBB35_35
; %bb.28:
	ds_read_b128 v[2:5], v11
	s_andn2_b64 vcc, exec, s[6:7]
	s_cbranch_vccnz .LBB35_30
; %bb.29:
	scratch_load_dwordx4 v[120:123], v10, off
	s_waitcnt vmcnt(0) lgkmcnt(0)
	v_mul_f64 v[12:13], v[2:3], v[122:123]
	v_mul_f64 v[6:7], v[4:5], v[122:123]
	v_fmac_f64_e32 v[12:13], v[4:5], v[120:121]
	v_fma_f64 v[2:3], v[2:3], v[120:121], -v[6:7]
	v_mov_b64_e32 v[4:5], v[12:13]
.LBB35_30:
	s_and_saveexec_b64 s[8:9], s[0:1]
	s_cbranch_execz .LBB35_34
; %bb.31:
	v_mov_b32_e32 v7, 0
	v_subrev_u32_e32 v6, 32, v0
	v_add_u32_e32 v7, 0x208, v7
	s_movk_i32 s10, 0x440
	s_mov_b64 s[0:1], 0
.LBB35_32:                              ; =>This Inner Loop Header: Depth=1
	v_add_u32_e32 v12, -8, v7
	scratch_load_dwordx4 v[120:123], v12, off
	v_mov_b32_e32 v12, s10
	ds_read_b128 v[124:127], v12
	v_add_u32_e32 v6, -1, v6
	s_add_i32 s10, s10, 16
	v_cmp_eq_u32_e32 vcc, 0, v6
	v_add_u32_e32 v7, 16, v7
	s_or_b64 s[0:1], vcc, s[0:1]
	s_waitcnt vmcnt(0) lgkmcnt(0)
	v_mul_f64 v[12:13], v[126:127], v[122:123]
	v_mul_f64 v[122:123], v[124:125], v[122:123]
	v_fma_f64 v[12:13], v[124:125], v[120:121], -v[12:13]
	v_fmac_f64_e32 v[122:123], v[126:127], v[120:121]
	v_add_f64 v[2:3], v[2:3], v[12:13]
	v_add_f64 v[4:5], v[4:5], v[122:123]
	s_andn2_b64 exec, exec, s[0:1]
	s_cbranch_execnz .LBB35_32
; %bb.33:
	s_or_b64 exec, exec, s[0:1]
.LBB35_34:
	s_or_b64 exec, exec, s[8:9]
	v_mov_b32_e32 v6, 0
	ds_read_b128 v[120:123], v6 offset:496
	s_waitcnt lgkmcnt(0)
	v_mul_f64 v[6:7], v[4:5], v[122:123]
	v_mul_f64 v[124:125], v[2:3], v[122:123]
	v_fma_f64 v[122:123], v[2:3], v[120:121], -v[6:7]
	v_fmac_f64_e32 v[124:125], v[4:5], v[120:121]
	scratch_store_dwordx4 off, v[122:125], off offset:496
.LBB35_35:
	;; [unrolled: 63-line block ×10, first 2 shown]
	s_or_b64 exec, exec, s[4:5]
	scratch_load_dwordx4 v[2:5], v97, off
	v_cmp_lt_u32_e64 s[0:1], 22, v0
	s_waitcnt vmcnt(0)
	ds_write_b128 v11, v[2:5]
	s_waitcnt lgkmcnt(0)
	; wave barrier
	s_waitcnt lgkmcnt(0)
	s_and_saveexec_b64 s[4:5], s[0:1]
	s_cbranch_execz .LBB35_107
; %bb.100:
	ds_read_b128 v[2:5], v11
	s_andn2_b64 vcc, exec, s[6:7]
	s_cbranch_vccnz .LBB35_102
; %bb.101:
	scratch_load_dwordx4 v[120:123], v10, off
	s_waitcnt vmcnt(0) lgkmcnt(0)
	v_mul_f64 v[12:13], v[2:3], v[122:123]
	v_mul_f64 v[6:7], v[4:5], v[122:123]
	v_fmac_f64_e32 v[12:13], v[4:5], v[120:121]
	v_fma_f64 v[2:3], v[2:3], v[120:121], -v[6:7]
	v_mov_b64_e32 v[4:5], v[12:13]
.LBB35_102:
	s_and_saveexec_b64 s[8:9], s[2:3]
	s_cbranch_execz .LBB35_106
; %bb.103:
	v_mov_b32_e32 v7, 0
	v_subrev_u32_e32 v6, 23, v0
	v_add_u32_e32 v7, 0x178, v7
	s_movk_i32 s10, 0x3b0
	s_mov_b64 s[2:3], 0
.LBB35_104:                             ; =>This Inner Loop Header: Depth=1
	v_add_u32_e32 v12, -8, v7
	scratch_load_dwordx4 v[120:123], v12, off
	v_mov_b32_e32 v12, s10
	ds_read_b128 v[124:127], v12
	v_add_u32_e32 v6, -1, v6
	s_add_i32 s10, s10, 16
	v_cmp_eq_u32_e32 vcc, 0, v6
	v_add_u32_e32 v7, 16, v7
	s_or_b64 s[2:3], vcc, s[2:3]
	s_waitcnt vmcnt(0) lgkmcnt(0)
	v_mul_f64 v[12:13], v[126:127], v[122:123]
	v_mul_f64 v[122:123], v[124:125], v[122:123]
	v_fma_f64 v[12:13], v[124:125], v[120:121], -v[12:13]
	v_fmac_f64_e32 v[122:123], v[126:127], v[120:121]
	v_add_f64 v[2:3], v[2:3], v[12:13]
	v_add_f64 v[4:5], v[4:5], v[122:123]
	s_andn2_b64 exec, exec, s[2:3]
	s_cbranch_execnz .LBB35_104
; %bb.105:
	s_or_b64 exec, exec, s[2:3]
.LBB35_106:
	s_or_b64 exec, exec, s[8:9]
	v_mov_b32_e32 v6, 0
	ds_read_b128 v[120:123], v6 offset:352
	s_waitcnt lgkmcnt(0)
	v_mul_f64 v[6:7], v[4:5], v[122:123]
	v_mul_f64 v[124:125], v[2:3], v[122:123]
	v_fma_f64 v[122:123], v[2:3], v[120:121], -v[6:7]
	v_fmac_f64_e32 v[124:125], v[4:5], v[120:121]
	scratch_store_dwordx4 off, v[122:125], off offset:352
.LBB35_107:
	s_or_b64 exec, exec, s[4:5]
	scratch_load_dwordx4 v[2:5], v98, off
	v_cmp_lt_u32_e64 s[2:3], 21, v0
	s_waitcnt vmcnt(0)
	ds_write_b128 v11, v[2:5]
	s_waitcnt lgkmcnt(0)
	; wave barrier
	s_waitcnt lgkmcnt(0)
	s_and_saveexec_b64 s[4:5], s[2:3]
	s_cbranch_execz .LBB35_115
; %bb.108:
	ds_read_b128 v[2:5], v11
	s_andn2_b64 vcc, exec, s[6:7]
	s_cbranch_vccnz .LBB35_110
; %bb.109:
	scratch_load_dwordx4 v[120:123], v10, off
	s_waitcnt vmcnt(0) lgkmcnt(0)
	v_mul_f64 v[12:13], v[2:3], v[122:123]
	v_mul_f64 v[6:7], v[4:5], v[122:123]
	v_fmac_f64_e32 v[12:13], v[4:5], v[120:121]
	v_fma_f64 v[2:3], v[2:3], v[120:121], -v[6:7]
	v_mov_b64_e32 v[4:5], v[12:13]
.LBB35_110:
	s_and_saveexec_b64 s[8:9], s[0:1]
	s_cbranch_execz .LBB35_114
; %bb.111:
	v_mov_b32_e32 v7, 0
	v_subrev_u32_e32 v6, 22, v0
	v_add_u32_e32 v7, 0x168, v7
	s_movk_i32 s10, 0x3a0
	s_mov_b64 s[0:1], 0
.LBB35_112:                             ; =>This Inner Loop Header: Depth=1
	v_add_u32_e32 v12, -8, v7
	scratch_load_dwordx4 v[120:123], v12, off
	v_mov_b32_e32 v12, s10
	ds_read_b128 v[124:127], v12
	v_add_u32_e32 v6, -1, v6
	s_add_i32 s10, s10, 16
	v_cmp_eq_u32_e32 vcc, 0, v6
	v_add_u32_e32 v7, 16, v7
	s_or_b64 s[0:1], vcc, s[0:1]
	s_waitcnt vmcnt(0) lgkmcnt(0)
	v_mul_f64 v[12:13], v[126:127], v[122:123]
	v_mul_f64 v[122:123], v[124:125], v[122:123]
	v_fma_f64 v[12:13], v[124:125], v[120:121], -v[12:13]
	v_fmac_f64_e32 v[122:123], v[126:127], v[120:121]
	v_add_f64 v[2:3], v[2:3], v[12:13]
	v_add_f64 v[4:5], v[4:5], v[122:123]
	s_andn2_b64 exec, exec, s[0:1]
	s_cbranch_execnz .LBB35_112
; %bb.113:
	s_or_b64 exec, exec, s[0:1]
.LBB35_114:
	s_or_b64 exec, exec, s[8:9]
	v_mov_b32_e32 v6, 0
	ds_read_b128 v[120:123], v6 offset:336
	s_waitcnt lgkmcnt(0)
	v_mul_f64 v[6:7], v[4:5], v[122:123]
	v_mul_f64 v[124:125], v[2:3], v[122:123]
	v_fma_f64 v[122:123], v[2:3], v[120:121], -v[6:7]
	v_fmac_f64_e32 v[124:125], v[4:5], v[120:121]
	scratch_store_dwordx4 off, v[122:125], off offset:336
.LBB35_115:
	;; [unrolled: 63-line block ×7, first 2 shown]
	s_or_b64 exec, exec, s[4:5]
	scratch_load_dwordx4 v[2:5], v104, off
	v_cmp_lt_u32_e64 s[2:3], 15, v0
	s_waitcnt vmcnt(0)
	ds_write_b128 v11, v[2:5]
	s_waitcnt lgkmcnt(0)
	; wave barrier
	s_waitcnt lgkmcnt(0)
	s_and_saveexec_b64 s[4:5], s[2:3]
	s_cbranch_execz .LBB35_163
; %bb.156:
	ds_read_b128 v[2:5], v11
	s_andn2_b64 vcc, exec, s[6:7]
	s_cbranch_vccnz .LBB35_158
; %bb.157:
	scratch_load_dwordx4 v[120:123], v10, off
	s_waitcnt vmcnt(0) lgkmcnt(0)
	v_mul_f64 v[12:13], v[2:3], v[122:123]
	v_mul_f64 v[6:7], v[4:5], v[122:123]
	v_fmac_f64_e32 v[12:13], v[4:5], v[120:121]
	v_fma_f64 v[2:3], v[2:3], v[120:121], -v[6:7]
	v_mov_b64_e32 v[4:5], v[12:13]
.LBB35_158:
	s_and_saveexec_b64 s[8:9], s[0:1]
	s_cbranch_execz .LBB35_162
; %bb.159:
	v_mov_b32_e32 v7, 0
	v_add_u32_e32 v6, -16, v0
	v_add_u32_e32 v7, 0x108, v7
	s_movk_i32 s10, 0x340
	s_mov_b64 s[0:1], 0
.LBB35_160:                             ; =>This Inner Loop Header: Depth=1
	v_add_u32_e32 v12, -8, v7
	scratch_load_dwordx4 v[120:123], v12, off
	v_mov_b32_e32 v12, s10
	ds_read_b128 v[124:127], v12
	v_add_u32_e32 v6, -1, v6
	s_add_i32 s10, s10, 16
	v_cmp_eq_u32_e32 vcc, 0, v6
	v_add_u32_e32 v7, 16, v7
	s_or_b64 s[0:1], vcc, s[0:1]
	s_waitcnt vmcnt(0) lgkmcnt(0)
	v_mul_f64 v[12:13], v[126:127], v[122:123]
	v_mul_f64 v[122:123], v[124:125], v[122:123]
	v_fma_f64 v[12:13], v[124:125], v[120:121], -v[12:13]
	v_fmac_f64_e32 v[122:123], v[126:127], v[120:121]
	v_add_f64 v[2:3], v[2:3], v[12:13]
	v_add_f64 v[4:5], v[4:5], v[122:123]
	s_andn2_b64 exec, exec, s[0:1]
	s_cbranch_execnz .LBB35_160
; %bb.161:
	s_or_b64 exec, exec, s[0:1]
.LBB35_162:
	s_or_b64 exec, exec, s[8:9]
	v_mov_b32_e32 v6, 0
	ds_read_b128 v[120:123], v6 offset:240
	s_waitcnt lgkmcnt(0)
	v_mul_f64 v[6:7], v[4:5], v[122:123]
	v_mul_f64 v[124:125], v[2:3], v[122:123]
	v_fma_f64 v[122:123], v[2:3], v[120:121], -v[6:7]
	v_fmac_f64_e32 v[124:125], v[4:5], v[120:121]
	scratch_store_dwordx4 off, v[122:125], off offset:240
.LBB35_163:
	s_or_b64 exec, exec, s[4:5]
	scratch_load_dwordx4 v[2:5], v105, off
	v_cmp_lt_u32_e64 s[0:1], 14, v0
	s_waitcnt vmcnt(0)
	ds_write_b128 v11, v[2:5]
	s_waitcnt lgkmcnt(0)
	; wave barrier
	s_waitcnt lgkmcnt(0)
	s_and_saveexec_b64 s[4:5], s[0:1]
	s_cbranch_execz .LBB35_171
; %bb.164:
	ds_read_b128 v[2:5], v11
	s_andn2_b64 vcc, exec, s[6:7]
	s_cbranch_vccnz .LBB35_166
; %bb.165:
	scratch_load_dwordx4 v[120:123], v10, off
	s_waitcnt vmcnt(0) lgkmcnt(0)
	v_mul_f64 v[12:13], v[2:3], v[122:123]
	v_mul_f64 v[6:7], v[4:5], v[122:123]
	v_fmac_f64_e32 v[12:13], v[4:5], v[120:121]
	v_fma_f64 v[2:3], v[2:3], v[120:121], -v[6:7]
	v_mov_b64_e32 v[4:5], v[12:13]
.LBB35_166:
	s_and_saveexec_b64 s[8:9], s[2:3]
	s_cbranch_execz .LBB35_170
; %bb.167:
	v_mov_b32_e32 v7, 0
	v_add_u32_e32 v6, -15, v0
	v_add_u32_e32 v7, 0xf8, v7
	s_movk_i32 s10, 0x330
	s_mov_b64 s[2:3], 0
.LBB35_168:                             ; =>This Inner Loop Header: Depth=1
	v_add_u32_e32 v12, -8, v7
	scratch_load_dwordx4 v[120:123], v12, off
	v_mov_b32_e32 v12, s10
	ds_read_b128 v[124:127], v12
	v_add_u32_e32 v6, -1, v6
	s_add_i32 s10, s10, 16
	v_cmp_eq_u32_e32 vcc, 0, v6
	v_add_u32_e32 v7, 16, v7
	s_or_b64 s[2:3], vcc, s[2:3]
	s_waitcnt vmcnt(0) lgkmcnt(0)
	v_mul_f64 v[12:13], v[126:127], v[122:123]
	v_mul_f64 v[122:123], v[124:125], v[122:123]
	v_fma_f64 v[12:13], v[124:125], v[120:121], -v[12:13]
	v_fmac_f64_e32 v[122:123], v[126:127], v[120:121]
	v_add_f64 v[2:3], v[2:3], v[12:13]
	v_add_f64 v[4:5], v[4:5], v[122:123]
	s_andn2_b64 exec, exec, s[2:3]
	s_cbranch_execnz .LBB35_168
; %bb.169:
	s_or_b64 exec, exec, s[2:3]
.LBB35_170:
	s_or_b64 exec, exec, s[8:9]
	v_mov_b32_e32 v6, 0
	ds_read_b128 v[120:123], v6 offset:224
	s_waitcnt lgkmcnt(0)
	v_mul_f64 v[6:7], v[4:5], v[122:123]
	v_mul_f64 v[124:125], v[2:3], v[122:123]
	v_fma_f64 v[122:123], v[2:3], v[120:121], -v[6:7]
	v_fmac_f64_e32 v[124:125], v[4:5], v[120:121]
	scratch_store_dwordx4 off, v[122:125], off offset:224
.LBB35_171:
	;; [unrolled: 63-line block ×15, first 2 shown]
	s_or_b64 exec, exec, s[2:3]
	scratch_load_dwordx4 v[2:5], off, off
	v_cmp_ne_u32_e32 vcc, 0, v0
	s_mov_b64 s[2:3], 0
	s_mov_b64 s[4:5], 0
                                        ; implicit-def: $vgpr6_vgpr7
                                        ; implicit-def: $vgpr12
	s_waitcnt vmcnt(0)
	ds_write_b128 v11, v[2:5]
	s_waitcnt lgkmcnt(0)
	; wave barrier
	s_waitcnt lgkmcnt(0)
	s_and_saveexec_b64 s[8:9], vcc
	s_cbranch_execz .LBB35_283
; %bb.276:
	ds_read_b128 v[2:5], v11
	s_andn2_b64 vcc, exec, s[6:7]
	s_cbranch_vccnz .LBB35_278
; %bb.277:
	scratch_load_dwordx4 v[120:123], v10, off
	s_waitcnt vmcnt(0) lgkmcnt(0)
	v_mul_f64 v[12:13], v[2:3], v[122:123]
	v_mul_f64 v[6:7], v[4:5], v[122:123]
	v_fmac_f64_e32 v[12:13], v[4:5], v[120:121]
	v_fma_f64 v[2:3], v[2:3], v[120:121], -v[6:7]
	v_mov_b64_e32 v[4:5], v[12:13]
.LBB35_278:
	s_and_saveexec_b64 s[4:5], s[0:1]
	s_cbranch_execz .LBB35_282
; %bb.279:
	v_mov_b32_e32 v7, 0
	v_add_u32_e32 v6, -1, v0
	v_add_u32_e32 v7, 24, v7
	s_movk_i32 s10, 0x250
	s_mov_b64 s[0:1], 0
.LBB35_280:                             ; =>This Inner Loop Header: Depth=1
	v_add_u32_e32 v12, -8, v7
	scratch_load_dwordx4 v[120:123], v12, off
	v_mov_b32_e32 v12, s10
	ds_read_b128 v[124:127], v12
	v_add_u32_e32 v6, -1, v6
	s_add_i32 s10, s10, 16
	v_cmp_eq_u32_e32 vcc, 0, v6
	v_add_u32_e32 v7, 16, v7
	s_or_b64 s[0:1], vcc, s[0:1]
	s_waitcnt vmcnt(0) lgkmcnt(0)
	v_mul_f64 v[12:13], v[126:127], v[122:123]
	v_mul_f64 v[122:123], v[124:125], v[122:123]
	v_fma_f64 v[12:13], v[124:125], v[120:121], -v[12:13]
	v_fmac_f64_e32 v[122:123], v[126:127], v[120:121]
	v_add_f64 v[2:3], v[2:3], v[12:13]
	v_add_f64 v[4:5], v[4:5], v[122:123]
	s_andn2_b64 exec, exec, s[0:1]
	s_cbranch_execnz .LBB35_280
; %bb.281:
	s_or_b64 exec, exec, s[0:1]
.LBB35_282:
	s_or_b64 exec, exec, s[4:5]
	v_mov_b32_e32 v6, 0
	ds_read_b128 v[120:123], v6
	v_mov_b32_e32 v6, 0
	v_or_b32_e32 v12, 8, v6
	s_mov_b64 s[4:5], exec
	s_waitcnt lgkmcnt(0)
	v_mul_f64 v[124:125], v[4:5], v[122:123]
	v_mul_f64 v[6:7], v[2:3], v[122:123]
	v_fma_f64 v[2:3], v[2:3], v[120:121], -v[124:125]
	v_fmac_f64_e32 v[6:7], v[4:5], v[120:121]
	scratch_store_dwordx2 off, v[2:3], off
.LBB35_283:
	s_or_b64 exec, exec, s[8:9]
	s_and_b64 vcc, exec, s[2:3]
	s_cbranch_vccnz .LBB35_285
	s_branch .LBB35_560
.LBB35_284:
	s_mov_b64 s[4:5], 0
                                        ; implicit-def: $vgpr6_vgpr7
                                        ; implicit-def: $vgpr12
	s_cbranch_execz .LBB35_560
.LBB35_285:
	scratch_load_dwordx4 v[2:5], v116, off
	v_cndmask_b32_e64 v6, 0, 1, s[6:7]
	v_cmp_eq_u32_e64 s[2:3], 0, v0
	v_cmp_ne_u32_e64 s[0:1], 1, v6
	s_waitcnt vmcnt(0)
	ds_write_b128 v11, v[2:5]
	s_waitcnt lgkmcnt(0)
	; wave barrier
	s_waitcnt lgkmcnt(0)
	s_and_saveexec_b64 s[6:7], s[2:3]
	s_cbranch_execz .LBB35_289
; %bb.286:
	ds_read_b128 v[2:5], v11
	s_and_b64 vcc, exec, s[0:1]
	s_cbranch_vccnz .LBB35_288
; %bb.287:
	scratch_load_dwordx4 v[120:123], v10, off
	s_waitcnt vmcnt(0) lgkmcnt(0)
	v_mul_f64 v[12:13], v[2:3], v[122:123]
	v_mul_f64 v[6:7], v[4:5], v[122:123]
	v_fmac_f64_e32 v[12:13], v[4:5], v[120:121]
	v_fma_f64 v[2:3], v[2:3], v[120:121], -v[6:7]
	v_mov_b64_e32 v[4:5], v[12:13]
.LBB35_288:
	v_mov_b32_e32 v6, 0
	ds_read_b128 v[120:123], v6 offset:16
	s_waitcnt lgkmcnt(0)
	v_mul_f64 v[6:7], v[4:5], v[122:123]
	v_mul_f64 v[124:125], v[2:3], v[122:123]
	v_fma_f64 v[122:123], v[2:3], v[120:121], -v[6:7]
	v_fmac_f64_e32 v[124:125], v[4:5], v[120:121]
	scratch_store_dwordx4 off, v[122:125], off offset:16
.LBB35_289:
	s_or_b64 exec, exec, s[6:7]
	scratch_load_dwordx4 v[2:5], v114, off
	v_cmp_gt_u32_e32 vcc, 2, v0
	s_waitcnt vmcnt(0)
	ds_write_b128 v11, v[2:5]
	s_waitcnt lgkmcnt(0)
	; wave barrier
	s_waitcnt lgkmcnt(0)
	s_and_saveexec_b64 s[6:7], vcc
	s_cbranch_execz .LBB35_295
; %bb.290:
	ds_read_b128 v[2:5], v11
	s_and_b64 vcc, exec, s[0:1]
	s_cbranch_vccnz .LBB35_292
; %bb.291:
	scratch_load_dwordx4 v[120:123], v10, off
	s_waitcnt vmcnt(0) lgkmcnt(0)
	v_mul_f64 v[12:13], v[2:3], v[122:123]
	v_mul_f64 v[6:7], v[4:5], v[122:123]
	v_fmac_f64_e32 v[12:13], v[4:5], v[120:121]
	v_fma_f64 v[2:3], v[2:3], v[120:121], -v[6:7]
	v_mov_b64_e32 v[4:5], v[12:13]
.LBB35_292:
	s_and_saveexec_b64 s[8:9], s[2:3]
	s_cbranch_execz .LBB35_294
; %bb.293:
	scratch_load_dwordx4 v[120:123], v10, off offset:16
	ds_read_b128 v[124:127], v11 offset:16
	s_waitcnt vmcnt(0) lgkmcnt(0)
	v_mul_f64 v[6:7], v[126:127], v[122:123]
	v_mul_f64 v[12:13], v[124:125], v[122:123]
	v_fma_f64 v[6:7], v[124:125], v[120:121], -v[6:7]
	v_fmac_f64_e32 v[12:13], v[126:127], v[120:121]
	v_add_f64 v[2:3], v[2:3], v[6:7]
	v_add_f64 v[4:5], v[4:5], v[12:13]
.LBB35_294:
	s_or_b64 exec, exec, s[8:9]
	v_mov_b32_e32 v6, 0
	ds_read_b128 v[120:123], v6 offset:32
	s_waitcnt lgkmcnt(0)
	v_mul_f64 v[6:7], v[4:5], v[122:123]
	v_mul_f64 v[124:125], v[2:3], v[122:123]
	v_fma_f64 v[122:123], v[2:3], v[120:121], -v[6:7]
	v_fmac_f64_e32 v[124:125], v[4:5], v[120:121]
	scratch_store_dwordx4 off, v[122:125], off offset:32
.LBB35_295:
	s_or_b64 exec, exec, s[6:7]
	scratch_load_dwordx4 v[2:5], v117, off
	v_cmp_gt_u32_e32 vcc, 3, v0
	s_waitcnt vmcnt(0)
	ds_write_b128 v11, v[2:5]
	s_waitcnt lgkmcnt(0)
	; wave barrier
	s_waitcnt lgkmcnt(0)
	s_and_saveexec_b64 s[6:7], vcc
	s_cbranch_execz .LBB35_303
; %bb.296:
	ds_read_b128 v[2:5], v11
	s_and_b64 vcc, exec, s[0:1]
	s_cbranch_vccnz .LBB35_298
; %bb.297:
	scratch_load_dwordx4 v[120:123], v10, off
	s_waitcnt vmcnt(0) lgkmcnt(0)
	v_mul_f64 v[12:13], v[2:3], v[122:123]
	v_mul_f64 v[6:7], v[4:5], v[122:123]
	v_fmac_f64_e32 v[12:13], v[4:5], v[120:121]
	v_fma_f64 v[2:3], v[2:3], v[120:121], -v[6:7]
	v_mov_b64_e32 v[4:5], v[12:13]
.LBB35_298:
	v_cmp_ne_u32_e32 vcc, 2, v0
	s_and_saveexec_b64 s[8:9], vcc
	s_cbranch_execz .LBB35_302
; %bb.299:
	scratch_load_dwordx4 v[120:123], v10, off offset:16
	ds_read_b128 v[124:127], v11 offset:16
	s_waitcnt vmcnt(0) lgkmcnt(0)
	v_mul_f64 v[6:7], v[126:127], v[122:123]
	v_mul_f64 v[12:13], v[124:125], v[122:123]
	v_fma_f64 v[6:7], v[124:125], v[120:121], -v[6:7]
	v_fmac_f64_e32 v[12:13], v[126:127], v[120:121]
	v_add_f64 v[2:3], v[2:3], v[6:7]
	v_add_f64 v[4:5], v[4:5], v[12:13]
	s_and_saveexec_b64 s[10:11], s[2:3]
	s_cbranch_execz .LBB35_301
; %bb.300:
	scratch_load_dwordx4 v[120:123], off, off offset:32
	v_mov_b32_e32 v6, 0
	ds_read_b128 v[124:127], v6 offset:608
	s_waitcnt vmcnt(0) lgkmcnt(0)
	v_mul_f64 v[6:7], v[124:125], v[122:123]
	v_mul_f64 v[12:13], v[126:127], v[122:123]
	v_fmac_f64_e32 v[6:7], v[126:127], v[120:121]
	v_fma_f64 v[12:13], v[124:125], v[120:121], -v[12:13]
	v_add_f64 v[4:5], v[4:5], v[6:7]
	v_add_f64 v[2:3], v[2:3], v[12:13]
.LBB35_301:
	s_or_b64 exec, exec, s[10:11]
.LBB35_302:
	s_or_b64 exec, exec, s[8:9]
	v_mov_b32_e32 v6, 0
	ds_read_b128 v[120:123], v6 offset:48
	s_waitcnt lgkmcnt(0)
	v_mul_f64 v[6:7], v[4:5], v[122:123]
	v_mul_f64 v[124:125], v[2:3], v[122:123]
	v_fma_f64 v[122:123], v[2:3], v[120:121], -v[6:7]
	v_fmac_f64_e32 v[124:125], v[4:5], v[120:121]
	scratch_store_dwordx4 off, v[122:125], off offset:48
.LBB35_303:
	s_or_b64 exec, exec, s[6:7]
	scratch_load_dwordx4 v[2:5], v118, off
	v_cmp_gt_u32_e32 vcc, 4, v0
	s_waitcnt vmcnt(0)
	ds_write_b128 v11, v[2:5]
	s_waitcnt lgkmcnt(0)
	; wave barrier
	s_waitcnt lgkmcnt(0)
	s_and_saveexec_b64 s[2:3], vcc
	s_cbranch_execz .LBB35_311
; %bb.304:
	ds_read_b128 v[2:5], v11
	s_and_b64 vcc, exec, s[0:1]
	s_cbranch_vccnz .LBB35_306
; %bb.305:
	scratch_load_dwordx4 v[120:123], v10, off
	s_waitcnt vmcnt(0) lgkmcnt(0)
	v_mul_f64 v[12:13], v[2:3], v[122:123]
	v_mul_f64 v[6:7], v[4:5], v[122:123]
	v_fmac_f64_e32 v[12:13], v[4:5], v[120:121]
	v_fma_f64 v[2:3], v[2:3], v[120:121], -v[6:7]
	v_mov_b64_e32 v[4:5], v[12:13]
.LBB35_306:
	v_cmp_ne_u32_e32 vcc, 3, v0
	s_and_saveexec_b64 s[6:7], vcc
	s_cbranch_execz .LBB35_310
; %bb.307:
	v_mov_b32_e32 v7, 0
	v_add_u32_e32 v6, 0x250, v86
	v_add3_u32 v7, v86, v7, 24
	s_mov_b64 s[8:9], 0
	v_mov_b32_e32 v12, v0
.LBB35_308:                             ; =>This Inner Loop Header: Depth=1
	v_add_u32_e32 v13, -8, v7
	scratch_load_dwordx4 v[120:123], v13, off
	ds_read_b128 v[124:127], v6
	v_add_u32_e32 v12, 1, v12
	v_cmp_lt_u32_e32 vcc, 2, v12
	v_add_u32_e32 v6, 16, v6
	v_add_u32_e32 v7, 16, v7
	s_or_b64 s[8:9], vcc, s[8:9]
	s_waitcnt vmcnt(0) lgkmcnt(0)
	v_mul_f64 v[128:129], v[126:127], v[122:123]
	v_mul_f64 v[122:123], v[124:125], v[122:123]
	v_fma_f64 v[124:125], v[124:125], v[120:121], -v[128:129]
	v_fmac_f64_e32 v[122:123], v[126:127], v[120:121]
	v_add_f64 v[2:3], v[2:3], v[124:125]
	v_add_f64 v[4:5], v[4:5], v[122:123]
	s_andn2_b64 exec, exec, s[8:9]
	s_cbranch_execnz .LBB35_308
; %bb.309:
	s_or_b64 exec, exec, s[8:9]
.LBB35_310:
	s_or_b64 exec, exec, s[6:7]
	v_mov_b32_e32 v6, 0
	ds_read_b128 v[120:123], v6 offset:64
	s_waitcnt lgkmcnt(0)
	v_mul_f64 v[6:7], v[4:5], v[122:123]
	v_mul_f64 v[124:125], v[2:3], v[122:123]
	v_fma_f64 v[122:123], v[2:3], v[120:121], -v[6:7]
	v_fmac_f64_e32 v[124:125], v[4:5], v[120:121]
	scratch_store_dwordx4 off, v[122:125], off offset:64
.LBB35_311:
	s_or_b64 exec, exec, s[2:3]
	scratch_load_dwordx4 v[2:5], v115, off
	v_cmp_gt_u32_e32 vcc, 5, v0
	s_waitcnt vmcnt(0)
	ds_write_b128 v11, v[2:5]
	s_waitcnt lgkmcnt(0)
	; wave barrier
	s_waitcnt lgkmcnt(0)
	s_and_saveexec_b64 s[2:3], vcc
	s_cbranch_execz .LBB35_319
; %bb.312:
	ds_read_b128 v[2:5], v11
	s_and_b64 vcc, exec, s[0:1]
	s_cbranch_vccnz .LBB35_314
; %bb.313:
	scratch_load_dwordx4 v[120:123], v10, off
	s_waitcnt vmcnt(0) lgkmcnt(0)
	v_mul_f64 v[12:13], v[2:3], v[122:123]
	v_mul_f64 v[6:7], v[4:5], v[122:123]
	v_fmac_f64_e32 v[12:13], v[4:5], v[120:121]
	v_fma_f64 v[2:3], v[2:3], v[120:121], -v[6:7]
	v_mov_b64_e32 v[4:5], v[12:13]
.LBB35_314:
	v_cmp_ne_u32_e32 vcc, 4, v0
	s_and_saveexec_b64 s[6:7], vcc
	s_cbranch_execz .LBB35_318
; %bb.315:
	v_mov_b32_e32 v7, 0
	v_add_u32_e32 v6, 0x250, v86
	v_add3_u32 v7, v86, v7, 24
	s_mov_b64 s[8:9], 0
	v_mov_b32_e32 v12, v0
.LBB35_316:                             ; =>This Inner Loop Header: Depth=1
	v_add_u32_e32 v13, -8, v7
	scratch_load_dwordx4 v[120:123], v13, off
	ds_read_b128 v[124:127], v6
	v_add_u32_e32 v12, 1, v12
	v_cmp_lt_u32_e32 vcc, 3, v12
	v_add_u32_e32 v6, 16, v6
	v_add_u32_e32 v7, 16, v7
	s_or_b64 s[8:9], vcc, s[8:9]
	s_waitcnt vmcnt(0) lgkmcnt(0)
	v_mul_f64 v[128:129], v[126:127], v[122:123]
	v_mul_f64 v[122:123], v[124:125], v[122:123]
	v_fma_f64 v[124:125], v[124:125], v[120:121], -v[128:129]
	v_fmac_f64_e32 v[122:123], v[126:127], v[120:121]
	v_add_f64 v[2:3], v[2:3], v[124:125]
	v_add_f64 v[4:5], v[4:5], v[122:123]
	s_andn2_b64 exec, exec, s[8:9]
	s_cbranch_execnz .LBB35_316
; %bb.317:
	s_or_b64 exec, exec, s[8:9]
.LBB35_318:
	s_or_b64 exec, exec, s[6:7]
	v_mov_b32_e32 v6, 0
	ds_read_b128 v[120:123], v6 offset:80
	s_waitcnt lgkmcnt(0)
	v_mul_f64 v[6:7], v[4:5], v[122:123]
	v_mul_f64 v[124:125], v[2:3], v[122:123]
	v_fma_f64 v[122:123], v[2:3], v[120:121], -v[6:7]
	v_fmac_f64_e32 v[124:125], v[4:5], v[120:121]
	scratch_store_dwordx4 off, v[122:125], off offset:80
.LBB35_319:
	s_or_b64 exec, exec, s[2:3]
	scratch_load_dwordx4 v[2:5], v113, off
	v_cmp_gt_u32_e32 vcc, 6, v0
	s_waitcnt vmcnt(0)
	ds_write_b128 v11, v[2:5]
	s_waitcnt lgkmcnt(0)
	; wave barrier
	s_waitcnt lgkmcnt(0)
	s_and_saveexec_b64 s[2:3], vcc
	s_cbranch_execz .LBB35_327
; %bb.320:
	ds_read_b128 v[2:5], v11
	s_and_b64 vcc, exec, s[0:1]
	s_cbranch_vccnz .LBB35_322
; %bb.321:
	scratch_load_dwordx4 v[120:123], v10, off
	s_waitcnt vmcnt(0) lgkmcnt(0)
	v_mul_f64 v[12:13], v[2:3], v[122:123]
	v_mul_f64 v[6:7], v[4:5], v[122:123]
	v_fmac_f64_e32 v[12:13], v[4:5], v[120:121]
	v_fma_f64 v[2:3], v[2:3], v[120:121], -v[6:7]
	v_mov_b64_e32 v[4:5], v[12:13]
.LBB35_322:
	v_cmp_ne_u32_e32 vcc, 5, v0
	s_and_saveexec_b64 s[6:7], vcc
	s_cbranch_execz .LBB35_326
; %bb.323:
	v_mov_b32_e32 v7, 0
	v_add_u32_e32 v6, 0x250, v86
	v_add3_u32 v7, v86, v7, 24
	s_mov_b64 s[8:9], 0
	v_mov_b32_e32 v12, v0
.LBB35_324:                             ; =>This Inner Loop Header: Depth=1
	v_add_u32_e32 v13, -8, v7
	scratch_load_dwordx4 v[120:123], v13, off
	ds_read_b128 v[124:127], v6
	v_add_u32_e32 v12, 1, v12
	v_cmp_lt_u32_e32 vcc, 4, v12
	v_add_u32_e32 v6, 16, v6
	v_add_u32_e32 v7, 16, v7
	s_or_b64 s[8:9], vcc, s[8:9]
	s_waitcnt vmcnt(0) lgkmcnt(0)
	v_mul_f64 v[128:129], v[126:127], v[122:123]
	v_mul_f64 v[122:123], v[124:125], v[122:123]
	v_fma_f64 v[124:125], v[124:125], v[120:121], -v[128:129]
	v_fmac_f64_e32 v[122:123], v[126:127], v[120:121]
	v_add_f64 v[2:3], v[2:3], v[124:125]
	v_add_f64 v[4:5], v[4:5], v[122:123]
	s_andn2_b64 exec, exec, s[8:9]
	s_cbranch_execnz .LBB35_324
; %bb.325:
	s_or_b64 exec, exec, s[8:9]
.LBB35_326:
	s_or_b64 exec, exec, s[6:7]
	v_mov_b32_e32 v6, 0
	ds_read_b128 v[120:123], v6 offset:96
	s_waitcnt lgkmcnt(0)
	v_mul_f64 v[6:7], v[4:5], v[122:123]
	v_mul_f64 v[124:125], v[2:3], v[122:123]
	v_fma_f64 v[122:123], v[2:3], v[120:121], -v[6:7]
	v_fmac_f64_e32 v[124:125], v[4:5], v[120:121]
	scratch_store_dwordx4 off, v[122:125], off offset:96
.LBB35_327:
	s_or_b64 exec, exec, s[2:3]
	scratch_load_dwordx4 v[2:5], v112, off
	v_cmp_gt_u32_e32 vcc, 7, v0
	s_waitcnt vmcnt(0)
	ds_write_b128 v11, v[2:5]
	s_waitcnt lgkmcnt(0)
	; wave barrier
	s_waitcnt lgkmcnt(0)
	s_and_saveexec_b64 s[2:3], vcc
	s_cbranch_execz .LBB35_335
; %bb.328:
	ds_read_b128 v[2:5], v11
	s_and_b64 vcc, exec, s[0:1]
	s_cbranch_vccnz .LBB35_330
; %bb.329:
	scratch_load_dwordx4 v[120:123], v10, off
	s_waitcnt vmcnt(0) lgkmcnt(0)
	v_mul_f64 v[12:13], v[2:3], v[122:123]
	v_mul_f64 v[6:7], v[4:5], v[122:123]
	v_fmac_f64_e32 v[12:13], v[4:5], v[120:121]
	v_fma_f64 v[2:3], v[2:3], v[120:121], -v[6:7]
	v_mov_b64_e32 v[4:5], v[12:13]
.LBB35_330:
	v_cmp_ne_u32_e32 vcc, 6, v0
	s_and_saveexec_b64 s[6:7], vcc
	s_cbranch_execz .LBB35_334
; %bb.331:
	v_mov_b32_e32 v7, 0
	v_add_u32_e32 v6, 0x250, v86
	v_add3_u32 v7, v86, v7, 24
	s_mov_b64 s[8:9], 0
	v_mov_b32_e32 v12, v0
.LBB35_332:                             ; =>This Inner Loop Header: Depth=1
	v_add_u32_e32 v13, -8, v7
	scratch_load_dwordx4 v[120:123], v13, off
	ds_read_b128 v[124:127], v6
	v_add_u32_e32 v12, 1, v12
	v_cmp_lt_u32_e32 vcc, 5, v12
	v_add_u32_e32 v6, 16, v6
	v_add_u32_e32 v7, 16, v7
	s_or_b64 s[8:9], vcc, s[8:9]
	s_waitcnt vmcnt(0) lgkmcnt(0)
	v_mul_f64 v[128:129], v[126:127], v[122:123]
	v_mul_f64 v[122:123], v[124:125], v[122:123]
	v_fma_f64 v[124:125], v[124:125], v[120:121], -v[128:129]
	v_fmac_f64_e32 v[122:123], v[126:127], v[120:121]
	v_add_f64 v[2:3], v[2:3], v[124:125]
	v_add_f64 v[4:5], v[4:5], v[122:123]
	s_andn2_b64 exec, exec, s[8:9]
	s_cbranch_execnz .LBB35_332
; %bb.333:
	s_or_b64 exec, exec, s[8:9]
.LBB35_334:
	s_or_b64 exec, exec, s[6:7]
	v_mov_b32_e32 v6, 0
	ds_read_b128 v[120:123], v6 offset:112
	s_waitcnt lgkmcnt(0)
	v_mul_f64 v[6:7], v[4:5], v[122:123]
	v_mul_f64 v[124:125], v[2:3], v[122:123]
	v_fma_f64 v[122:123], v[2:3], v[120:121], -v[6:7]
	v_fmac_f64_e32 v[124:125], v[4:5], v[120:121]
	scratch_store_dwordx4 off, v[122:125], off offset:112
.LBB35_335:
	s_or_b64 exec, exec, s[2:3]
	scratch_load_dwordx4 v[2:5], v111, off
	v_cmp_gt_u32_e32 vcc, 8, v0
	s_waitcnt vmcnt(0)
	ds_write_b128 v11, v[2:5]
	s_waitcnt lgkmcnt(0)
	; wave barrier
	s_waitcnt lgkmcnt(0)
	s_and_saveexec_b64 s[2:3], vcc
	s_cbranch_execz .LBB35_343
; %bb.336:
	ds_read_b128 v[2:5], v11
	s_and_b64 vcc, exec, s[0:1]
	s_cbranch_vccnz .LBB35_338
; %bb.337:
	scratch_load_dwordx4 v[120:123], v10, off
	s_waitcnt vmcnt(0) lgkmcnt(0)
	v_mul_f64 v[12:13], v[2:3], v[122:123]
	v_mul_f64 v[6:7], v[4:5], v[122:123]
	v_fmac_f64_e32 v[12:13], v[4:5], v[120:121]
	v_fma_f64 v[2:3], v[2:3], v[120:121], -v[6:7]
	v_mov_b64_e32 v[4:5], v[12:13]
.LBB35_338:
	v_cmp_ne_u32_e32 vcc, 7, v0
	s_and_saveexec_b64 s[6:7], vcc
	s_cbranch_execz .LBB35_342
; %bb.339:
	v_mov_b32_e32 v7, 0
	v_add_u32_e32 v6, 0x250, v86
	v_add3_u32 v7, v86, v7, 24
	s_mov_b64 s[8:9], 0
	v_mov_b32_e32 v12, v0
.LBB35_340:                             ; =>This Inner Loop Header: Depth=1
	v_add_u32_e32 v13, -8, v7
	scratch_load_dwordx4 v[120:123], v13, off
	ds_read_b128 v[124:127], v6
	v_add_u32_e32 v12, 1, v12
	v_cmp_lt_u32_e32 vcc, 6, v12
	v_add_u32_e32 v6, 16, v6
	v_add_u32_e32 v7, 16, v7
	s_or_b64 s[8:9], vcc, s[8:9]
	s_waitcnt vmcnt(0) lgkmcnt(0)
	v_mul_f64 v[128:129], v[126:127], v[122:123]
	v_mul_f64 v[122:123], v[124:125], v[122:123]
	v_fma_f64 v[124:125], v[124:125], v[120:121], -v[128:129]
	v_fmac_f64_e32 v[122:123], v[126:127], v[120:121]
	v_add_f64 v[2:3], v[2:3], v[124:125]
	v_add_f64 v[4:5], v[4:5], v[122:123]
	s_andn2_b64 exec, exec, s[8:9]
	s_cbranch_execnz .LBB35_340
; %bb.341:
	s_or_b64 exec, exec, s[8:9]
.LBB35_342:
	s_or_b64 exec, exec, s[6:7]
	v_mov_b32_e32 v6, 0
	ds_read_b128 v[120:123], v6 offset:128
	s_waitcnt lgkmcnt(0)
	v_mul_f64 v[6:7], v[4:5], v[122:123]
	v_mul_f64 v[124:125], v[2:3], v[122:123]
	v_fma_f64 v[122:123], v[2:3], v[120:121], -v[6:7]
	v_fmac_f64_e32 v[124:125], v[4:5], v[120:121]
	scratch_store_dwordx4 off, v[122:125], off offset:128
.LBB35_343:
	s_or_b64 exec, exec, s[2:3]
	scratch_load_dwordx4 v[2:5], v110, off
	v_cmp_gt_u32_e32 vcc, 9, v0
	s_waitcnt vmcnt(0)
	ds_write_b128 v11, v[2:5]
	s_waitcnt lgkmcnt(0)
	; wave barrier
	s_waitcnt lgkmcnt(0)
	s_and_saveexec_b64 s[2:3], vcc
	s_cbranch_execz .LBB35_351
; %bb.344:
	ds_read_b128 v[2:5], v11
	s_and_b64 vcc, exec, s[0:1]
	s_cbranch_vccnz .LBB35_346
; %bb.345:
	scratch_load_dwordx4 v[120:123], v10, off
	s_waitcnt vmcnt(0) lgkmcnt(0)
	v_mul_f64 v[12:13], v[2:3], v[122:123]
	v_mul_f64 v[6:7], v[4:5], v[122:123]
	v_fmac_f64_e32 v[12:13], v[4:5], v[120:121]
	v_fma_f64 v[2:3], v[2:3], v[120:121], -v[6:7]
	v_mov_b64_e32 v[4:5], v[12:13]
.LBB35_346:
	v_cmp_ne_u32_e32 vcc, 8, v0
	s_and_saveexec_b64 s[6:7], vcc
	s_cbranch_execz .LBB35_350
; %bb.347:
	v_mov_b32_e32 v7, 0
	v_add_u32_e32 v6, 0x250, v86
	v_add3_u32 v7, v86, v7, 24
	s_mov_b64 s[8:9], 0
	v_mov_b32_e32 v12, v0
.LBB35_348:                             ; =>This Inner Loop Header: Depth=1
	v_add_u32_e32 v13, -8, v7
	scratch_load_dwordx4 v[120:123], v13, off
	ds_read_b128 v[124:127], v6
	v_add_u32_e32 v12, 1, v12
	v_cmp_lt_u32_e32 vcc, 7, v12
	v_add_u32_e32 v6, 16, v6
	v_add_u32_e32 v7, 16, v7
	s_or_b64 s[8:9], vcc, s[8:9]
	s_waitcnt vmcnt(0) lgkmcnt(0)
	v_mul_f64 v[128:129], v[126:127], v[122:123]
	v_mul_f64 v[122:123], v[124:125], v[122:123]
	v_fma_f64 v[124:125], v[124:125], v[120:121], -v[128:129]
	v_fmac_f64_e32 v[122:123], v[126:127], v[120:121]
	v_add_f64 v[2:3], v[2:3], v[124:125]
	v_add_f64 v[4:5], v[4:5], v[122:123]
	s_andn2_b64 exec, exec, s[8:9]
	s_cbranch_execnz .LBB35_348
; %bb.349:
	s_or_b64 exec, exec, s[8:9]
.LBB35_350:
	s_or_b64 exec, exec, s[6:7]
	v_mov_b32_e32 v6, 0
	ds_read_b128 v[120:123], v6 offset:144
	s_waitcnt lgkmcnt(0)
	v_mul_f64 v[6:7], v[4:5], v[122:123]
	v_mul_f64 v[124:125], v[2:3], v[122:123]
	v_fma_f64 v[122:123], v[2:3], v[120:121], -v[6:7]
	v_fmac_f64_e32 v[124:125], v[4:5], v[120:121]
	scratch_store_dwordx4 off, v[122:125], off offset:144
.LBB35_351:
	s_or_b64 exec, exec, s[2:3]
	scratch_load_dwordx4 v[2:5], v109, off
	v_cmp_gt_u32_e32 vcc, 10, v0
	s_waitcnt vmcnt(0)
	ds_write_b128 v11, v[2:5]
	s_waitcnt lgkmcnt(0)
	; wave barrier
	s_waitcnt lgkmcnt(0)
	s_and_saveexec_b64 s[2:3], vcc
	s_cbranch_execz .LBB35_359
; %bb.352:
	ds_read_b128 v[2:5], v11
	s_and_b64 vcc, exec, s[0:1]
	s_cbranch_vccnz .LBB35_354
; %bb.353:
	scratch_load_dwordx4 v[120:123], v10, off
	s_waitcnt vmcnt(0) lgkmcnt(0)
	v_mul_f64 v[12:13], v[2:3], v[122:123]
	v_mul_f64 v[6:7], v[4:5], v[122:123]
	v_fmac_f64_e32 v[12:13], v[4:5], v[120:121]
	v_fma_f64 v[2:3], v[2:3], v[120:121], -v[6:7]
	v_mov_b64_e32 v[4:5], v[12:13]
.LBB35_354:
	v_cmp_ne_u32_e32 vcc, 9, v0
	s_and_saveexec_b64 s[6:7], vcc
	s_cbranch_execz .LBB35_358
; %bb.355:
	v_mov_b32_e32 v7, 0
	v_add_u32_e32 v6, 0x250, v86
	v_add3_u32 v7, v86, v7, 24
	s_mov_b64 s[8:9], 0
	v_mov_b32_e32 v12, v0
.LBB35_356:                             ; =>This Inner Loop Header: Depth=1
	v_add_u32_e32 v13, -8, v7
	scratch_load_dwordx4 v[120:123], v13, off
	ds_read_b128 v[124:127], v6
	v_add_u32_e32 v12, 1, v12
	v_cmp_lt_u32_e32 vcc, 8, v12
	v_add_u32_e32 v6, 16, v6
	v_add_u32_e32 v7, 16, v7
	s_or_b64 s[8:9], vcc, s[8:9]
	s_waitcnt vmcnt(0) lgkmcnt(0)
	v_mul_f64 v[128:129], v[126:127], v[122:123]
	v_mul_f64 v[122:123], v[124:125], v[122:123]
	v_fma_f64 v[124:125], v[124:125], v[120:121], -v[128:129]
	v_fmac_f64_e32 v[122:123], v[126:127], v[120:121]
	v_add_f64 v[2:3], v[2:3], v[124:125]
	v_add_f64 v[4:5], v[4:5], v[122:123]
	s_andn2_b64 exec, exec, s[8:9]
	s_cbranch_execnz .LBB35_356
; %bb.357:
	s_or_b64 exec, exec, s[8:9]
.LBB35_358:
	s_or_b64 exec, exec, s[6:7]
	v_mov_b32_e32 v6, 0
	ds_read_b128 v[120:123], v6 offset:160
	s_waitcnt lgkmcnt(0)
	v_mul_f64 v[6:7], v[4:5], v[122:123]
	v_mul_f64 v[124:125], v[2:3], v[122:123]
	v_fma_f64 v[122:123], v[2:3], v[120:121], -v[6:7]
	v_fmac_f64_e32 v[124:125], v[4:5], v[120:121]
	scratch_store_dwordx4 off, v[122:125], off offset:160
.LBB35_359:
	s_or_b64 exec, exec, s[2:3]
	scratch_load_dwordx4 v[2:5], v108, off
	v_cmp_gt_u32_e32 vcc, 11, v0
	s_waitcnt vmcnt(0)
	ds_write_b128 v11, v[2:5]
	s_waitcnt lgkmcnt(0)
	; wave barrier
	s_waitcnt lgkmcnt(0)
	s_and_saveexec_b64 s[2:3], vcc
	s_cbranch_execz .LBB35_367
; %bb.360:
	ds_read_b128 v[2:5], v11
	s_and_b64 vcc, exec, s[0:1]
	s_cbranch_vccnz .LBB35_362
; %bb.361:
	scratch_load_dwordx4 v[120:123], v10, off
	s_waitcnt vmcnt(0) lgkmcnt(0)
	v_mul_f64 v[12:13], v[2:3], v[122:123]
	v_mul_f64 v[6:7], v[4:5], v[122:123]
	v_fmac_f64_e32 v[12:13], v[4:5], v[120:121]
	v_fma_f64 v[2:3], v[2:3], v[120:121], -v[6:7]
	v_mov_b64_e32 v[4:5], v[12:13]
.LBB35_362:
	v_cmp_ne_u32_e32 vcc, 10, v0
	s_and_saveexec_b64 s[6:7], vcc
	s_cbranch_execz .LBB35_366
; %bb.363:
	v_mov_b32_e32 v7, 0
	v_add_u32_e32 v6, 0x250, v86
	v_add3_u32 v7, v86, v7, 24
	s_mov_b64 s[8:9], 0
	v_mov_b32_e32 v12, v0
.LBB35_364:                             ; =>This Inner Loop Header: Depth=1
	v_add_u32_e32 v13, -8, v7
	scratch_load_dwordx4 v[120:123], v13, off
	ds_read_b128 v[124:127], v6
	v_add_u32_e32 v12, 1, v12
	v_cmp_lt_u32_e32 vcc, 9, v12
	v_add_u32_e32 v6, 16, v6
	v_add_u32_e32 v7, 16, v7
	s_or_b64 s[8:9], vcc, s[8:9]
	s_waitcnt vmcnt(0) lgkmcnt(0)
	v_mul_f64 v[128:129], v[126:127], v[122:123]
	v_mul_f64 v[122:123], v[124:125], v[122:123]
	v_fma_f64 v[124:125], v[124:125], v[120:121], -v[128:129]
	v_fmac_f64_e32 v[122:123], v[126:127], v[120:121]
	v_add_f64 v[2:3], v[2:3], v[124:125]
	v_add_f64 v[4:5], v[4:5], v[122:123]
	s_andn2_b64 exec, exec, s[8:9]
	s_cbranch_execnz .LBB35_364
; %bb.365:
	s_or_b64 exec, exec, s[8:9]
.LBB35_366:
	s_or_b64 exec, exec, s[6:7]
	v_mov_b32_e32 v6, 0
	ds_read_b128 v[120:123], v6 offset:176
	s_waitcnt lgkmcnt(0)
	v_mul_f64 v[6:7], v[4:5], v[122:123]
	v_mul_f64 v[124:125], v[2:3], v[122:123]
	v_fma_f64 v[122:123], v[2:3], v[120:121], -v[6:7]
	v_fmac_f64_e32 v[124:125], v[4:5], v[120:121]
	scratch_store_dwordx4 off, v[122:125], off offset:176
.LBB35_367:
	s_or_b64 exec, exec, s[2:3]
	scratch_load_dwordx4 v[2:5], v107, off
	v_cmp_gt_u32_e32 vcc, 12, v0
	s_waitcnt vmcnt(0)
	ds_write_b128 v11, v[2:5]
	s_waitcnt lgkmcnt(0)
	; wave barrier
	s_waitcnt lgkmcnt(0)
	s_and_saveexec_b64 s[2:3], vcc
	s_cbranch_execz .LBB35_375
; %bb.368:
	ds_read_b128 v[2:5], v11
	s_and_b64 vcc, exec, s[0:1]
	s_cbranch_vccnz .LBB35_370
; %bb.369:
	scratch_load_dwordx4 v[120:123], v10, off
	s_waitcnt vmcnt(0) lgkmcnt(0)
	v_mul_f64 v[12:13], v[2:3], v[122:123]
	v_mul_f64 v[6:7], v[4:5], v[122:123]
	v_fmac_f64_e32 v[12:13], v[4:5], v[120:121]
	v_fma_f64 v[2:3], v[2:3], v[120:121], -v[6:7]
	v_mov_b64_e32 v[4:5], v[12:13]
.LBB35_370:
	v_cmp_ne_u32_e32 vcc, 11, v0
	s_and_saveexec_b64 s[6:7], vcc
	s_cbranch_execz .LBB35_374
; %bb.371:
	v_mov_b32_e32 v7, 0
	v_add_u32_e32 v6, 0x250, v86
	v_add3_u32 v7, v86, v7, 24
	s_mov_b64 s[8:9], 0
	v_mov_b32_e32 v12, v0
.LBB35_372:                             ; =>This Inner Loop Header: Depth=1
	v_add_u32_e32 v13, -8, v7
	scratch_load_dwordx4 v[120:123], v13, off
	ds_read_b128 v[124:127], v6
	v_add_u32_e32 v12, 1, v12
	v_cmp_lt_u32_e32 vcc, 10, v12
	v_add_u32_e32 v6, 16, v6
	v_add_u32_e32 v7, 16, v7
	s_or_b64 s[8:9], vcc, s[8:9]
	s_waitcnt vmcnt(0) lgkmcnt(0)
	v_mul_f64 v[128:129], v[126:127], v[122:123]
	v_mul_f64 v[122:123], v[124:125], v[122:123]
	v_fma_f64 v[124:125], v[124:125], v[120:121], -v[128:129]
	v_fmac_f64_e32 v[122:123], v[126:127], v[120:121]
	v_add_f64 v[2:3], v[2:3], v[124:125]
	v_add_f64 v[4:5], v[4:5], v[122:123]
	s_andn2_b64 exec, exec, s[8:9]
	s_cbranch_execnz .LBB35_372
; %bb.373:
	s_or_b64 exec, exec, s[8:9]
.LBB35_374:
	s_or_b64 exec, exec, s[6:7]
	v_mov_b32_e32 v6, 0
	ds_read_b128 v[120:123], v6 offset:192
	s_waitcnt lgkmcnt(0)
	v_mul_f64 v[6:7], v[4:5], v[122:123]
	v_mul_f64 v[124:125], v[2:3], v[122:123]
	v_fma_f64 v[122:123], v[2:3], v[120:121], -v[6:7]
	v_fmac_f64_e32 v[124:125], v[4:5], v[120:121]
	scratch_store_dwordx4 off, v[122:125], off offset:192
.LBB35_375:
	s_or_b64 exec, exec, s[2:3]
	scratch_load_dwordx4 v[2:5], v106, off
	v_cmp_gt_u32_e32 vcc, 13, v0
	s_waitcnt vmcnt(0)
	ds_write_b128 v11, v[2:5]
	s_waitcnt lgkmcnt(0)
	; wave barrier
	s_waitcnt lgkmcnt(0)
	s_and_saveexec_b64 s[2:3], vcc
	s_cbranch_execz .LBB35_383
; %bb.376:
	ds_read_b128 v[2:5], v11
	s_and_b64 vcc, exec, s[0:1]
	s_cbranch_vccnz .LBB35_378
; %bb.377:
	scratch_load_dwordx4 v[120:123], v10, off
	s_waitcnt vmcnt(0) lgkmcnt(0)
	v_mul_f64 v[12:13], v[2:3], v[122:123]
	v_mul_f64 v[6:7], v[4:5], v[122:123]
	v_fmac_f64_e32 v[12:13], v[4:5], v[120:121]
	v_fma_f64 v[2:3], v[2:3], v[120:121], -v[6:7]
	v_mov_b64_e32 v[4:5], v[12:13]
.LBB35_378:
	v_cmp_ne_u32_e32 vcc, 12, v0
	s_and_saveexec_b64 s[6:7], vcc
	s_cbranch_execz .LBB35_382
; %bb.379:
	v_mov_b32_e32 v7, 0
	v_add_u32_e32 v6, 0x250, v86
	v_add3_u32 v7, v86, v7, 24
	s_mov_b64 s[8:9], 0
	v_mov_b32_e32 v12, v0
.LBB35_380:                             ; =>This Inner Loop Header: Depth=1
	v_add_u32_e32 v13, -8, v7
	scratch_load_dwordx4 v[120:123], v13, off
	ds_read_b128 v[124:127], v6
	v_add_u32_e32 v12, 1, v12
	v_cmp_lt_u32_e32 vcc, 11, v12
	v_add_u32_e32 v6, 16, v6
	v_add_u32_e32 v7, 16, v7
	s_or_b64 s[8:9], vcc, s[8:9]
	s_waitcnt vmcnt(0) lgkmcnt(0)
	v_mul_f64 v[128:129], v[126:127], v[122:123]
	v_mul_f64 v[122:123], v[124:125], v[122:123]
	v_fma_f64 v[124:125], v[124:125], v[120:121], -v[128:129]
	v_fmac_f64_e32 v[122:123], v[126:127], v[120:121]
	v_add_f64 v[2:3], v[2:3], v[124:125]
	v_add_f64 v[4:5], v[4:5], v[122:123]
	s_andn2_b64 exec, exec, s[8:9]
	s_cbranch_execnz .LBB35_380
; %bb.381:
	s_or_b64 exec, exec, s[8:9]
.LBB35_382:
	s_or_b64 exec, exec, s[6:7]
	v_mov_b32_e32 v6, 0
	ds_read_b128 v[120:123], v6 offset:208
	s_waitcnt lgkmcnt(0)
	v_mul_f64 v[6:7], v[4:5], v[122:123]
	v_mul_f64 v[124:125], v[2:3], v[122:123]
	v_fma_f64 v[122:123], v[2:3], v[120:121], -v[6:7]
	v_fmac_f64_e32 v[124:125], v[4:5], v[120:121]
	scratch_store_dwordx4 off, v[122:125], off offset:208
.LBB35_383:
	s_or_b64 exec, exec, s[2:3]
	scratch_load_dwordx4 v[2:5], v105, off
	v_cmp_gt_u32_e32 vcc, 14, v0
	s_waitcnt vmcnt(0)
	ds_write_b128 v11, v[2:5]
	s_waitcnt lgkmcnt(0)
	; wave barrier
	s_waitcnt lgkmcnt(0)
	s_and_saveexec_b64 s[2:3], vcc
	s_cbranch_execz .LBB35_391
; %bb.384:
	ds_read_b128 v[2:5], v11
	s_and_b64 vcc, exec, s[0:1]
	s_cbranch_vccnz .LBB35_386
; %bb.385:
	scratch_load_dwordx4 v[120:123], v10, off
	s_waitcnt vmcnt(0) lgkmcnt(0)
	v_mul_f64 v[12:13], v[2:3], v[122:123]
	v_mul_f64 v[6:7], v[4:5], v[122:123]
	v_fmac_f64_e32 v[12:13], v[4:5], v[120:121]
	v_fma_f64 v[2:3], v[2:3], v[120:121], -v[6:7]
	v_mov_b64_e32 v[4:5], v[12:13]
.LBB35_386:
	v_cmp_ne_u32_e32 vcc, 13, v0
	s_and_saveexec_b64 s[6:7], vcc
	s_cbranch_execz .LBB35_390
; %bb.387:
	v_mov_b32_e32 v7, 0
	v_add_u32_e32 v6, 0x250, v86
	v_add3_u32 v7, v86, v7, 24
	s_mov_b64 s[8:9], 0
	v_mov_b32_e32 v12, v0
.LBB35_388:                             ; =>This Inner Loop Header: Depth=1
	v_add_u32_e32 v13, -8, v7
	scratch_load_dwordx4 v[120:123], v13, off
	ds_read_b128 v[124:127], v6
	v_add_u32_e32 v12, 1, v12
	v_cmp_lt_u32_e32 vcc, 12, v12
	v_add_u32_e32 v6, 16, v6
	v_add_u32_e32 v7, 16, v7
	s_or_b64 s[8:9], vcc, s[8:9]
	s_waitcnt vmcnt(0) lgkmcnt(0)
	v_mul_f64 v[128:129], v[126:127], v[122:123]
	v_mul_f64 v[122:123], v[124:125], v[122:123]
	v_fma_f64 v[124:125], v[124:125], v[120:121], -v[128:129]
	v_fmac_f64_e32 v[122:123], v[126:127], v[120:121]
	v_add_f64 v[2:3], v[2:3], v[124:125]
	v_add_f64 v[4:5], v[4:5], v[122:123]
	s_andn2_b64 exec, exec, s[8:9]
	s_cbranch_execnz .LBB35_388
; %bb.389:
	s_or_b64 exec, exec, s[8:9]
.LBB35_390:
	s_or_b64 exec, exec, s[6:7]
	v_mov_b32_e32 v6, 0
	ds_read_b128 v[120:123], v6 offset:224
	s_waitcnt lgkmcnt(0)
	v_mul_f64 v[6:7], v[4:5], v[122:123]
	v_mul_f64 v[124:125], v[2:3], v[122:123]
	v_fma_f64 v[122:123], v[2:3], v[120:121], -v[6:7]
	v_fmac_f64_e32 v[124:125], v[4:5], v[120:121]
	scratch_store_dwordx4 off, v[122:125], off offset:224
.LBB35_391:
	s_or_b64 exec, exec, s[2:3]
	scratch_load_dwordx4 v[2:5], v104, off
	v_cmp_gt_u32_e32 vcc, 15, v0
	s_waitcnt vmcnt(0)
	ds_write_b128 v11, v[2:5]
	s_waitcnt lgkmcnt(0)
	; wave barrier
	s_waitcnt lgkmcnt(0)
	s_and_saveexec_b64 s[2:3], vcc
	s_cbranch_execz .LBB35_399
; %bb.392:
	ds_read_b128 v[2:5], v11
	s_and_b64 vcc, exec, s[0:1]
	s_cbranch_vccnz .LBB35_394
; %bb.393:
	scratch_load_dwordx4 v[120:123], v10, off
	s_waitcnt vmcnt(0) lgkmcnt(0)
	v_mul_f64 v[12:13], v[2:3], v[122:123]
	v_mul_f64 v[6:7], v[4:5], v[122:123]
	v_fmac_f64_e32 v[12:13], v[4:5], v[120:121]
	v_fma_f64 v[2:3], v[2:3], v[120:121], -v[6:7]
	v_mov_b64_e32 v[4:5], v[12:13]
.LBB35_394:
	v_cmp_ne_u32_e32 vcc, 14, v0
	s_and_saveexec_b64 s[6:7], vcc
	s_cbranch_execz .LBB35_398
; %bb.395:
	v_mov_b32_e32 v7, 0
	v_add_u32_e32 v6, 0x250, v86
	v_add3_u32 v7, v86, v7, 24
	s_mov_b64 s[8:9], 0
	v_mov_b32_e32 v12, v0
.LBB35_396:                             ; =>This Inner Loop Header: Depth=1
	v_add_u32_e32 v13, -8, v7
	scratch_load_dwordx4 v[120:123], v13, off
	ds_read_b128 v[124:127], v6
	v_add_u32_e32 v12, 1, v12
	v_cmp_lt_u32_e32 vcc, 13, v12
	v_add_u32_e32 v6, 16, v6
	v_add_u32_e32 v7, 16, v7
	s_or_b64 s[8:9], vcc, s[8:9]
	s_waitcnt vmcnt(0) lgkmcnt(0)
	v_mul_f64 v[128:129], v[126:127], v[122:123]
	v_mul_f64 v[122:123], v[124:125], v[122:123]
	v_fma_f64 v[124:125], v[124:125], v[120:121], -v[128:129]
	v_fmac_f64_e32 v[122:123], v[126:127], v[120:121]
	v_add_f64 v[2:3], v[2:3], v[124:125]
	v_add_f64 v[4:5], v[4:5], v[122:123]
	s_andn2_b64 exec, exec, s[8:9]
	s_cbranch_execnz .LBB35_396
; %bb.397:
	s_or_b64 exec, exec, s[8:9]
.LBB35_398:
	s_or_b64 exec, exec, s[6:7]
	v_mov_b32_e32 v6, 0
	ds_read_b128 v[120:123], v6 offset:240
	s_waitcnt lgkmcnt(0)
	v_mul_f64 v[6:7], v[4:5], v[122:123]
	v_mul_f64 v[124:125], v[2:3], v[122:123]
	v_fma_f64 v[122:123], v[2:3], v[120:121], -v[6:7]
	v_fmac_f64_e32 v[124:125], v[4:5], v[120:121]
	scratch_store_dwordx4 off, v[122:125], off offset:240
.LBB35_399:
	s_or_b64 exec, exec, s[2:3]
	scratch_load_dwordx4 v[2:5], v103, off
	v_cmp_gt_u32_e32 vcc, 16, v0
	s_waitcnt vmcnt(0)
	ds_write_b128 v11, v[2:5]
	s_waitcnt lgkmcnt(0)
	; wave barrier
	s_waitcnt lgkmcnt(0)
	s_and_saveexec_b64 s[2:3], vcc
	s_cbranch_execz .LBB35_407
; %bb.400:
	ds_read_b128 v[2:5], v11
	s_and_b64 vcc, exec, s[0:1]
	s_cbranch_vccnz .LBB35_402
; %bb.401:
	scratch_load_dwordx4 v[120:123], v10, off
	s_waitcnt vmcnt(0) lgkmcnt(0)
	v_mul_f64 v[12:13], v[2:3], v[122:123]
	v_mul_f64 v[6:7], v[4:5], v[122:123]
	v_fmac_f64_e32 v[12:13], v[4:5], v[120:121]
	v_fma_f64 v[2:3], v[2:3], v[120:121], -v[6:7]
	v_mov_b64_e32 v[4:5], v[12:13]
.LBB35_402:
	v_cmp_ne_u32_e32 vcc, 15, v0
	s_and_saveexec_b64 s[6:7], vcc
	s_cbranch_execz .LBB35_406
; %bb.403:
	v_mov_b32_e32 v7, 0
	v_add_u32_e32 v6, 0x250, v86
	v_add3_u32 v7, v86, v7, 24
	s_mov_b64 s[8:9], 0
	v_mov_b32_e32 v12, v0
.LBB35_404:                             ; =>This Inner Loop Header: Depth=1
	v_add_u32_e32 v13, -8, v7
	scratch_load_dwordx4 v[120:123], v13, off
	ds_read_b128 v[124:127], v6
	v_add_u32_e32 v12, 1, v12
	v_cmp_lt_u32_e32 vcc, 14, v12
	v_add_u32_e32 v6, 16, v6
	v_add_u32_e32 v7, 16, v7
	s_or_b64 s[8:9], vcc, s[8:9]
	s_waitcnt vmcnt(0) lgkmcnt(0)
	v_mul_f64 v[128:129], v[126:127], v[122:123]
	v_mul_f64 v[122:123], v[124:125], v[122:123]
	v_fma_f64 v[124:125], v[124:125], v[120:121], -v[128:129]
	v_fmac_f64_e32 v[122:123], v[126:127], v[120:121]
	v_add_f64 v[2:3], v[2:3], v[124:125]
	v_add_f64 v[4:5], v[4:5], v[122:123]
	s_andn2_b64 exec, exec, s[8:9]
	s_cbranch_execnz .LBB35_404
; %bb.405:
	s_or_b64 exec, exec, s[8:9]
.LBB35_406:
	s_or_b64 exec, exec, s[6:7]
	v_mov_b32_e32 v6, 0
	ds_read_b128 v[120:123], v6 offset:256
	s_waitcnt lgkmcnt(0)
	v_mul_f64 v[6:7], v[4:5], v[122:123]
	v_mul_f64 v[124:125], v[2:3], v[122:123]
	v_fma_f64 v[122:123], v[2:3], v[120:121], -v[6:7]
	v_fmac_f64_e32 v[124:125], v[4:5], v[120:121]
	scratch_store_dwordx4 off, v[122:125], off offset:256
.LBB35_407:
	s_or_b64 exec, exec, s[2:3]
	scratch_load_dwordx4 v[2:5], v102, off
	v_cmp_gt_u32_e32 vcc, 17, v0
	s_waitcnt vmcnt(0)
	ds_write_b128 v11, v[2:5]
	s_waitcnt lgkmcnt(0)
	; wave barrier
	s_waitcnt lgkmcnt(0)
	s_and_saveexec_b64 s[2:3], vcc
	s_cbranch_execz .LBB35_415
; %bb.408:
	ds_read_b128 v[2:5], v11
	s_and_b64 vcc, exec, s[0:1]
	s_cbranch_vccnz .LBB35_410
; %bb.409:
	scratch_load_dwordx4 v[120:123], v10, off
	s_waitcnt vmcnt(0) lgkmcnt(0)
	v_mul_f64 v[12:13], v[2:3], v[122:123]
	v_mul_f64 v[6:7], v[4:5], v[122:123]
	v_fmac_f64_e32 v[12:13], v[4:5], v[120:121]
	v_fma_f64 v[2:3], v[2:3], v[120:121], -v[6:7]
	v_mov_b64_e32 v[4:5], v[12:13]
.LBB35_410:
	v_cmp_ne_u32_e32 vcc, 16, v0
	s_and_saveexec_b64 s[6:7], vcc
	s_cbranch_execz .LBB35_414
; %bb.411:
	v_mov_b32_e32 v7, 0
	v_add_u32_e32 v6, 0x250, v86
	v_add3_u32 v7, v86, v7, 24
	s_mov_b64 s[8:9], 0
	v_mov_b32_e32 v12, v0
.LBB35_412:                             ; =>This Inner Loop Header: Depth=1
	v_add_u32_e32 v13, -8, v7
	scratch_load_dwordx4 v[120:123], v13, off
	ds_read_b128 v[124:127], v6
	v_add_u32_e32 v12, 1, v12
	v_cmp_lt_u32_e32 vcc, 15, v12
	v_add_u32_e32 v6, 16, v6
	v_add_u32_e32 v7, 16, v7
	s_or_b64 s[8:9], vcc, s[8:9]
	s_waitcnt vmcnt(0) lgkmcnt(0)
	v_mul_f64 v[128:129], v[126:127], v[122:123]
	v_mul_f64 v[122:123], v[124:125], v[122:123]
	v_fma_f64 v[124:125], v[124:125], v[120:121], -v[128:129]
	v_fmac_f64_e32 v[122:123], v[126:127], v[120:121]
	v_add_f64 v[2:3], v[2:3], v[124:125]
	v_add_f64 v[4:5], v[4:5], v[122:123]
	s_andn2_b64 exec, exec, s[8:9]
	s_cbranch_execnz .LBB35_412
; %bb.413:
	s_or_b64 exec, exec, s[8:9]
.LBB35_414:
	s_or_b64 exec, exec, s[6:7]
	v_mov_b32_e32 v6, 0
	ds_read_b128 v[120:123], v6 offset:272
	s_waitcnt lgkmcnt(0)
	v_mul_f64 v[6:7], v[4:5], v[122:123]
	v_mul_f64 v[124:125], v[2:3], v[122:123]
	v_fma_f64 v[122:123], v[2:3], v[120:121], -v[6:7]
	v_fmac_f64_e32 v[124:125], v[4:5], v[120:121]
	scratch_store_dwordx4 off, v[122:125], off offset:272
.LBB35_415:
	s_or_b64 exec, exec, s[2:3]
	scratch_load_dwordx4 v[2:5], v101, off
	v_cmp_gt_u32_e32 vcc, 18, v0
	s_waitcnt vmcnt(0)
	ds_write_b128 v11, v[2:5]
	s_waitcnt lgkmcnt(0)
	; wave barrier
	s_waitcnt lgkmcnt(0)
	s_and_saveexec_b64 s[2:3], vcc
	s_cbranch_execz .LBB35_423
; %bb.416:
	ds_read_b128 v[2:5], v11
	s_and_b64 vcc, exec, s[0:1]
	s_cbranch_vccnz .LBB35_418
; %bb.417:
	scratch_load_dwordx4 v[120:123], v10, off
	s_waitcnt vmcnt(0) lgkmcnt(0)
	v_mul_f64 v[12:13], v[2:3], v[122:123]
	v_mul_f64 v[6:7], v[4:5], v[122:123]
	v_fmac_f64_e32 v[12:13], v[4:5], v[120:121]
	v_fma_f64 v[2:3], v[2:3], v[120:121], -v[6:7]
	v_mov_b64_e32 v[4:5], v[12:13]
.LBB35_418:
	v_cmp_ne_u32_e32 vcc, 17, v0
	s_and_saveexec_b64 s[6:7], vcc
	s_cbranch_execz .LBB35_422
; %bb.419:
	v_mov_b32_e32 v7, 0
	v_add_u32_e32 v6, 0x250, v86
	v_add3_u32 v7, v86, v7, 24
	s_mov_b64 s[8:9], 0
	v_mov_b32_e32 v12, v0
.LBB35_420:                             ; =>This Inner Loop Header: Depth=1
	v_add_u32_e32 v13, -8, v7
	scratch_load_dwordx4 v[120:123], v13, off
	ds_read_b128 v[124:127], v6
	v_add_u32_e32 v12, 1, v12
	v_cmp_lt_u32_e32 vcc, 16, v12
	v_add_u32_e32 v6, 16, v6
	v_add_u32_e32 v7, 16, v7
	s_or_b64 s[8:9], vcc, s[8:9]
	s_waitcnt vmcnt(0) lgkmcnt(0)
	v_mul_f64 v[128:129], v[126:127], v[122:123]
	v_mul_f64 v[122:123], v[124:125], v[122:123]
	v_fma_f64 v[124:125], v[124:125], v[120:121], -v[128:129]
	v_fmac_f64_e32 v[122:123], v[126:127], v[120:121]
	v_add_f64 v[2:3], v[2:3], v[124:125]
	v_add_f64 v[4:5], v[4:5], v[122:123]
	s_andn2_b64 exec, exec, s[8:9]
	s_cbranch_execnz .LBB35_420
; %bb.421:
	s_or_b64 exec, exec, s[8:9]
.LBB35_422:
	s_or_b64 exec, exec, s[6:7]
	v_mov_b32_e32 v6, 0
	ds_read_b128 v[120:123], v6 offset:288
	s_waitcnt lgkmcnt(0)
	v_mul_f64 v[6:7], v[4:5], v[122:123]
	v_mul_f64 v[124:125], v[2:3], v[122:123]
	v_fma_f64 v[122:123], v[2:3], v[120:121], -v[6:7]
	v_fmac_f64_e32 v[124:125], v[4:5], v[120:121]
	scratch_store_dwordx4 off, v[122:125], off offset:288
.LBB35_423:
	s_or_b64 exec, exec, s[2:3]
	scratch_load_dwordx4 v[2:5], v100, off
	v_cmp_gt_u32_e32 vcc, 19, v0
	s_waitcnt vmcnt(0)
	ds_write_b128 v11, v[2:5]
	s_waitcnt lgkmcnt(0)
	; wave barrier
	s_waitcnt lgkmcnt(0)
	s_and_saveexec_b64 s[2:3], vcc
	s_cbranch_execz .LBB35_431
; %bb.424:
	ds_read_b128 v[2:5], v11
	s_and_b64 vcc, exec, s[0:1]
	s_cbranch_vccnz .LBB35_426
; %bb.425:
	scratch_load_dwordx4 v[120:123], v10, off
	s_waitcnt vmcnt(0) lgkmcnt(0)
	v_mul_f64 v[12:13], v[2:3], v[122:123]
	v_mul_f64 v[6:7], v[4:5], v[122:123]
	v_fmac_f64_e32 v[12:13], v[4:5], v[120:121]
	v_fma_f64 v[2:3], v[2:3], v[120:121], -v[6:7]
	v_mov_b64_e32 v[4:5], v[12:13]
.LBB35_426:
	v_cmp_ne_u32_e32 vcc, 18, v0
	s_and_saveexec_b64 s[6:7], vcc
	s_cbranch_execz .LBB35_430
; %bb.427:
	v_mov_b32_e32 v7, 0
	v_add_u32_e32 v6, 0x250, v86
	v_add3_u32 v7, v86, v7, 24
	s_mov_b64 s[8:9], 0
	v_mov_b32_e32 v12, v0
.LBB35_428:                             ; =>This Inner Loop Header: Depth=1
	v_add_u32_e32 v13, -8, v7
	scratch_load_dwordx4 v[120:123], v13, off
	ds_read_b128 v[124:127], v6
	v_add_u32_e32 v12, 1, v12
	v_cmp_lt_u32_e32 vcc, 17, v12
	v_add_u32_e32 v6, 16, v6
	v_add_u32_e32 v7, 16, v7
	s_or_b64 s[8:9], vcc, s[8:9]
	s_waitcnt vmcnt(0) lgkmcnt(0)
	v_mul_f64 v[128:129], v[126:127], v[122:123]
	v_mul_f64 v[122:123], v[124:125], v[122:123]
	v_fma_f64 v[124:125], v[124:125], v[120:121], -v[128:129]
	v_fmac_f64_e32 v[122:123], v[126:127], v[120:121]
	v_add_f64 v[2:3], v[2:3], v[124:125]
	v_add_f64 v[4:5], v[4:5], v[122:123]
	s_andn2_b64 exec, exec, s[8:9]
	s_cbranch_execnz .LBB35_428
; %bb.429:
	s_or_b64 exec, exec, s[8:9]
.LBB35_430:
	s_or_b64 exec, exec, s[6:7]
	v_mov_b32_e32 v6, 0
	ds_read_b128 v[120:123], v6 offset:304
	s_waitcnt lgkmcnt(0)
	v_mul_f64 v[6:7], v[4:5], v[122:123]
	v_mul_f64 v[124:125], v[2:3], v[122:123]
	v_fma_f64 v[122:123], v[2:3], v[120:121], -v[6:7]
	v_fmac_f64_e32 v[124:125], v[4:5], v[120:121]
	scratch_store_dwordx4 off, v[122:125], off offset:304
.LBB35_431:
	s_or_b64 exec, exec, s[2:3]
	scratch_load_dwordx4 v[2:5], v99, off
	v_cmp_gt_u32_e32 vcc, 20, v0
	s_waitcnt vmcnt(0)
	ds_write_b128 v11, v[2:5]
	s_waitcnt lgkmcnt(0)
	; wave barrier
	s_waitcnt lgkmcnt(0)
	s_and_saveexec_b64 s[2:3], vcc
	s_cbranch_execz .LBB35_439
; %bb.432:
	ds_read_b128 v[2:5], v11
	s_and_b64 vcc, exec, s[0:1]
	s_cbranch_vccnz .LBB35_434
; %bb.433:
	scratch_load_dwordx4 v[120:123], v10, off
	s_waitcnt vmcnt(0) lgkmcnt(0)
	v_mul_f64 v[12:13], v[2:3], v[122:123]
	v_mul_f64 v[6:7], v[4:5], v[122:123]
	v_fmac_f64_e32 v[12:13], v[4:5], v[120:121]
	v_fma_f64 v[2:3], v[2:3], v[120:121], -v[6:7]
	v_mov_b64_e32 v[4:5], v[12:13]
.LBB35_434:
	v_cmp_ne_u32_e32 vcc, 19, v0
	s_and_saveexec_b64 s[6:7], vcc
	s_cbranch_execz .LBB35_438
; %bb.435:
	v_mov_b32_e32 v7, 0
	v_add_u32_e32 v6, 0x250, v86
	v_add3_u32 v7, v86, v7, 24
	s_mov_b64 s[8:9], 0
	v_mov_b32_e32 v12, v0
.LBB35_436:                             ; =>This Inner Loop Header: Depth=1
	v_add_u32_e32 v13, -8, v7
	scratch_load_dwordx4 v[120:123], v13, off
	ds_read_b128 v[124:127], v6
	v_add_u32_e32 v12, 1, v12
	v_cmp_lt_u32_e32 vcc, 18, v12
	v_add_u32_e32 v6, 16, v6
	v_add_u32_e32 v7, 16, v7
	s_or_b64 s[8:9], vcc, s[8:9]
	s_waitcnt vmcnt(0) lgkmcnt(0)
	v_mul_f64 v[128:129], v[126:127], v[122:123]
	v_mul_f64 v[122:123], v[124:125], v[122:123]
	v_fma_f64 v[124:125], v[124:125], v[120:121], -v[128:129]
	v_fmac_f64_e32 v[122:123], v[126:127], v[120:121]
	v_add_f64 v[2:3], v[2:3], v[124:125]
	v_add_f64 v[4:5], v[4:5], v[122:123]
	s_andn2_b64 exec, exec, s[8:9]
	s_cbranch_execnz .LBB35_436
; %bb.437:
	s_or_b64 exec, exec, s[8:9]
.LBB35_438:
	s_or_b64 exec, exec, s[6:7]
	v_mov_b32_e32 v6, 0
	ds_read_b128 v[120:123], v6 offset:320
	s_waitcnt lgkmcnt(0)
	v_mul_f64 v[6:7], v[4:5], v[122:123]
	v_mul_f64 v[124:125], v[2:3], v[122:123]
	v_fma_f64 v[122:123], v[2:3], v[120:121], -v[6:7]
	v_fmac_f64_e32 v[124:125], v[4:5], v[120:121]
	scratch_store_dwordx4 off, v[122:125], off offset:320
.LBB35_439:
	s_or_b64 exec, exec, s[2:3]
	scratch_load_dwordx4 v[2:5], v98, off
	v_cmp_gt_u32_e32 vcc, 21, v0
	s_waitcnt vmcnt(0)
	ds_write_b128 v11, v[2:5]
	s_waitcnt lgkmcnt(0)
	; wave barrier
	s_waitcnt lgkmcnt(0)
	s_and_saveexec_b64 s[2:3], vcc
	s_cbranch_execz .LBB35_447
; %bb.440:
	ds_read_b128 v[2:5], v11
	s_and_b64 vcc, exec, s[0:1]
	s_cbranch_vccnz .LBB35_442
; %bb.441:
	scratch_load_dwordx4 v[120:123], v10, off
	s_waitcnt vmcnt(0) lgkmcnt(0)
	v_mul_f64 v[12:13], v[2:3], v[122:123]
	v_mul_f64 v[6:7], v[4:5], v[122:123]
	v_fmac_f64_e32 v[12:13], v[4:5], v[120:121]
	v_fma_f64 v[2:3], v[2:3], v[120:121], -v[6:7]
	v_mov_b64_e32 v[4:5], v[12:13]
.LBB35_442:
	v_cmp_ne_u32_e32 vcc, 20, v0
	s_and_saveexec_b64 s[6:7], vcc
	s_cbranch_execz .LBB35_446
; %bb.443:
	v_mov_b32_e32 v7, 0
	v_add_u32_e32 v6, 0x250, v86
	v_add3_u32 v7, v86, v7, 24
	s_mov_b64 s[8:9], 0
	v_mov_b32_e32 v12, v0
.LBB35_444:                             ; =>This Inner Loop Header: Depth=1
	v_add_u32_e32 v13, -8, v7
	scratch_load_dwordx4 v[120:123], v13, off
	ds_read_b128 v[124:127], v6
	v_add_u32_e32 v12, 1, v12
	v_cmp_lt_u32_e32 vcc, 19, v12
	v_add_u32_e32 v6, 16, v6
	v_add_u32_e32 v7, 16, v7
	s_or_b64 s[8:9], vcc, s[8:9]
	s_waitcnt vmcnt(0) lgkmcnt(0)
	v_mul_f64 v[128:129], v[126:127], v[122:123]
	v_mul_f64 v[122:123], v[124:125], v[122:123]
	v_fma_f64 v[124:125], v[124:125], v[120:121], -v[128:129]
	v_fmac_f64_e32 v[122:123], v[126:127], v[120:121]
	v_add_f64 v[2:3], v[2:3], v[124:125]
	v_add_f64 v[4:5], v[4:5], v[122:123]
	s_andn2_b64 exec, exec, s[8:9]
	s_cbranch_execnz .LBB35_444
; %bb.445:
	s_or_b64 exec, exec, s[8:9]
.LBB35_446:
	s_or_b64 exec, exec, s[6:7]
	v_mov_b32_e32 v6, 0
	ds_read_b128 v[120:123], v6 offset:336
	s_waitcnt lgkmcnt(0)
	v_mul_f64 v[6:7], v[4:5], v[122:123]
	v_mul_f64 v[124:125], v[2:3], v[122:123]
	v_fma_f64 v[122:123], v[2:3], v[120:121], -v[6:7]
	v_fmac_f64_e32 v[124:125], v[4:5], v[120:121]
	scratch_store_dwordx4 off, v[122:125], off offset:336
.LBB35_447:
	s_or_b64 exec, exec, s[2:3]
	scratch_load_dwordx4 v[2:5], v97, off
	v_cmp_gt_u32_e32 vcc, 22, v0
	s_waitcnt vmcnt(0)
	ds_write_b128 v11, v[2:5]
	s_waitcnt lgkmcnt(0)
	; wave barrier
	s_waitcnt lgkmcnt(0)
	s_and_saveexec_b64 s[2:3], vcc
	s_cbranch_execz .LBB35_455
; %bb.448:
	ds_read_b128 v[2:5], v11
	s_and_b64 vcc, exec, s[0:1]
	s_cbranch_vccnz .LBB35_450
; %bb.449:
	scratch_load_dwordx4 v[120:123], v10, off
	s_waitcnt vmcnt(0) lgkmcnt(0)
	v_mul_f64 v[12:13], v[2:3], v[122:123]
	v_mul_f64 v[6:7], v[4:5], v[122:123]
	v_fmac_f64_e32 v[12:13], v[4:5], v[120:121]
	v_fma_f64 v[2:3], v[2:3], v[120:121], -v[6:7]
	v_mov_b64_e32 v[4:5], v[12:13]
.LBB35_450:
	v_cmp_ne_u32_e32 vcc, 21, v0
	s_and_saveexec_b64 s[6:7], vcc
	s_cbranch_execz .LBB35_454
; %bb.451:
	v_mov_b32_e32 v7, 0
	v_add_u32_e32 v6, 0x250, v86
	v_add3_u32 v7, v86, v7, 24
	s_mov_b64 s[8:9], 0
	v_mov_b32_e32 v12, v0
.LBB35_452:                             ; =>This Inner Loop Header: Depth=1
	v_add_u32_e32 v13, -8, v7
	scratch_load_dwordx4 v[120:123], v13, off
	ds_read_b128 v[124:127], v6
	v_add_u32_e32 v12, 1, v12
	v_cmp_lt_u32_e32 vcc, 20, v12
	v_add_u32_e32 v6, 16, v6
	v_add_u32_e32 v7, 16, v7
	s_or_b64 s[8:9], vcc, s[8:9]
	s_waitcnt vmcnt(0) lgkmcnt(0)
	v_mul_f64 v[128:129], v[126:127], v[122:123]
	v_mul_f64 v[122:123], v[124:125], v[122:123]
	v_fma_f64 v[124:125], v[124:125], v[120:121], -v[128:129]
	v_fmac_f64_e32 v[122:123], v[126:127], v[120:121]
	v_add_f64 v[2:3], v[2:3], v[124:125]
	v_add_f64 v[4:5], v[4:5], v[122:123]
	s_andn2_b64 exec, exec, s[8:9]
	s_cbranch_execnz .LBB35_452
; %bb.453:
	s_or_b64 exec, exec, s[8:9]
.LBB35_454:
	s_or_b64 exec, exec, s[6:7]
	v_mov_b32_e32 v6, 0
	ds_read_b128 v[120:123], v6 offset:352
	s_waitcnt lgkmcnt(0)
	v_mul_f64 v[6:7], v[4:5], v[122:123]
	v_mul_f64 v[124:125], v[2:3], v[122:123]
	v_fma_f64 v[122:123], v[2:3], v[120:121], -v[6:7]
	v_fmac_f64_e32 v[124:125], v[4:5], v[120:121]
	scratch_store_dwordx4 off, v[122:125], off offset:352
.LBB35_455:
	s_or_b64 exec, exec, s[2:3]
	scratch_load_dwordx4 v[2:5], v96, off
	v_cmp_gt_u32_e32 vcc, 23, v0
	s_waitcnt vmcnt(0)
	ds_write_b128 v11, v[2:5]
	s_waitcnt lgkmcnt(0)
	; wave barrier
	s_waitcnt lgkmcnt(0)
	s_and_saveexec_b64 s[2:3], vcc
	s_cbranch_execz .LBB35_463
; %bb.456:
	ds_read_b128 v[2:5], v11
	s_and_b64 vcc, exec, s[0:1]
	s_cbranch_vccnz .LBB35_458
; %bb.457:
	scratch_load_dwordx4 v[120:123], v10, off
	s_waitcnt vmcnt(0) lgkmcnt(0)
	v_mul_f64 v[12:13], v[2:3], v[122:123]
	v_mul_f64 v[6:7], v[4:5], v[122:123]
	v_fmac_f64_e32 v[12:13], v[4:5], v[120:121]
	v_fma_f64 v[2:3], v[2:3], v[120:121], -v[6:7]
	v_mov_b64_e32 v[4:5], v[12:13]
.LBB35_458:
	v_cmp_ne_u32_e32 vcc, 22, v0
	s_and_saveexec_b64 s[6:7], vcc
	s_cbranch_execz .LBB35_462
; %bb.459:
	v_mov_b32_e32 v7, 0
	v_add_u32_e32 v6, 0x250, v86
	v_add3_u32 v7, v86, v7, 24
	s_mov_b64 s[8:9], 0
	v_mov_b32_e32 v12, v0
.LBB35_460:                             ; =>This Inner Loop Header: Depth=1
	v_add_u32_e32 v13, -8, v7
	scratch_load_dwordx4 v[120:123], v13, off
	ds_read_b128 v[124:127], v6
	v_add_u32_e32 v12, 1, v12
	v_cmp_lt_u32_e32 vcc, 21, v12
	v_add_u32_e32 v6, 16, v6
	v_add_u32_e32 v7, 16, v7
	s_or_b64 s[8:9], vcc, s[8:9]
	s_waitcnt vmcnt(0) lgkmcnt(0)
	v_mul_f64 v[128:129], v[126:127], v[122:123]
	v_mul_f64 v[122:123], v[124:125], v[122:123]
	v_fma_f64 v[124:125], v[124:125], v[120:121], -v[128:129]
	v_fmac_f64_e32 v[122:123], v[126:127], v[120:121]
	v_add_f64 v[2:3], v[2:3], v[124:125]
	v_add_f64 v[4:5], v[4:5], v[122:123]
	s_andn2_b64 exec, exec, s[8:9]
	s_cbranch_execnz .LBB35_460
; %bb.461:
	s_or_b64 exec, exec, s[8:9]
.LBB35_462:
	s_or_b64 exec, exec, s[6:7]
	v_mov_b32_e32 v6, 0
	ds_read_b128 v[120:123], v6 offset:368
	s_waitcnt lgkmcnt(0)
	v_mul_f64 v[6:7], v[4:5], v[122:123]
	v_mul_f64 v[124:125], v[2:3], v[122:123]
	v_fma_f64 v[122:123], v[2:3], v[120:121], -v[6:7]
	v_fmac_f64_e32 v[124:125], v[4:5], v[120:121]
	scratch_store_dwordx4 off, v[122:125], off offset:368
.LBB35_463:
	s_or_b64 exec, exec, s[2:3]
	scratch_load_dwordx4 v[2:5], v95, off
	v_cmp_gt_u32_e32 vcc, 24, v0
	s_waitcnt vmcnt(0)
	ds_write_b128 v11, v[2:5]
	s_waitcnt lgkmcnt(0)
	; wave barrier
	s_waitcnt lgkmcnt(0)
	s_and_saveexec_b64 s[2:3], vcc
	s_cbranch_execz .LBB35_471
; %bb.464:
	ds_read_b128 v[2:5], v11
	s_and_b64 vcc, exec, s[0:1]
	s_cbranch_vccnz .LBB35_466
; %bb.465:
	scratch_load_dwordx4 v[120:123], v10, off
	s_waitcnt vmcnt(0) lgkmcnt(0)
	v_mul_f64 v[12:13], v[2:3], v[122:123]
	v_mul_f64 v[6:7], v[4:5], v[122:123]
	v_fmac_f64_e32 v[12:13], v[4:5], v[120:121]
	v_fma_f64 v[2:3], v[2:3], v[120:121], -v[6:7]
	v_mov_b64_e32 v[4:5], v[12:13]
.LBB35_466:
	v_cmp_ne_u32_e32 vcc, 23, v0
	s_and_saveexec_b64 s[6:7], vcc
	s_cbranch_execz .LBB35_470
; %bb.467:
	v_mov_b32_e32 v7, 0
	v_add_u32_e32 v6, 0x250, v86
	v_add3_u32 v7, v86, v7, 24
	s_mov_b64 s[8:9], 0
	v_mov_b32_e32 v12, v0
.LBB35_468:                             ; =>This Inner Loop Header: Depth=1
	v_add_u32_e32 v13, -8, v7
	scratch_load_dwordx4 v[120:123], v13, off
	ds_read_b128 v[124:127], v6
	v_add_u32_e32 v12, 1, v12
	v_cmp_lt_u32_e32 vcc, 22, v12
	v_add_u32_e32 v6, 16, v6
	v_add_u32_e32 v7, 16, v7
	s_or_b64 s[8:9], vcc, s[8:9]
	s_waitcnt vmcnt(0) lgkmcnt(0)
	v_mul_f64 v[128:129], v[126:127], v[122:123]
	v_mul_f64 v[122:123], v[124:125], v[122:123]
	v_fma_f64 v[124:125], v[124:125], v[120:121], -v[128:129]
	v_fmac_f64_e32 v[122:123], v[126:127], v[120:121]
	v_add_f64 v[2:3], v[2:3], v[124:125]
	v_add_f64 v[4:5], v[4:5], v[122:123]
	s_andn2_b64 exec, exec, s[8:9]
	s_cbranch_execnz .LBB35_468
; %bb.469:
	s_or_b64 exec, exec, s[8:9]
.LBB35_470:
	s_or_b64 exec, exec, s[6:7]
	v_mov_b32_e32 v6, 0
	ds_read_b128 v[120:123], v6 offset:384
	s_waitcnt lgkmcnt(0)
	v_mul_f64 v[6:7], v[4:5], v[122:123]
	v_mul_f64 v[124:125], v[2:3], v[122:123]
	v_fma_f64 v[122:123], v[2:3], v[120:121], -v[6:7]
	v_fmac_f64_e32 v[124:125], v[4:5], v[120:121]
	scratch_store_dwordx4 off, v[122:125], off offset:384
.LBB35_471:
	s_or_b64 exec, exec, s[2:3]
	scratch_load_dwordx4 v[2:5], v94, off
	v_cmp_gt_u32_e32 vcc, 25, v0
	s_waitcnt vmcnt(0)
	ds_write_b128 v11, v[2:5]
	s_waitcnt lgkmcnt(0)
	; wave barrier
	s_waitcnt lgkmcnt(0)
	s_and_saveexec_b64 s[2:3], vcc
	s_cbranch_execz .LBB35_479
; %bb.472:
	ds_read_b128 v[2:5], v11
	s_and_b64 vcc, exec, s[0:1]
	s_cbranch_vccnz .LBB35_474
; %bb.473:
	scratch_load_dwordx4 v[120:123], v10, off
	s_waitcnt vmcnt(0) lgkmcnt(0)
	v_mul_f64 v[12:13], v[2:3], v[122:123]
	v_mul_f64 v[6:7], v[4:5], v[122:123]
	v_fmac_f64_e32 v[12:13], v[4:5], v[120:121]
	v_fma_f64 v[2:3], v[2:3], v[120:121], -v[6:7]
	v_mov_b64_e32 v[4:5], v[12:13]
.LBB35_474:
	v_cmp_ne_u32_e32 vcc, 24, v0
	s_and_saveexec_b64 s[6:7], vcc
	s_cbranch_execz .LBB35_478
; %bb.475:
	v_mov_b32_e32 v7, 0
	v_add_u32_e32 v6, 0x250, v86
	v_add3_u32 v7, v86, v7, 24
	s_mov_b64 s[8:9], 0
	v_mov_b32_e32 v12, v0
.LBB35_476:                             ; =>This Inner Loop Header: Depth=1
	v_add_u32_e32 v13, -8, v7
	scratch_load_dwordx4 v[120:123], v13, off
	ds_read_b128 v[124:127], v6
	v_add_u32_e32 v12, 1, v12
	v_cmp_lt_u32_e32 vcc, 23, v12
	v_add_u32_e32 v6, 16, v6
	v_add_u32_e32 v7, 16, v7
	s_or_b64 s[8:9], vcc, s[8:9]
	s_waitcnt vmcnt(0) lgkmcnt(0)
	v_mul_f64 v[128:129], v[126:127], v[122:123]
	v_mul_f64 v[122:123], v[124:125], v[122:123]
	v_fma_f64 v[124:125], v[124:125], v[120:121], -v[128:129]
	v_fmac_f64_e32 v[122:123], v[126:127], v[120:121]
	v_add_f64 v[2:3], v[2:3], v[124:125]
	v_add_f64 v[4:5], v[4:5], v[122:123]
	s_andn2_b64 exec, exec, s[8:9]
	s_cbranch_execnz .LBB35_476
; %bb.477:
	s_or_b64 exec, exec, s[8:9]
.LBB35_478:
	s_or_b64 exec, exec, s[6:7]
	v_mov_b32_e32 v6, 0
	ds_read_b128 v[120:123], v6 offset:400
	s_waitcnt lgkmcnt(0)
	v_mul_f64 v[6:7], v[4:5], v[122:123]
	v_mul_f64 v[124:125], v[2:3], v[122:123]
	v_fma_f64 v[122:123], v[2:3], v[120:121], -v[6:7]
	v_fmac_f64_e32 v[124:125], v[4:5], v[120:121]
	scratch_store_dwordx4 off, v[122:125], off offset:400
.LBB35_479:
	s_or_b64 exec, exec, s[2:3]
	scratch_load_dwordx4 v[2:5], v93, off
	v_cmp_gt_u32_e32 vcc, 26, v0
	s_waitcnt vmcnt(0)
	ds_write_b128 v11, v[2:5]
	s_waitcnt lgkmcnt(0)
	; wave barrier
	s_waitcnt lgkmcnt(0)
	s_and_saveexec_b64 s[2:3], vcc
	s_cbranch_execz .LBB35_487
; %bb.480:
	ds_read_b128 v[2:5], v11
	s_and_b64 vcc, exec, s[0:1]
	s_cbranch_vccnz .LBB35_482
; %bb.481:
	scratch_load_dwordx4 v[120:123], v10, off
	s_waitcnt vmcnt(0) lgkmcnt(0)
	v_mul_f64 v[12:13], v[2:3], v[122:123]
	v_mul_f64 v[6:7], v[4:5], v[122:123]
	v_fmac_f64_e32 v[12:13], v[4:5], v[120:121]
	v_fma_f64 v[2:3], v[2:3], v[120:121], -v[6:7]
	v_mov_b64_e32 v[4:5], v[12:13]
.LBB35_482:
	v_cmp_ne_u32_e32 vcc, 25, v0
	s_and_saveexec_b64 s[6:7], vcc
	s_cbranch_execz .LBB35_486
; %bb.483:
	v_mov_b32_e32 v7, 0
	v_add_u32_e32 v6, 0x250, v86
	v_add3_u32 v7, v86, v7, 24
	s_mov_b64 s[8:9], 0
	v_mov_b32_e32 v12, v0
.LBB35_484:                             ; =>This Inner Loop Header: Depth=1
	v_add_u32_e32 v13, -8, v7
	scratch_load_dwordx4 v[120:123], v13, off
	ds_read_b128 v[124:127], v6
	v_add_u32_e32 v12, 1, v12
	v_cmp_lt_u32_e32 vcc, 24, v12
	v_add_u32_e32 v6, 16, v6
	v_add_u32_e32 v7, 16, v7
	s_or_b64 s[8:9], vcc, s[8:9]
	s_waitcnt vmcnt(0) lgkmcnt(0)
	v_mul_f64 v[128:129], v[126:127], v[122:123]
	v_mul_f64 v[122:123], v[124:125], v[122:123]
	v_fma_f64 v[124:125], v[124:125], v[120:121], -v[128:129]
	v_fmac_f64_e32 v[122:123], v[126:127], v[120:121]
	v_add_f64 v[2:3], v[2:3], v[124:125]
	v_add_f64 v[4:5], v[4:5], v[122:123]
	s_andn2_b64 exec, exec, s[8:9]
	s_cbranch_execnz .LBB35_484
; %bb.485:
	s_or_b64 exec, exec, s[8:9]
.LBB35_486:
	s_or_b64 exec, exec, s[6:7]
	v_mov_b32_e32 v6, 0
	ds_read_b128 v[120:123], v6 offset:416
	s_waitcnt lgkmcnt(0)
	v_mul_f64 v[6:7], v[4:5], v[122:123]
	v_mul_f64 v[124:125], v[2:3], v[122:123]
	v_fma_f64 v[122:123], v[2:3], v[120:121], -v[6:7]
	v_fmac_f64_e32 v[124:125], v[4:5], v[120:121]
	scratch_store_dwordx4 off, v[122:125], off offset:416
.LBB35_487:
	s_or_b64 exec, exec, s[2:3]
	scratch_load_dwordx4 v[2:5], v92, off
	v_cmp_gt_u32_e32 vcc, 27, v0
	s_waitcnt vmcnt(0)
	ds_write_b128 v11, v[2:5]
	s_waitcnt lgkmcnt(0)
	; wave barrier
	s_waitcnt lgkmcnt(0)
	s_and_saveexec_b64 s[2:3], vcc
	s_cbranch_execz .LBB35_495
; %bb.488:
	ds_read_b128 v[2:5], v11
	s_and_b64 vcc, exec, s[0:1]
	s_cbranch_vccnz .LBB35_490
; %bb.489:
	scratch_load_dwordx4 v[120:123], v10, off
	s_waitcnt vmcnt(0) lgkmcnt(0)
	v_mul_f64 v[12:13], v[2:3], v[122:123]
	v_mul_f64 v[6:7], v[4:5], v[122:123]
	v_fmac_f64_e32 v[12:13], v[4:5], v[120:121]
	v_fma_f64 v[2:3], v[2:3], v[120:121], -v[6:7]
	v_mov_b64_e32 v[4:5], v[12:13]
.LBB35_490:
	v_cmp_ne_u32_e32 vcc, 26, v0
	s_and_saveexec_b64 s[6:7], vcc
	s_cbranch_execz .LBB35_494
; %bb.491:
	v_mov_b32_e32 v7, 0
	v_add_u32_e32 v6, 0x250, v86
	v_add3_u32 v7, v86, v7, 24
	s_mov_b64 s[8:9], 0
	v_mov_b32_e32 v12, v0
.LBB35_492:                             ; =>This Inner Loop Header: Depth=1
	v_add_u32_e32 v13, -8, v7
	scratch_load_dwordx4 v[120:123], v13, off
	ds_read_b128 v[124:127], v6
	v_add_u32_e32 v12, 1, v12
	v_cmp_lt_u32_e32 vcc, 25, v12
	v_add_u32_e32 v6, 16, v6
	v_add_u32_e32 v7, 16, v7
	s_or_b64 s[8:9], vcc, s[8:9]
	s_waitcnt vmcnt(0) lgkmcnt(0)
	v_mul_f64 v[128:129], v[126:127], v[122:123]
	v_mul_f64 v[122:123], v[124:125], v[122:123]
	v_fma_f64 v[124:125], v[124:125], v[120:121], -v[128:129]
	v_fmac_f64_e32 v[122:123], v[126:127], v[120:121]
	v_add_f64 v[2:3], v[2:3], v[124:125]
	v_add_f64 v[4:5], v[4:5], v[122:123]
	s_andn2_b64 exec, exec, s[8:9]
	s_cbranch_execnz .LBB35_492
; %bb.493:
	s_or_b64 exec, exec, s[8:9]
.LBB35_494:
	s_or_b64 exec, exec, s[6:7]
	v_mov_b32_e32 v6, 0
	ds_read_b128 v[120:123], v6 offset:432
	s_waitcnt lgkmcnt(0)
	v_mul_f64 v[6:7], v[4:5], v[122:123]
	v_mul_f64 v[124:125], v[2:3], v[122:123]
	v_fma_f64 v[122:123], v[2:3], v[120:121], -v[6:7]
	v_fmac_f64_e32 v[124:125], v[4:5], v[120:121]
	scratch_store_dwordx4 off, v[122:125], off offset:432
.LBB35_495:
	s_or_b64 exec, exec, s[2:3]
	scratch_load_dwordx4 v[2:5], v91, off
	v_cmp_gt_u32_e32 vcc, 28, v0
	s_waitcnt vmcnt(0)
	ds_write_b128 v11, v[2:5]
	s_waitcnt lgkmcnt(0)
	; wave barrier
	s_waitcnt lgkmcnt(0)
	s_and_saveexec_b64 s[2:3], vcc
	s_cbranch_execz .LBB35_503
; %bb.496:
	ds_read_b128 v[2:5], v11
	s_and_b64 vcc, exec, s[0:1]
	s_cbranch_vccnz .LBB35_498
; %bb.497:
	scratch_load_dwordx4 v[120:123], v10, off
	s_waitcnt vmcnt(0) lgkmcnt(0)
	v_mul_f64 v[12:13], v[2:3], v[122:123]
	v_mul_f64 v[6:7], v[4:5], v[122:123]
	v_fmac_f64_e32 v[12:13], v[4:5], v[120:121]
	v_fma_f64 v[2:3], v[2:3], v[120:121], -v[6:7]
	v_mov_b64_e32 v[4:5], v[12:13]
.LBB35_498:
	v_cmp_ne_u32_e32 vcc, 27, v0
	s_and_saveexec_b64 s[6:7], vcc
	s_cbranch_execz .LBB35_502
; %bb.499:
	v_mov_b32_e32 v7, 0
	v_add_u32_e32 v6, 0x250, v86
	v_add3_u32 v7, v86, v7, 24
	s_mov_b64 s[8:9], 0
	v_mov_b32_e32 v12, v0
.LBB35_500:                             ; =>This Inner Loop Header: Depth=1
	v_add_u32_e32 v13, -8, v7
	scratch_load_dwordx4 v[120:123], v13, off
	ds_read_b128 v[124:127], v6
	v_add_u32_e32 v12, 1, v12
	v_cmp_lt_u32_e32 vcc, 26, v12
	v_add_u32_e32 v6, 16, v6
	v_add_u32_e32 v7, 16, v7
	s_or_b64 s[8:9], vcc, s[8:9]
	s_waitcnt vmcnt(0) lgkmcnt(0)
	v_mul_f64 v[128:129], v[126:127], v[122:123]
	v_mul_f64 v[122:123], v[124:125], v[122:123]
	v_fma_f64 v[124:125], v[124:125], v[120:121], -v[128:129]
	v_fmac_f64_e32 v[122:123], v[126:127], v[120:121]
	v_add_f64 v[2:3], v[2:3], v[124:125]
	v_add_f64 v[4:5], v[4:5], v[122:123]
	s_andn2_b64 exec, exec, s[8:9]
	s_cbranch_execnz .LBB35_500
; %bb.501:
	s_or_b64 exec, exec, s[8:9]
.LBB35_502:
	s_or_b64 exec, exec, s[6:7]
	v_mov_b32_e32 v6, 0
	ds_read_b128 v[120:123], v6 offset:448
	s_waitcnt lgkmcnt(0)
	v_mul_f64 v[6:7], v[4:5], v[122:123]
	v_mul_f64 v[124:125], v[2:3], v[122:123]
	v_fma_f64 v[122:123], v[2:3], v[120:121], -v[6:7]
	v_fmac_f64_e32 v[124:125], v[4:5], v[120:121]
	scratch_store_dwordx4 off, v[122:125], off offset:448
.LBB35_503:
	s_or_b64 exec, exec, s[2:3]
	scratch_load_dwordx4 v[2:5], v90, off
	v_cmp_gt_u32_e32 vcc, 29, v0
	s_waitcnt vmcnt(0)
	ds_write_b128 v11, v[2:5]
	s_waitcnt lgkmcnt(0)
	; wave barrier
	s_waitcnt lgkmcnt(0)
	s_and_saveexec_b64 s[2:3], vcc
	s_cbranch_execz .LBB35_511
; %bb.504:
	ds_read_b128 v[2:5], v11
	s_and_b64 vcc, exec, s[0:1]
	s_cbranch_vccnz .LBB35_506
; %bb.505:
	scratch_load_dwordx4 v[120:123], v10, off
	s_waitcnt vmcnt(0) lgkmcnt(0)
	v_mul_f64 v[12:13], v[2:3], v[122:123]
	v_mul_f64 v[6:7], v[4:5], v[122:123]
	v_fmac_f64_e32 v[12:13], v[4:5], v[120:121]
	v_fma_f64 v[2:3], v[2:3], v[120:121], -v[6:7]
	v_mov_b64_e32 v[4:5], v[12:13]
.LBB35_506:
	v_cmp_ne_u32_e32 vcc, 28, v0
	s_and_saveexec_b64 s[6:7], vcc
	s_cbranch_execz .LBB35_510
; %bb.507:
	v_mov_b32_e32 v7, 0
	v_add_u32_e32 v6, 0x250, v86
	v_add3_u32 v7, v86, v7, 24
	s_mov_b64 s[8:9], 0
	v_mov_b32_e32 v12, v0
.LBB35_508:                             ; =>This Inner Loop Header: Depth=1
	v_add_u32_e32 v13, -8, v7
	scratch_load_dwordx4 v[120:123], v13, off
	ds_read_b128 v[124:127], v6
	v_add_u32_e32 v12, 1, v12
	v_cmp_lt_u32_e32 vcc, 27, v12
	v_add_u32_e32 v6, 16, v6
	v_add_u32_e32 v7, 16, v7
	s_or_b64 s[8:9], vcc, s[8:9]
	s_waitcnt vmcnt(0) lgkmcnt(0)
	v_mul_f64 v[128:129], v[126:127], v[122:123]
	v_mul_f64 v[122:123], v[124:125], v[122:123]
	v_fma_f64 v[124:125], v[124:125], v[120:121], -v[128:129]
	v_fmac_f64_e32 v[122:123], v[126:127], v[120:121]
	v_add_f64 v[2:3], v[2:3], v[124:125]
	v_add_f64 v[4:5], v[4:5], v[122:123]
	s_andn2_b64 exec, exec, s[8:9]
	s_cbranch_execnz .LBB35_508
; %bb.509:
	s_or_b64 exec, exec, s[8:9]
.LBB35_510:
	s_or_b64 exec, exec, s[6:7]
	v_mov_b32_e32 v6, 0
	ds_read_b128 v[120:123], v6 offset:464
	s_waitcnt lgkmcnt(0)
	v_mul_f64 v[6:7], v[4:5], v[122:123]
	v_mul_f64 v[124:125], v[2:3], v[122:123]
	v_fma_f64 v[122:123], v[2:3], v[120:121], -v[6:7]
	v_fmac_f64_e32 v[124:125], v[4:5], v[120:121]
	scratch_store_dwordx4 off, v[122:125], off offset:464
.LBB35_511:
	s_or_b64 exec, exec, s[2:3]
	scratch_load_dwordx4 v[2:5], v87, off
	v_cmp_gt_u32_e32 vcc, 30, v0
	s_waitcnt vmcnt(0)
	ds_write_b128 v11, v[2:5]
	s_waitcnt lgkmcnt(0)
	; wave barrier
	s_waitcnt lgkmcnt(0)
	s_and_saveexec_b64 s[2:3], vcc
	s_cbranch_execz .LBB35_519
; %bb.512:
	ds_read_b128 v[2:5], v11
	s_and_b64 vcc, exec, s[0:1]
	s_cbranch_vccnz .LBB35_514
; %bb.513:
	scratch_load_dwordx4 v[120:123], v10, off
	s_waitcnt vmcnt(0) lgkmcnt(0)
	v_mul_f64 v[12:13], v[2:3], v[122:123]
	v_mul_f64 v[6:7], v[4:5], v[122:123]
	v_fmac_f64_e32 v[12:13], v[4:5], v[120:121]
	v_fma_f64 v[2:3], v[2:3], v[120:121], -v[6:7]
	v_mov_b64_e32 v[4:5], v[12:13]
.LBB35_514:
	v_cmp_ne_u32_e32 vcc, 29, v0
	s_and_saveexec_b64 s[6:7], vcc
	s_cbranch_execz .LBB35_518
; %bb.515:
	v_mov_b32_e32 v7, 0
	v_add_u32_e32 v6, 0x250, v86
	v_add3_u32 v7, v86, v7, 24
	s_mov_b64 s[8:9], 0
	v_mov_b32_e32 v12, v0
.LBB35_516:                             ; =>This Inner Loop Header: Depth=1
	v_add_u32_e32 v13, -8, v7
	scratch_load_dwordx4 v[120:123], v13, off
	ds_read_b128 v[124:127], v6
	v_add_u32_e32 v12, 1, v12
	v_cmp_lt_u32_e32 vcc, 28, v12
	v_add_u32_e32 v6, 16, v6
	v_add_u32_e32 v7, 16, v7
	s_or_b64 s[8:9], vcc, s[8:9]
	s_waitcnt vmcnt(0) lgkmcnt(0)
	v_mul_f64 v[128:129], v[126:127], v[122:123]
	v_mul_f64 v[122:123], v[124:125], v[122:123]
	v_fma_f64 v[124:125], v[124:125], v[120:121], -v[128:129]
	v_fmac_f64_e32 v[122:123], v[126:127], v[120:121]
	v_add_f64 v[2:3], v[2:3], v[124:125]
	v_add_f64 v[4:5], v[4:5], v[122:123]
	s_andn2_b64 exec, exec, s[8:9]
	s_cbranch_execnz .LBB35_516
; %bb.517:
	s_or_b64 exec, exec, s[8:9]
.LBB35_518:
	s_or_b64 exec, exec, s[6:7]
	v_mov_b32_e32 v6, 0
	ds_read_b128 v[120:123], v6 offset:480
	s_waitcnt lgkmcnt(0)
	v_mul_f64 v[6:7], v[4:5], v[122:123]
	v_mul_f64 v[124:125], v[2:3], v[122:123]
	v_fma_f64 v[122:123], v[2:3], v[120:121], -v[6:7]
	v_fmac_f64_e32 v[124:125], v[4:5], v[120:121]
	scratch_store_dwordx4 off, v[122:125], off offset:480
.LBB35_519:
	s_or_b64 exec, exec, s[2:3]
	scratch_load_dwordx4 v[2:5], v57, off
	v_cmp_gt_u32_e32 vcc, 31, v0
	s_waitcnt vmcnt(0)
	ds_write_b128 v11, v[2:5]
	s_waitcnt lgkmcnt(0)
	; wave barrier
	s_waitcnt lgkmcnt(0)
	s_and_saveexec_b64 s[2:3], vcc
	s_cbranch_execz .LBB35_527
; %bb.520:
	ds_read_b128 v[2:5], v11
	s_and_b64 vcc, exec, s[0:1]
	s_cbranch_vccnz .LBB35_522
; %bb.521:
	scratch_load_dwordx4 v[120:123], v10, off
	s_waitcnt vmcnt(0) lgkmcnt(0)
	v_mul_f64 v[12:13], v[2:3], v[122:123]
	v_mul_f64 v[6:7], v[4:5], v[122:123]
	v_fmac_f64_e32 v[12:13], v[4:5], v[120:121]
	v_fma_f64 v[2:3], v[2:3], v[120:121], -v[6:7]
	v_mov_b64_e32 v[4:5], v[12:13]
.LBB35_522:
	v_cmp_ne_u32_e32 vcc, 30, v0
	s_and_saveexec_b64 s[6:7], vcc
	s_cbranch_execz .LBB35_526
; %bb.523:
	v_mov_b32_e32 v7, 0
	v_add_u32_e32 v6, 0x250, v86
	v_add3_u32 v7, v86, v7, 24
	s_mov_b64 s[8:9], 0
	v_mov_b32_e32 v12, v0
.LBB35_524:                             ; =>This Inner Loop Header: Depth=1
	v_add_u32_e32 v13, -8, v7
	scratch_load_dwordx4 v[120:123], v13, off
	ds_read_b128 v[124:127], v6
	v_add_u32_e32 v12, 1, v12
	v_cmp_lt_u32_e32 vcc, 29, v12
	v_add_u32_e32 v6, 16, v6
	v_add_u32_e32 v7, 16, v7
	s_or_b64 s[8:9], vcc, s[8:9]
	s_waitcnt vmcnt(0) lgkmcnt(0)
	v_mul_f64 v[128:129], v[126:127], v[122:123]
	v_mul_f64 v[122:123], v[124:125], v[122:123]
	v_fma_f64 v[124:125], v[124:125], v[120:121], -v[128:129]
	v_fmac_f64_e32 v[122:123], v[126:127], v[120:121]
	v_add_f64 v[2:3], v[2:3], v[124:125]
	v_add_f64 v[4:5], v[4:5], v[122:123]
	s_andn2_b64 exec, exec, s[8:9]
	s_cbranch_execnz .LBB35_524
; %bb.525:
	s_or_b64 exec, exec, s[8:9]
.LBB35_526:
	s_or_b64 exec, exec, s[6:7]
	v_mov_b32_e32 v6, 0
	ds_read_b128 v[120:123], v6 offset:496
	s_waitcnt lgkmcnt(0)
	v_mul_f64 v[6:7], v[4:5], v[122:123]
	v_mul_f64 v[124:125], v[2:3], v[122:123]
	v_fma_f64 v[122:123], v[2:3], v[120:121], -v[6:7]
	v_fmac_f64_e32 v[124:125], v[4:5], v[120:121]
	scratch_store_dwordx4 off, v[122:125], off offset:496
.LBB35_527:
	s_or_b64 exec, exec, s[2:3]
	scratch_load_dwordx4 v[2:5], v56, off
	v_cmp_gt_u32_e32 vcc, 32, v0
	s_waitcnt vmcnt(0)
	ds_write_b128 v11, v[2:5]
	s_waitcnt lgkmcnt(0)
	; wave barrier
	s_waitcnt lgkmcnt(0)
	s_and_saveexec_b64 s[2:3], vcc
	s_cbranch_execz .LBB35_535
; %bb.528:
	ds_read_b128 v[2:5], v11
	s_and_b64 vcc, exec, s[0:1]
	s_cbranch_vccnz .LBB35_530
; %bb.529:
	scratch_load_dwordx4 v[120:123], v10, off
	s_waitcnt vmcnt(0) lgkmcnt(0)
	v_mul_f64 v[12:13], v[2:3], v[122:123]
	v_mul_f64 v[6:7], v[4:5], v[122:123]
	v_fmac_f64_e32 v[12:13], v[4:5], v[120:121]
	v_fma_f64 v[2:3], v[2:3], v[120:121], -v[6:7]
	v_mov_b64_e32 v[4:5], v[12:13]
.LBB35_530:
	v_cmp_ne_u32_e32 vcc, 31, v0
	s_and_saveexec_b64 s[6:7], vcc
	s_cbranch_execz .LBB35_534
; %bb.531:
	v_mov_b32_e32 v7, 0
	v_add_u32_e32 v6, 0x250, v86
	v_add3_u32 v7, v86, v7, 24
	s_mov_b64 s[8:9], 0
	v_mov_b32_e32 v12, v0
.LBB35_532:                             ; =>This Inner Loop Header: Depth=1
	v_add_u32_e32 v13, -8, v7
	scratch_load_dwordx4 v[120:123], v13, off
	ds_read_b128 v[124:127], v6
	v_add_u32_e32 v12, 1, v12
	v_cmp_lt_u32_e32 vcc, 30, v12
	v_add_u32_e32 v6, 16, v6
	v_add_u32_e32 v7, 16, v7
	s_or_b64 s[8:9], vcc, s[8:9]
	s_waitcnt vmcnt(0) lgkmcnt(0)
	v_mul_f64 v[128:129], v[126:127], v[122:123]
	v_mul_f64 v[122:123], v[124:125], v[122:123]
	v_fma_f64 v[124:125], v[124:125], v[120:121], -v[128:129]
	v_fmac_f64_e32 v[122:123], v[126:127], v[120:121]
	v_add_f64 v[2:3], v[2:3], v[124:125]
	v_add_f64 v[4:5], v[4:5], v[122:123]
	s_andn2_b64 exec, exec, s[8:9]
	s_cbranch_execnz .LBB35_532
; %bb.533:
	s_or_b64 exec, exec, s[8:9]
.LBB35_534:
	s_or_b64 exec, exec, s[6:7]
	v_mov_b32_e32 v6, 0
	ds_read_b128 v[120:123], v6 offset:512
	s_waitcnt lgkmcnt(0)
	v_mul_f64 v[6:7], v[4:5], v[122:123]
	v_mul_f64 v[124:125], v[2:3], v[122:123]
	v_fma_f64 v[122:123], v[2:3], v[120:121], -v[6:7]
	v_fmac_f64_e32 v[124:125], v[4:5], v[120:121]
	scratch_store_dwordx4 off, v[122:125], off offset:512
.LBB35_535:
	s_or_b64 exec, exec, s[2:3]
	scratch_load_dwordx4 v[2:5], v9, off
	v_cmp_gt_u32_e32 vcc, 33, v0
	s_waitcnt vmcnt(0)
	ds_write_b128 v11, v[2:5]
	s_waitcnt lgkmcnt(0)
	; wave barrier
	s_waitcnt lgkmcnt(0)
	s_and_saveexec_b64 s[2:3], vcc
	s_cbranch_execz .LBB35_543
; %bb.536:
	ds_read_b128 v[2:5], v11
	s_and_b64 vcc, exec, s[0:1]
	s_cbranch_vccnz .LBB35_538
; %bb.537:
	scratch_load_dwordx4 v[120:123], v10, off
	s_waitcnt vmcnt(0) lgkmcnt(0)
	v_mul_f64 v[12:13], v[2:3], v[122:123]
	v_mul_f64 v[6:7], v[4:5], v[122:123]
	v_fmac_f64_e32 v[12:13], v[4:5], v[120:121]
	v_fma_f64 v[2:3], v[2:3], v[120:121], -v[6:7]
	v_mov_b64_e32 v[4:5], v[12:13]
.LBB35_538:
	v_cmp_ne_u32_e32 vcc, 32, v0
	s_and_saveexec_b64 s[6:7], vcc
	s_cbranch_execz .LBB35_542
; %bb.539:
	v_mov_b32_e32 v7, 0
	v_add_u32_e32 v6, 0x250, v86
	v_add3_u32 v7, v86, v7, 24
	s_mov_b64 s[8:9], 0
	v_mov_b32_e32 v12, v0
.LBB35_540:                             ; =>This Inner Loop Header: Depth=1
	v_add_u32_e32 v13, -8, v7
	scratch_load_dwordx4 v[120:123], v13, off
	ds_read_b128 v[124:127], v6
	v_add_u32_e32 v12, 1, v12
	v_cmp_lt_u32_e32 vcc, 31, v12
	v_add_u32_e32 v6, 16, v6
	v_add_u32_e32 v7, 16, v7
	s_or_b64 s[8:9], vcc, s[8:9]
	s_waitcnt vmcnt(0) lgkmcnt(0)
	v_mul_f64 v[128:129], v[126:127], v[122:123]
	v_mul_f64 v[122:123], v[124:125], v[122:123]
	v_fma_f64 v[124:125], v[124:125], v[120:121], -v[128:129]
	v_fmac_f64_e32 v[122:123], v[126:127], v[120:121]
	v_add_f64 v[2:3], v[2:3], v[124:125]
	v_add_f64 v[4:5], v[4:5], v[122:123]
	s_andn2_b64 exec, exec, s[8:9]
	s_cbranch_execnz .LBB35_540
; %bb.541:
	s_or_b64 exec, exec, s[8:9]
.LBB35_542:
	s_or_b64 exec, exec, s[6:7]
	v_mov_b32_e32 v6, 0
	ds_read_b128 v[120:123], v6 offset:528
	s_waitcnt lgkmcnt(0)
	v_mul_f64 v[6:7], v[4:5], v[122:123]
	v_mul_f64 v[124:125], v[2:3], v[122:123]
	v_fma_f64 v[122:123], v[2:3], v[120:121], -v[6:7]
	v_fmac_f64_e32 v[124:125], v[4:5], v[120:121]
	scratch_store_dwordx4 off, v[122:125], off offset:528
.LBB35_543:
	s_or_b64 exec, exec, s[2:3]
	scratch_load_dwordx4 v[2:5], v8, off
	v_cmp_gt_u32_e64 s[2:3], 34, v0
	s_waitcnt vmcnt(0)
	ds_write_b128 v11, v[2:5]
	s_waitcnt lgkmcnt(0)
	; wave barrier
	s_waitcnt lgkmcnt(0)
	s_and_saveexec_b64 s[6:7], s[2:3]
	s_cbranch_execz .LBB35_551
; %bb.544:
	ds_read_b128 v[2:5], v11
	s_and_b64 vcc, exec, s[0:1]
	s_cbranch_vccnz .LBB35_546
; %bb.545:
	scratch_load_dwordx4 v[120:123], v10, off
	s_waitcnt vmcnt(0) lgkmcnt(0)
	v_mul_f64 v[12:13], v[2:3], v[122:123]
	v_mul_f64 v[6:7], v[4:5], v[122:123]
	v_fmac_f64_e32 v[12:13], v[4:5], v[120:121]
	v_fma_f64 v[2:3], v[2:3], v[120:121], -v[6:7]
	v_mov_b64_e32 v[4:5], v[12:13]
.LBB35_546:
	v_cmp_ne_u32_e32 vcc, 33, v0
	s_and_saveexec_b64 s[8:9], vcc
	s_cbranch_execz .LBB35_550
; %bb.547:
	v_mov_b32_e32 v7, 0
	v_add_u32_e32 v6, 0x250, v86
	v_add3_u32 v7, v86, v7, 24
	s_mov_b64 s[10:11], 0
	v_mov_b32_e32 v12, v0
.LBB35_548:                             ; =>This Inner Loop Header: Depth=1
	v_add_u32_e32 v13, -8, v7
	scratch_load_dwordx4 v[120:123], v13, off
	ds_read_b128 v[124:127], v6
	v_add_u32_e32 v12, 1, v12
	v_cmp_lt_u32_e32 vcc, 32, v12
	v_add_u32_e32 v6, 16, v6
	v_add_u32_e32 v7, 16, v7
	s_or_b64 s[10:11], vcc, s[10:11]
	s_waitcnt vmcnt(0) lgkmcnt(0)
	v_mul_f64 v[128:129], v[126:127], v[122:123]
	v_mul_f64 v[122:123], v[124:125], v[122:123]
	v_fma_f64 v[124:125], v[124:125], v[120:121], -v[128:129]
	v_fmac_f64_e32 v[122:123], v[126:127], v[120:121]
	v_add_f64 v[2:3], v[2:3], v[124:125]
	v_add_f64 v[4:5], v[4:5], v[122:123]
	s_andn2_b64 exec, exec, s[10:11]
	s_cbranch_execnz .LBB35_548
; %bb.549:
	s_or_b64 exec, exec, s[10:11]
.LBB35_550:
	s_or_b64 exec, exec, s[8:9]
	v_mov_b32_e32 v6, 0
	ds_read_b128 v[120:123], v6 offset:544
	s_waitcnt lgkmcnt(0)
	v_mul_f64 v[6:7], v[4:5], v[122:123]
	v_mul_f64 v[124:125], v[2:3], v[122:123]
	v_fma_f64 v[122:123], v[2:3], v[120:121], -v[6:7]
	v_fmac_f64_e32 v[124:125], v[4:5], v[120:121]
	scratch_store_dwordx4 off, v[122:125], off offset:544
.LBB35_551:
	s_or_b64 exec, exec, s[6:7]
	scratch_load_dwordx4 v[2:5], v1, off
	v_cmp_ne_u32_e32 vcc, 35, v0
                                        ; implicit-def: $vgpr6_vgpr7
                                        ; implicit-def: $vgpr12
	s_waitcnt vmcnt(0)
	ds_write_b128 v11, v[2:5]
	s_waitcnt lgkmcnt(0)
	; wave barrier
	s_waitcnt lgkmcnt(0)
	s_and_saveexec_b64 s[6:7], vcc
	s_cbranch_execz .LBB35_559
; %bb.552:
	ds_read_b128 v[2:5], v11
	s_and_b64 vcc, exec, s[0:1]
	s_cbranch_vccnz .LBB35_554
; %bb.553:
	scratch_load_dwordx4 v[10:13], v10, off
	s_waitcnt vmcnt(0) lgkmcnt(0)
	v_mul_f64 v[6:7], v[4:5], v[12:13]
	v_mul_f64 v[12:13], v[2:3], v[12:13]
	v_fmac_f64_e32 v[12:13], v[4:5], v[10:11]
	v_fma_f64 v[2:3], v[2:3], v[10:11], -v[6:7]
	v_mov_b64_e32 v[4:5], v[12:13]
.LBB35_554:
	s_and_saveexec_b64 s[0:1], s[2:3]
	s_cbranch_execz .LBB35_558
; %bb.555:
	v_mov_b32_e32 v7, 0
	v_add_u32_e32 v6, 0x250, v86
	v_add3_u32 v7, v86, v7, 24
	s_mov_b64 s[2:3], 0
.LBB35_556:                             ; =>This Inner Loop Header: Depth=1
	v_add_u32_e32 v10, -8, v7
	scratch_load_dwordx4 v[10:13], v10, off
	ds_read_b128 v[120:123], v6
	v_add_u32_e32 v0, 1, v0
	v_cmp_lt_u32_e32 vcc, 33, v0
	v_add_u32_e32 v6, 16, v6
	v_add_u32_e32 v7, 16, v7
	s_or_b64 s[2:3], vcc, s[2:3]
	s_waitcnt vmcnt(0) lgkmcnt(0)
	v_mul_f64 v[124:125], v[122:123], v[12:13]
	v_mul_f64 v[12:13], v[120:121], v[12:13]
	v_fma_f64 v[120:121], v[120:121], v[10:11], -v[124:125]
	v_fmac_f64_e32 v[12:13], v[122:123], v[10:11]
	v_add_f64 v[2:3], v[2:3], v[120:121]
	v_add_f64 v[4:5], v[4:5], v[12:13]
	s_andn2_b64 exec, exec, s[2:3]
	s_cbranch_execnz .LBB35_556
; %bb.557:
	s_or_b64 exec, exec, s[2:3]
.LBB35_558:
	s_or_b64 exec, exec, s[0:1]
	v_mov_b32_e32 v0, 0
	ds_read_b128 v[120:123], v0 offset:560
	v_mov_b32_e32 v0, 0
	v_add_u32_e32 v12, 0x238, v0
	s_or_b64 s[4:5], s[4:5], exec
	s_waitcnt lgkmcnt(0)
	v_mul_f64 v[10:11], v[4:5], v[122:123]
	v_mul_f64 v[6:7], v[2:3], v[122:123]
	v_fma_f64 v[2:3], v[2:3], v[120:121], -v[10:11]
	v_fmac_f64_e32 v[6:7], v[4:5], v[120:121]
	scratch_store_dwordx2 off, v[2:3], off offset:560
.LBB35_559:
	s_or_b64 exec, exec, s[6:7]
.LBB35_560:
	s_and_saveexec_b64 s[0:1], s[4:5]
	s_cbranch_execz .LBB35_562
; %bb.561:
	scratch_store_dwordx2 v12, v[6:7], off
.LBB35_562:
	s_or_b64 exec, exec, s[0:1]
	scratch_load_dwordx4 v[2:5], off, off
	scratch_load_dwordx4 v[10:13], v116, off
	scratch_load_dwordx4 v[120:123], v114, off
	scratch_load_dwordx4 v[124:127], v117, off
	scratch_load_dwordx4 v[128:131], v118, off
                                        ; kill: killed $vgpr118
                                        ; kill: killed $vgpr116
                                        ; kill: killed $vgpr117
                                        ; kill: killed $vgpr114
	s_nop 0
	scratch_load_dwordx4 v[114:117], v115, off
	s_nop 0
	scratch_load_dwordx4 v[132:135], v113, off
	scratch_load_dwordx4 v[136:139], v112, off
	scratch_load_dwordx4 v[140:143], v111, off
	s_nop 0
	scratch_load_dwordx4 v[110:113], v110, off
	s_nop 0
	scratch_load_dwordx4 v[144:147], v109, off
	scratch_load_dwordx4 v[148:151], v108, off
	scratch_load_dwordx4 v[152:155], v107, off
	;; [unrolled: 6-line block ×3, first 2 shown]
	s_nop 0
	scratch_load_dwordx4 v[102:105], v102, off
	s_waitcnt vmcnt(17)
	global_store_dwordx4 v[58:59], v[2:5], off
	scratch_load_dwordx4 v[2:5], v101, off
	s_nop 0
	scratch_load_dwordx4 v[168:171], v100, off
	s_waitcnt vmcnt(19)
	global_store_dwordx4 v[60:61], v[10:13], off
	scratch_load_dwordx4 v[10:13], v99, off
	s_nop 0
	scratch_load_dwordx4 v[58:61], v98, off
	s_waitcnt vmcnt(21)
	global_store_dwordx4 v[62:63], v[120:123], off
	scratch_load_dwordx4 v[98:101], v97, off
	s_nop 0
	scratch_load_dwordx4 v[118:121], v96, off
	s_waitcnt vmcnt(23)
	global_store_dwordx4 v[64:65], v[124:127], off
	scratch_load_dwordx4 v[62:65], v95, off
	s_nop 0
	scratch_load_dwordx4 v[94:97], v94, off
	s_waitcnt vmcnt(25)
	global_store_dwordx4 v[66:67], v[128:131], off
	scratch_load_dwordx4 v[122:125], v93, off
	s_nop 0
	scratch_load_dwordx4 v[126:129], v92, off
	s_waitcnt vmcnt(27)
	global_store_dwordx4 v[68:69], v[114:117], off
	scratch_load_dwordx4 v[66:69], v91, off
	s_nop 0
	scratch_load_dwordx4 v[90:93], v90, off
	s_waitcnt vmcnt(29)
	global_store_dwordx4 v[70:71], v[132:135], off
	scratch_load_dwordx4 v[114:117], v87, off
	s_nop 0
	scratch_load_dwordx4 v[130:133], v57, off
	s_waitcnt vmcnt(31)
	global_store_dwordx4 v[72:73], v[136:139], off
	scratch_load_dwordx4 v[70:73], v56, off
	s_nop 0
	scratch_load_dwordx4 v[134:137], v9, off
	s_waitcnt vmcnt(33)
	global_store_dwordx4 v[74:75], v[140:143], off
	scratch_load_dwordx4 v[6:9], v8, off
	s_nop 0
	scratch_load_dwordx4 v[138:141], v1, off
	s_waitcnt vmcnt(35)
	global_store_dwordx4 v[76:77], v[110:113], off
	s_waitcnt vmcnt(35)
	global_store_dwordx4 v[78:79], v[144:147], off
	;; [unrolled: 2-line block ×27, first 2 shown]
.LBB35_563:
	s_endpgm
	.section	.rodata,"a",@progbits
	.p2align	6, 0x0
	.amdhsa_kernel _ZN9rocsolver6v33100L18trti2_kernel_smallILi36E19rocblas_complex_numIdEPS3_EEv13rocblas_fill_17rocblas_diagonal_T1_iil
		.amdhsa_group_segment_fixed_size 1152
		.amdhsa_private_segment_fixed_size 592
		.amdhsa_kernarg_size 32
		.amdhsa_user_sgpr_count 2
		.amdhsa_user_sgpr_dispatch_ptr 0
		.amdhsa_user_sgpr_queue_ptr 0
		.amdhsa_user_sgpr_kernarg_segment_ptr 1
		.amdhsa_user_sgpr_dispatch_id 0
		.amdhsa_user_sgpr_kernarg_preload_length 0
		.amdhsa_user_sgpr_kernarg_preload_offset 0
		.amdhsa_user_sgpr_private_segment_size 0
		.amdhsa_uses_dynamic_stack 0
		.amdhsa_enable_private_segment 1
		.amdhsa_system_sgpr_workgroup_id_x 1
		.amdhsa_system_sgpr_workgroup_id_y 0
		.amdhsa_system_sgpr_workgroup_id_z 0
		.amdhsa_system_sgpr_workgroup_info 0
		.amdhsa_system_vgpr_workitem_id 0
		.amdhsa_next_free_vgpr 172
		.amdhsa_next_free_sgpr 12
		.amdhsa_accum_offset 172
		.amdhsa_reserve_vcc 1
		.amdhsa_float_round_mode_32 0
		.amdhsa_float_round_mode_16_64 0
		.amdhsa_float_denorm_mode_32 3
		.amdhsa_float_denorm_mode_16_64 3
		.amdhsa_dx10_clamp 1
		.amdhsa_ieee_mode 1
		.amdhsa_fp16_overflow 0
		.amdhsa_tg_split 0
		.amdhsa_exception_fp_ieee_invalid_op 0
		.amdhsa_exception_fp_denorm_src 0
		.amdhsa_exception_fp_ieee_div_zero 0
		.amdhsa_exception_fp_ieee_overflow 0
		.amdhsa_exception_fp_ieee_underflow 0
		.amdhsa_exception_fp_ieee_inexact 0
		.amdhsa_exception_int_div_zero 0
	.end_amdhsa_kernel
	.section	.text._ZN9rocsolver6v33100L18trti2_kernel_smallILi36E19rocblas_complex_numIdEPS3_EEv13rocblas_fill_17rocblas_diagonal_T1_iil,"axG",@progbits,_ZN9rocsolver6v33100L18trti2_kernel_smallILi36E19rocblas_complex_numIdEPS3_EEv13rocblas_fill_17rocblas_diagonal_T1_iil,comdat
.Lfunc_end35:
	.size	_ZN9rocsolver6v33100L18trti2_kernel_smallILi36E19rocblas_complex_numIdEPS3_EEv13rocblas_fill_17rocblas_diagonal_T1_iil, .Lfunc_end35-_ZN9rocsolver6v33100L18trti2_kernel_smallILi36E19rocblas_complex_numIdEPS3_EEv13rocblas_fill_17rocblas_diagonal_T1_iil
                                        ; -- End function
	.section	.AMDGPU.csdata,"",@progbits
; Kernel info:
; codeLenInByte = 23668
; NumSgprs: 18
; NumVgprs: 172
; NumAgprs: 0
; TotalNumVgprs: 172
; ScratchSize: 592
; MemoryBound: 0
; FloatMode: 240
; IeeeMode: 1
; LDSByteSize: 1152 bytes/workgroup (compile time only)
; SGPRBlocks: 2
; VGPRBlocks: 21
; NumSGPRsForWavesPerEU: 18
; NumVGPRsForWavesPerEU: 172
; AccumOffset: 172
; Occupancy: 2
; WaveLimiterHint : 0
; COMPUTE_PGM_RSRC2:SCRATCH_EN: 1
; COMPUTE_PGM_RSRC2:USER_SGPR: 2
; COMPUTE_PGM_RSRC2:TRAP_HANDLER: 0
; COMPUTE_PGM_RSRC2:TGID_X_EN: 1
; COMPUTE_PGM_RSRC2:TGID_Y_EN: 0
; COMPUTE_PGM_RSRC2:TGID_Z_EN: 0
; COMPUTE_PGM_RSRC2:TIDIG_COMP_CNT: 0
; COMPUTE_PGM_RSRC3_GFX90A:ACCUM_OFFSET: 42
; COMPUTE_PGM_RSRC3_GFX90A:TG_SPLIT: 0
	.section	.text._ZN9rocsolver6v33100L18trti2_kernel_smallILi37E19rocblas_complex_numIdEPS3_EEv13rocblas_fill_17rocblas_diagonal_T1_iil,"axG",@progbits,_ZN9rocsolver6v33100L18trti2_kernel_smallILi37E19rocblas_complex_numIdEPS3_EEv13rocblas_fill_17rocblas_diagonal_T1_iil,comdat
	.globl	_ZN9rocsolver6v33100L18trti2_kernel_smallILi37E19rocblas_complex_numIdEPS3_EEv13rocblas_fill_17rocblas_diagonal_T1_iil ; -- Begin function _ZN9rocsolver6v33100L18trti2_kernel_smallILi37E19rocblas_complex_numIdEPS3_EEv13rocblas_fill_17rocblas_diagonal_T1_iil
	.p2align	8
	.type	_ZN9rocsolver6v33100L18trti2_kernel_smallILi37E19rocblas_complex_numIdEPS3_EEv13rocblas_fill_17rocblas_diagonal_T1_iil,@function
_ZN9rocsolver6v33100L18trti2_kernel_smallILi37E19rocblas_complex_numIdEPS3_EEv13rocblas_fill_17rocblas_diagonal_T1_iil: ; @_ZN9rocsolver6v33100L18trti2_kernel_smallILi37E19rocblas_complex_numIdEPS3_EEv13rocblas_fill_17rocblas_diagonal_T1_iil
; %bb.0:
	v_cmp_gt_u32_e32 vcc, 37, v0
	s_and_saveexec_b64 s[4:5], vcc
	s_cbranch_execz .LBB36_579
; %bb.1:
	s_load_dwordx8 s[4:11], s[0:1], 0x0
	s_ashr_i32 s3, s2, 31
	v_lshlrev_b32_e32 v58, 4, v0
	v_mov_b32_e32 v59, 0
	v_mov_b32_e32 v1, 0
	s_waitcnt lgkmcnt(0)
	s_ashr_i32 s1, s8, 31
	s_mov_b32 s0, s8
	s_mul_i32 s8, s2, s11
	s_mul_hi_u32 s11, s2, s10
	s_add_i32 s8, s11, s8
	s_mul_i32 s3, s3, s10
	s_add_i32 s3, s8, s3
	s_mul_i32 s2, s2, s10
	s_lshl_b64 s[2:3], s[2:3], 4
	s_add_u32 s2, s6, s2
	s_addc_u32 s3, s7, s3
	s_lshl_b64 s[0:1], s[0:1], 4
	s_add_u32 s0, s2, s0
	s_addc_u32 s1, s3, s1
	v_lshl_add_u64 v[14:15], s[0:1], 0, v[58:59]
	s_ashr_i32 s3, s9, 31
	s_mov_b32 s2, s9
	v_lshl_add_u64 v[16:17], s[2:3], 4, v[14:15]
	s_add_i32 s2, s9, s9
	v_add_u32_e32 v20, s2, v0
	v_add_u32_e32 v22, s9, v20
	;; [unrolled: 1-line block ×6, first 2 shown]
	v_ashrrev_i32_e32 v21, 31, v20
	v_ashrrev_i32_e32 v23, 31, v22
	;; [unrolled: 1-line block ×6, first 2 shown]
	v_lshl_add_u64 v[18:19], v[20:21], 4, s[0:1]
	v_lshl_add_u64 v[20:21], v[22:23], 4, s[0:1]
	;; [unrolled: 1-line block ×6, first 2 shown]
	v_add_u32_e32 v30, s9, v30
	v_add_u32_e32 v32, s9, v30
	;; [unrolled: 1-line block ×6, first 2 shown]
	v_ashrrev_i32_e32 v43, 31, v42
	v_ashrrev_i32_e32 v33, 31, v32
	;; [unrolled: 1-line block ×3, first 2 shown]
	v_lshl_add_u64 v[40:41], v[42:43], 4, s[0:1]
	v_add_u32_e32 v42, s9, v42
	v_ashrrev_i32_e32 v31, 31, v30
	v_lshl_add_u64 v[32:33], v[32:33], 4, s[0:1]
	v_ashrrev_i32_e32 v35, 31, v34
	v_lshl_add_u64 v[36:37], v[36:37], 4, s[0:1]
	v_ashrrev_i32_e32 v39, 31, v38
	v_ashrrev_i32_e32 v43, 31, v42
	global_load_dwordx4 v[2:5], v58, s[0:1]
	global_load_dwordx4 v[6:9], v[16:17], off
	global_load_dwordx4 v[10:13], v[18:19], off
	;; [unrolled: 1-line block ×6, first 2 shown]
	v_lshl_add_u64 v[30:31], v[30:31], 4, s[0:1]
	global_load_dwordx4 v[72:75], v[28:29], off
	global_load_dwordx4 v[76:79], v[30:31], off
	v_lshl_add_u64 v[34:35], v[34:35], 4, s[0:1]
	global_load_dwordx4 v[80:83], v[32:33], off
	global_load_dwordx4 v[84:87], v[34:35], off
	;; [unrolled: 3-line block ×3, first 2 shown]
	v_add_u32_e32 v46, s9, v42
	v_lshl_add_u64 v[42:43], v[42:43], 4, s[0:1]
	global_load_dwordx4 v[96:99], v[40:41], off
	global_load_dwordx4 v[100:103], v[42:43], off
	v_ashrrev_i32_e32 v47, 31, v46
	v_lshl_add_u64 v[44:45], v[46:47], 4, s[0:1]
	global_load_dwordx4 v[104:107], v[44:45], off
	v_add_u32_e32 v46, s9, v46
	v_add_u32_e32 v48, s9, v46
	v_ashrrev_i32_e32 v47, 31, v46
	v_ashrrev_i32_e32 v49, 31, v48
	v_add_u32_e32 v50, s9, v48
	v_lshl_add_u64 v[46:47], v[46:47], 4, s[0:1]
	global_load_dwordx4 v[108:111], v[46:47], off
	v_lshl_add_u64 v[48:49], v[48:49], 4, s[0:1]
	v_ashrrev_i32_e32 v51, 31, v50
	v_add_u32_e32 v56, s9, v50
	v_lshl_add_u64 v[50:51], v[50:51], 4, s[0:1]
	global_load_dwordx4 v[112:115], v[48:49], off
	global_load_dwordx4 v[116:119], v[50:51], off
	v_ashrrev_i32_e32 v57, 31, v56
	s_cmpk_lg_i32 s5, 0x84
	s_cselect_b64 s[6:7], -1, 0
	s_cmpk_eq_i32 s5, 0x84
	s_waitcnt vmcnt(18)
	scratch_store_dwordx4 off, v[2:5], off
	s_waitcnt vmcnt(18)
	scratch_store_dwordx4 off, v[6:9], off offset:16
	s_waitcnt vmcnt(18)
	scratch_store_dwordx4 off, v[10:13], off offset:32
	s_waitcnt vmcnt(18)
	scratch_store_dwordx4 off, v[52:55], off offset:48
	s_waitcnt vmcnt(18)
	scratch_store_dwordx4 off, v[60:63], off offset:64
	s_waitcnt vmcnt(18)
	scratch_store_dwordx4 off, v[64:67], off offset:80
	s_waitcnt vmcnt(18)
	scratch_store_dwordx4 off, v[68:71], off offset:96
	s_waitcnt vmcnt(18)
	scratch_store_dwordx4 off, v[72:75], off offset:112
	s_waitcnt vmcnt(18)
	scratch_store_dwordx4 off, v[76:79], off offset:128
	s_waitcnt vmcnt(18)
	scratch_store_dwordx4 off, v[80:83], off offset:144
	s_waitcnt vmcnt(18)
	scratch_store_dwordx4 off, v[84:87], off offset:160
	s_waitcnt vmcnt(18)
	scratch_store_dwordx4 off, v[88:91], off offset:176
	s_waitcnt vmcnt(18)
	scratch_store_dwordx4 off, v[92:95], off offset:192
	s_waitcnt vmcnt(18)
	scratch_store_dwordx4 off, v[96:99], off offset:208
	s_waitcnt vmcnt(18)
	scratch_store_dwordx4 off, v[100:103], off offset:224
	s_waitcnt vmcnt(18)
	scratch_store_dwordx4 off, v[104:107], off offset:240
	v_add_u32_e32 v10, s9, v56
	v_ashrrev_i32_e32 v11, 31, v10
	v_lshl_add_u64 v[54:55], v[10:11], 4, s[0:1]
	v_add_u32_e32 v10, s9, v10
	v_add_u32_e32 v62, s9, v10
	;; [unrolled: 1-line block ×15, first 2 shown]
	v_ashrrev_i32_e32 v63, 31, v62
	v_ashrrev_i32_e32 v65, 31, v64
	;; [unrolled: 1-line block ×15, first 2 shown]
	v_lshl_add_u64 v[60:61], v[62:63], 4, s[0:1]
	v_lshl_add_u64 v[62:63], v[64:65], 4, s[0:1]
	v_lshl_add_u64 v[64:65], v[66:67], 4, s[0:1]
	v_lshl_add_u64 v[66:67], v[68:69], 4, s[0:1]
	v_lshl_add_u64 v[68:69], v[70:71], 4, s[0:1]
	v_lshl_add_u64 v[70:71], v[72:73], 4, s[0:1]
	v_lshl_add_u64 v[72:73], v[74:75], 4, s[0:1]
	v_lshl_add_u64 v[74:75], v[76:77], 4, s[0:1]
	v_lshl_add_u64 v[76:77], v[78:79], 4, s[0:1]
	v_lshl_add_u64 v[78:79], v[80:81], 4, s[0:1]
	v_lshl_add_u64 v[80:81], v[82:83], 4, s[0:1]
	v_lshl_add_u64 v[82:83], v[84:85], 4, s[0:1]
	v_lshl_add_u64 v[84:85], v[86:87], 4, s[0:1]
	v_lshl_add_u64 v[86:87], v[88:89], 4, s[0:1]
	v_add_u32_e32 v88, s9, v88
	v_lshl_add_u64 v[52:53], v[56:57], 4, s[0:1]
	v_lshl_add_u64 v[56:57], v[10:11], 4, s[0:1]
	v_ashrrev_i32_e32 v89, 31, v88
	global_load_dwordx4 v[2:5], v[52:53], off
	global_load_dwordx4 v[6:9], v[54:55], off
	;; [unrolled: 1-line block ×16, first 2 shown]
	v_lshl_add_u64 v[88:89], v[88:89], 4, s[0:1]
	global_load_dwordx4 v[156:159], v[86:87], off
	global_load_dwordx4 v[160:163], v[88:89], off
	s_waitcnt vmcnt(36)
	scratch_store_dwordx4 off, v[108:111], off offset:256
	s_waitcnt vmcnt(36)
	scratch_store_dwordx4 off, v[112:115], off offset:272
	;; [unrolled: 2-line block ×21, first 2 shown]
	s_cbranch_scc1 .LBB36_7
; %bb.2:
	scratch_load_dwordx4 v[6:9], v58, off
                                        ; implicit-def: $vgpr10_vgpr11
	s_waitcnt vmcnt(0)
	v_xor_b32_e32 v3, 0x80000000, v7
	v_cmp_gt_f64_e32 vcc, 0, v[6:7]
	v_xor_b32_e32 v4, 0x80000000, v9
	v_mov_b32_e32 v2, v6
	v_cndmask_b32_e32 v3, v7, v3, vcc
	v_cmp_gt_f64_e32 vcc, 0, v[8:9]
	s_nop 1
	v_cndmask_b32_e32 v5, v9, v4, vcc
	v_mov_b32_e32 v4, v8
	v_cmp_ngt_f64_e32 vcc, v[2:3], v[4:5]
                                        ; implicit-def: $vgpr2_vgpr3
	s_and_saveexec_b64 s[0:1], vcc
	s_xor_b64 s[0:1], exec, s[0:1]
	s_cbranch_execz .LBB36_4
; %bb.3:
	v_div_scale_f64 v[2:3], s[2:3], v[8:9], v[8:9], v[6:7]
	v_rcp_f64_e32 v[4:5], v[2:3]
	v_div_scale_f64 v[10:11], vcc, v[6:7], v[8:9], v[6:7]
	v_fma_f64 v[12:13], -v[2:3], v[4:5], 1.0
	v_fmac_f64_e32 v[4:5], v[4:5], v[12:13]
	v_fma_f64 v[12:13], -v[2:3], v[4:5], 1.0
	v_fmac_f64_e32 v[4:5], v[4:5], v[12:13]
	v_mul_f64 v[12:13], v[10:11], v[4:5]
	v_fma_f64 v[2:3], -v[2:3], v[12:13], v[10:11]
	v_div_fmas_f64 v[2:3], v[2:3], v[4:5], v[12:13]
	v_div_fixup_f64 v[2:3], v[2:3], v[8:9], v[6:7]
	v_fmac_f64_e32 v[8:9], v[6:7], v[2:3]
	v_div_scale_f64 v[4:5], s[2:3], v[8:9], v[8:9], 1.0
	v_rcp_f64_e32 v[6:7], v[4:5]
	s_nop 0
	v_fma_f64 v[10:11], -v[4:5], v[6:7], 1.0
	v_fmac_f64_e32 v[6:7], v[6:7], v[10:11]
	v_fma_f64 v[10:11], -v[4:5], v[6:7], 1.0
	v_fmac_f64_e32 v[6:7], v[6:7], v[10:11]
	v_div_scale_f64 v[10:11], vcc, 1.0, v[8:9], 1.0
	v_mul_f64 v[12:13], v[10:11], v[6:7]
	v_fma_f64 v[4:5], -v[4:5], v[12:13], v[10:11]
	s_nop 1
	v_div_fmas_f64 v[4:5], v[4:5], v[6:7], v[12:13]
	v_div_fixup_f64 v[4:5], v[4:5], v[8:9], 1.0
	v_mul_f64 v[2:3], v[2:3], v[4:5]
	v_xor_b32_e32 v5, 0x80000000, v5
	v_xor_b32_e32 v11, 0x80000000, v3
	v_mov_b32_e32 v10, v2
                                        ; implicit-def: $vgpr6_vgpr7
.LBB36_4:
	s_or_saveexec_b64 s[0:1], s[0:1]
	v_add_u32_e32 v12, 0, v58
	s_xor_b64 exec, exec, s[0:1]
	s_cbranch_execz .LBB36_6
; %bb.5:
	v_div_scale_f64 v[2:3], s[2:3], v[6:7], v[6:7], v[8:9]
	v_rcp_f64_e32 v[4:5], v[2:3]
	v_div_scale_f64 v[10:11], vcc, v[8:9], v[6:7], v[8:9]
	v_fma_f64 v[90:91], -v[2:3], v[4:5], 1.0
	v_fmac_f64_e32 v[4:5], v[4:5], v[90:91]
	v_fma_f64 v[90:91], -v[2:3], v[4:5], 1.0
	v_fmac_f64_e32 v[4:5], v[4:5], v[90:91]
	v_mul_f64 v[90:91], v[10:11], v[4:5]
	v_fma_f64 v[2:3], -v[2:3], v[90:91], v[10:11]
	v_div_fmas_f64 v[2:3], v[2:3], v[4:5], v[90:91]
	v_div_fixup_f64 v[4:5], v[2:3], v[6:7], v[8:9]
	v_fmac_f64_e32 v[6:7], v[8:9], v[4:5]
	v_div_scale_f64 v[2:3], s[2:3], v[6:7], v[6:7], 1.0
	v_rcp_f64_e32 v[8:9], v[2:3]
	s_nop 0
	v_fma_f64 v[10:11], -v[2:3], v[8:9], 1.0
	v_fmac_f64_e32 v[8:9], v[8:9], v[10:11]
	v_fma_f64 v[10:11], -v[2:3], v[8:9], 1.0
	v_fmac_f64_e32 v[8:9], v[8:9], v[10:11]
	v_div_scale_f64 v[10:11], vcc, 1.0, v[6:7], 1.0
	v_mul_f64 v[90:91], v[10:11], v[8:9]
	v_fma_f64 v[2:3], -v[2:3], v[90:91], v[10:11]
	s_nop 1
	v_div_fmas_f64 v[2:3], v[2:3], v[8:9], v[90:91]
	v_div_fixup_f64 v[2:3], v[2:3], v[6:7], 1.0
	v_xor_b32_e32 v11, 0x80000000, v3
	v_mov_b32_e32 v10, v2
	v_mul_f64 v[4:5], v[4:5], -v[2:3]
.LBB36_6:
	s_or_b64 exec, exec, s[0:1]
	scratch_store_dwordx4 v12, v[2:5], off
	s_nop 1
	v_xor_b32_e32 v5, 0x80000000, v5
	s_branch .LBB36_8
.LBB36_7:
	v_mov_b64_e32 v[4:5], 0
	v_mov_b64_e32 v[10:11], -1.0
.LBB36_8:
	v_mov_b32_e32 v12, v4
	v_mov_b32_e32 v13, v5
	v_add_u32_e32 v119, 16, v1
	v_add_u32_e32 v121, 32, v1
	;; [unrolled: 1-line block ×36, first 2 shown]
	ds_write_b128 v58, v[10:13]
	s_cmpk_eq_i32 s4, 0x79
	v_add_u32_e32 v11, 0x250, v58
	v_add_u32_e32 v10, 0, v58
	s_cbranch_scc1 .LBB36_292
; %bb.9:
	scratch_load_dwordx4 v[2:5], v8, off
	v_cmp_eq_u32_e64 s[0:1], 36, v0
	s_waitcnt vmcnt(0)
	ds_write_b128 v11, v[2:5]
	s_waitcnt lgkmcnt(0)
	; wave barrier
	s_waitcnt lgkmcnt(0)
	s_and_saveexec_b64 s[2:3], s[0:1]
	s_cbranch_execz .LBB36_13
; %bb.10:
	ds_read_b128 v[2:5], v11
	s_andn2_b64 vcc, exec, s[6:7]
	s_cbranch_vccnz .LBB36_12
; %bb.11:
	scratch_load_dwordx4 v[122:125], v10, off
	s_waitcnt vmcnt(0) lgkmcnt(0)
	v_mul_f64 v[12:13], v[2:3], v[124:125]
	v_mul_f64 v[6:7], v[4:5], v[124:125]
	v_fmac_f64_e32 v[12:13], v[4:5], v[122:123]
	v_fma_f64 v[2:3], v[2:3], v[122:123], -v[6:7]
	v_mov_b64_e32 v[4:5], v[12:13]
.LBB36_12:
	v_mov_b32_e32 v6, 0
	ds_read_b128 v[122:125], v6 offset:560
	s_waitcnt lgkmcnt(0)
	v_mul_f64 v[6:7], v[4:5], v[124:125]
	v_mul_f64 v[126:127], v[2:3], v[124:125]
	v_fma_f64 v[124:125], v[2:3], v[122:123], -v[6:7]
	v_fmac_f64_e32 v[126:127], v[4:5], v[122:123]
	scratch_store_dwordx4 off, v[124:127], off offset:560
.LBB36_13:
	s_or_b64 exec, exec, s[2:3]
	scratch_load_dwordx4 v[2:5], v9, off
	v_cmp_lt_u32_e64 s[2:3], 34, v0
	s_waitcnt vmcnt(0)
	ds_write_b128 v11, v[2:5]
	s_waitcnt lgkmcnt(0)
	; wave barrier
	s_waitcnt lgkmcnt(0)
	s_and_saveexec_b64 s[4:5], s[2:3]
	s_cbranch_execz .LBB36_19
; %bb.14:
	ds_read_b128 v[2:5], v11
	s_andn2_b64 vcc, exec, s[6:7]
	s_cbranch_vccnz .LBB36_16
; %bb.15:
	scratch_load_dwordx4 v[122:125], v10, off
	s_waitcnt vmcnt(0) lgkmcnt(0)
	v_mul_f64 v[12:13], v[2:3], v[124:125]
	v_mul_f64 v[6:7], v[4:5], v[124:125]
	v_fmac_f64_e32 v[12:13], v[4:5], v[122:123]
	v_fma_f64 v[2:3], v[2:3], v[122:123], -v[6:7]
	v_mov_b64_e32 v[4:5], v[12:13]
.LBB36_16:
	s_and_saveexec_b64 s[8:9], s[0:1]
	s_cbranch_execz .LBB36_18
; %bb.17:
	scratch_load_dwordx4 v[122:125], off, off offset:560
	v_mov_b32_e32 v6, 0
	ds_read_b128 v[126:129], v6 offset:1152
	s_waitcnt vmcnt(0) lgkmcnt(0)
	v_mul_f64 v[6:7], v[126:127], v[124:125]
	v_mul_f64 v[12:13], v[128:129], v[124:125]
	v_fmac_f64_e32 v[6:7], v[128:129], v[122:123]
	v_fma_f64 v[12:13], v[126:127], v[122:123], -v[12:13]
	v_add_f64 v[4:5], v[4:5], v[6:7]
	v_add_f64 v[2:3], v[2:3], v[12:13]
.LBB36_18:
	s_or_b64 exec, exec, s[8:9]
	v_mov_b32_e32 v6, 0
	ds_read_b128 v[122:125], v6 offset:544
	s_waitcnt lgkmcnt(0)
	v_mul_f64 v[6:7], v[4:5], v[124:125]
	v_mul_f64 v[126:127], v[2:3], v[124:125]
	v_fma_f64 v[124:125], v[2:3], v[122:123], -v[6:7]
	v_fmac_f64_e32 v[126:127], v[4:5], v[122:123]
	scratch_store_dwordx4 off, v[124:127], off offset:544
.LBB36_19:
	s_or_b64 exec, exec, s[4:5]
	scratch_load_dwordx4 v[2:5], v59, off
	v_cmp_lt_u32_e64 s[0:1], 33, v0
	s_waitcnt vmcnt(0)
	ds_write_b128 v11, v[2:5]
	s_waitcnt lgkmcnt(0)
	; wave barrier
	s_waitcnt lgkmcnt(0)
	s_and_saveexec_b64 s[4:5], s[0:1]
	s_cbranch_execz .LBB36_27
; %bb.20:
	ds_read_b128 v[2:5], v11
	s_andn2_b64 vcc, exec, s[6:7]
	s_cbranch_vccnz .LBB36_22
; %bb.21:
	scratch_load_dwordx4 v[122:125], v10, off
	s_waitcnt vmcnt(0) lgkmcnt(0)
	v_mul_f64 v[12:13], v[2:3], v[124:125]
	v_mul_f64 v[6:7], v[4:5], v[124:125]
	v_fmac_f64_e32 v[12:13], v[4:5], v[122:123]
	v_fma_f64 v[2:3], v[2:3], v[122:123], -v[6:7]
	v_mov_b64_e32 v[4:5], v[12:13]
.LBB36_22:
	s_and_saveexec_b64 s[8:9], s[2:3]
	s_cbranch_execz .LBB36_26
; %bb.23:
	v_mov_b32_e32 v7, 0
	v_subrev_u32_e32 v6, 34, v0
	v_add_u32_e32 v7, 0x228, v7
	s_movk_i32 s10, 0x470
	s_mov_b64 s[2:3], 0
.LBB36_24:                              ; =>This Inner Loop Header: Depth=1
	v_add_u32_e32 v12, -8, v7
	scratch_load_dwordx4 v[122:125], v12, off
	v_mov_b32_e32 v12, s10
	ds_read_b128 v[126:129], v12
	v_add_u32_e32 v6, -1, v6
	s_add_i32 s10, s10, 16
	v_cmp_eq_u32_e32 vcc, 0, v6
	v_add_u32_e32 v7, 16, v7
	s_or_b64 s[2:3], vcc, s[2:3]
	s_waitcnt vmcnt(0) lgkmcnt(0)
	v_mul_f64 v[12:13], v[128:129], v[124:125]
	v_mul_f64 v[124:125], v[126:127], v[124:125]
	v_fma_f64 v[12:13], v[126:127], v[122:123], -v[12:13]
	v_fmac_f64_e32 v[124:125], v[128:129], v[122:123]
	v_add_f64 v[2:3], v[2:3], v[12:13]
	v_add_f64 v[4:5], v[4:5], v[124:125]
	s_andn2_b64 exec, exec, s[2:3]
	s_cbranch_execnz .LBB36_24
; %bb.25:
	s_or_b64 exec, exec, s[2:3]
.LBB36_26:
	s_or_b64 exec, exec, s[8:9]
	v_mov_b32_e32 v6, 0
	ds_read_b128 v[122:125], v6 offset:528
	s_waitcnt lgkmcnt(0)
	v_mul_f64 v[6:7], v[4:5], v[124:125]
	v_mul_f64 v[126:127], v[2:3], v[124:125]
	v_fma_f64 v[124:125], v[2:3], v[122:123], -v[6:7]
	v_fmac_f64_e32 v[126:127], v[4:5], v[122:123]
	scratch_store_dwordx4 off, v[124:127], off offset:528
.LBB36_27:
	s_or_b64 exec, exec, s[4:5]
	scratch_load_dwordx4 v[2:5], v90, off
	v_cmp_lt_u32_e64 s[2:3], 32, v0
	s_waitcnt vmcnt(0)
	ds_write_b128 v11, v[2:5]
	s_waitcnt lgkmcnt(0)
	; wave barrier
	s_waitcnt lgkmcnt(0)
	s_and_saveexec_b64 s[4:5], s[2:3]
	s_cbranch_execz .LBB36_35
; %bb.28:
	ds_read_b128 v[2:5], v11
	s_andn2_b64 vcc, exec, s[6:7]
	s_cbranch_vccnz .LBB36_30
; %bb.29:
	scratch_load_dwordx4 v[122:125], v10, off
	s_waitcnt vmcnt(0) lgkmcnt(0)
	v_mul_f64 v[12:13], v[2:3], v[124:125]
	v_mul_f64 v[6:7], v[4:5], v[124:125]
	v_fmac_f64_e32 v[12:13], v[4:5], v[122:123]
	v_fma_f64 v[2:3], v[2:3], v[122:123], -v[6:7]
	v_mov_b64_e32 v[4:5], v[12:13]
.LBB36_30:
	s_and_saveexec_b64 s[8:9], s[0:1]
	s_cbranch_execz .LBB36_34
; %bb.31:
	v_mov_b32_e32 v7, 0
	v_subrev_u32_e32 v6, 33, v0
	v_add_u32_e32 v7, 0x218, v7
	s_movk_i32 s10, 0x460
	s_mov_b64 s[0:1], 0
.LBB36_32:                              ; =>This Inner Loop Header: Depth=1
	v_add_u32_e32 v12, -8, v7
	scratch_load_dwordx4 v[122:125], v12, off
	v_mov_b32_e32 v12, s10
	ds_read_b128 v[126:129], v12
	v_add_u32_e32 v6, -1, v6
	s_add_i32 s10, s10, 16
	v_cmp_eq_u32_e32 vcc, 0, v6
	v_add_u32_e32 v7, 16, v7
	s_or_b64 s[0:1], vcc, s[0:1]
	s_waitcnt vmcnt(0) lgkmcnt(0)
	v_mul_f64 v[12:13], v[128:129], v[124:125]
	v_mul_f64 v[124:125], v[126:127], v[124:125]
	v_fma_f64 v[12:13], v[126:127], v[122:123], -v[12:13]
	v_fmac_f64_e32 v[124:125], v[128:129], v[122:123]
	v_add_f64 v[2:3], v[2:3], v[12:13]
	v_add_f64 v[4:5], v[4:5], v[124:125]
	s_andn2_b64 exec, exec, s[0:1]
	s_cbranch_execnz .LBB36_32
; %bb.33:
	s_or_b64 exec, exec, s[0:1]
.LBB36_34:
	s_or_b64 exec, exec, s[8:9]
	v_mov_b32_e32 v6, 0
	ds_read_b128 v[122:125], v6 offset:512
	s_waitcnt lgkmcnt(0)
	v_mul_f64 v[6:7], v[4:5], v[124:125]
	v_mul_f64 v[126:127], v[2:3], v[124:125]
	v_fma_f64 v[124:125], v[2:3], v[122:123], -v[6:7]
	v_fmac_f64_e32 v[126:127], v[4:5], v[122:123]
	scratch_store_dwordx4 off, v[124:127], off offset:512
.LBB36_35:
	;; [unrolled: 63-line block ×10, first 2 shown]
	s_or_b64 exec, exec, s[4:5]
	scratch_load_dwordx4 v[2:5], v99, off
	v_cmp_lt_u32_e64 s[0:1], 23, v0
	s_waitcnt vmcnt(0)
	ds_write_b128 v11, v[2:5]
	s_waitcnt lgkmcnt(0)
	; wave barrier
	s_waitcnt lgkmcnt(0)
	s_and_saveexec_b64 s[4:5], s[0:1]
	s_cbranch_execz .LBB36_107
; %bb.100:
	ds_read_b128 v[2:5], v11
	s_andn2_b64 vcc, exec, s[6:7]
	s_cbranch_vccnz .LBB36_102
; %bb.101:
	scratch_load_dwordx4 v[122:125], v10, off
	s_waitcnt vmcnt(0) lgkmcnt(0)
	v_mul_f64 v[12:13], v[2:3], v[124:125]
	v_mul_f64 v[6:7], v[4:5], v[124:125]
	v_fmac_f64_e32 v[12:13], v[4:5], v[122:123]
	v_fma_f64 v[2:3], v[2:3], v[122:123], -v[6:7]
	v_mov_b64_e32 v[4:5], v[12:13]
.LBB36_102:
	s_and_saveexec_b64 s[8:9], s[2:3]
	s_cbranch_execz .LBB36_106
; %bb.103:
	v_mov_b32_e32 v7, 0
	v_subrev_u32_e32 v6, 24, v0
	v_add_u32_e32 v7, 0x188, v7
	s_movk_i32 s10, 0x3d0
	s_mov_b64 s[2:3], 0
.LBB36_104:                             ; =>This Inner Loop Header: Depth=1
	v_add_u32_e32 v12, -8, v7
	scratch_load_dwordx4 v[122:125], v12, off
	v_mov_b32_e32 v12, s10
	ds_read_b128 v[126:129], v12
	v_add_u32_e32 v6, -1, v6
	s_add_i32 s10, s10, 16
	v_cmp_eq_u32_e32 vcc, 0, v6
	v_add_u32_e32 v7, 16, v7
	s_or_b64 s[2:3], vcc, s[2:3]
	s_waitcnt vmcnt(0) lgkmcnt(0)
	v_mul_f64 v[12:13], v[128:129], v[124:125]
	v_mul_f64 v[124:125], v[126:127], v[124:125]
	v_fma_f64 v[12:13], v[126:127], v[122:123], -v[12:13]
	v_fmac_f64_e32 v[124:125], v[128:129], v[122:123]
	v_add_f64 v[2:3], v[2:3], v[12:13]
	v_add_f64 v[4:5], v[4:5], v[124:125]
	s_andn2_b64 exec, exec, s[2:3]
	s_cbranch_execnz .LBB36_104
; %bb.105:
	s_or_b64 exec, exec, s[2:3]
.LBB36_106:
	s_or_b64 exec, exec, s[8:9]
	v_mov_b32_e32 v6, 0
	ds_read_b128 v[122:125], v6 offset:368
	s_waitcnt lgkmcnt(0)
	v_mul_f64 v[6:7], v[4:5], v[124:125]
	v_mul_f64 v[126:127], v[2:3], v[124:125]
	v_fma_f64 v[124:125], v[2:3], v[122:123], -v[6:7]
	v_fmac_f64_e32 v[126:127], v[4:5], v[122:123]
	scratch_store_dwordx4 off, v[124:127], off offset:368
.LBB36_107:
	s_or_b64 exec, exec, s[4:5]
	scratch_load_dwordx4 v[2:5], v100, off
	v_cmp_lt_u32_e64 s[2:3], 22, v0
	s_waitcnt vmcnt(0)
	ds_write_b128 v11, v[2:5]
	s_waitcnt lgkmcnt(0)
	; wave barrier
	s_waitcnt lgkmcnt(0)
	s_and_saveexec_b64 s[4:5], s[2:3]
	s_cbranch_execz .LBB36_115
; %bb.108:
	ds_read_b128 v[2:5], v11
	s_andn2_b64 vcc, exec, s[6:7]
	s_cbranch_vccnz .LBB36_110
; %bb.109:
	scratch_load_dwordx4 v[122:125], v10, off
	s_waitcnt vmcnt(0) lgkmcnt(0)
	v_mul_f64 v[12:13], v[2:3], v[124:125]
	v_mul_f64 v[6:7], v[4:5], v[124:125]
	v_fmac_f64_e32 v[12:13], v[4:5], v[122:123]
	v_fma_f64 v[2:3], v[2:3], v[122:123], -v[6:7]
	v_mov_b64_e32 v[4:5], v[12:13]
.LBB36_110:
	s_and_saveexec_b64 s[8:9], s[0:1]
	s_cbranch_execz .LBB36_114
; %bb.111:
	v_mov_b32_e32 v7, 0
	v_subrev_u32_e32 v6, 23, v0
	v_add_u32_e32 v7, 0x178, v7
	s_movk_i32 s10, 0x3c0
	s_mov_b64 s[0:1], 0
.LBB36_112:                             ; =>This Inner Loop Header: Depth=1
	v_add_u32_e32 v12, -8, v7
	scratch_load_dwordx4 v[122:125], v12, off
	v_mov_b32_e32 v12, s10
	ds_read_b128 v[126:129], v12
	v_add_u32_e32 v6, -1, v6
	s_add_i32 s10, s10, 16
	v_cmp_eq_u32_e32 vcc, 0, v6
	v_add_u32_e32 v7, 16, v7
	s_or_b64 s[0:1], vcc, s[0:1]
	s_waitcnt vmcnt(0) lgkmcnt(0)
	v_mul_f64 v[12:13], v[128:129], v[124:125]
	v_mul_f64 v[124:125], v[126:127], v[124:125]
	v_fma_f64 v[12:13], v[126:127], v[122:123], -v[12:13]
	v_fmac_f64_e32 v[124:125], v[128:129], v[122:123]
	v_add_f64 v[2:3], v[2:3], v[12:13]
	v_add_f64 v[4:5], v[4:5], v[124:125]
	s_andn2_b64 exec, exec, s[0:1]
	s_cbranch_execnz .LBB36_112
; %bb.113:
	s_or_b64 exec, exec, s[0:1]
.LBB36_114:
	s_or_b64 exec, exec, s[8:9]
	v_mov_b32_e32 v6, 0
	ds_read_b128 v[122:125], v6 offset:352
	s_waitcnt lgkmcnt(0)
	v_mul_f64 v[6:7], v[4:5], v[124:125]
	v_mul_f64 v[126:127], v[2:3], v[124:125]
	v_fma_f64 v[124:125], v[2:3], v[122:123], -v[6:7]
	v_fmac_f64_e32 v[126:127], v[4:5], v[122:123]
	scratch_store_dwordx4 off, v[124:127], off offset:352
.LBB36_115:
	;; [unrolled: 63-line block ×8, first 2 shown]
	s_or_b64 exec, exec, s[4:5]
	scratch_load_dwordx4 v[2:5], v107, off
	v_cmp_lt_u32_e64 s[0:1], 15, v0
	s_waitcnt vmcnt(0)
	ds_write_b128 v11, v[2:5]
	s_waitcnt lgkmcnt(0)
	; wave barrier
	s_waitcnt lgkmcnt(0)
	s_and_saveexec_b64 s[4:5], s[0:1]
	s_cbranch_execz .LBB36_171
; %bb.164:
	ds_read_b128 v[2:5], v11
	s_andn2_b64 vcc, exec, s[6:7]
	s_cbranch_vccnz .LBB36_166
; %bb.165:
	scratch_load_dwordx4 v[122:125], v10, off
	s_waitcnt vmcnt(0) lgkmcnt(0)
	v_mul_f64 v[12:13], v[2:3], v[124:125]
	v_mul_f64 v[6:7], v[4:5], v[124:125]
	v_fmac_f64_e32 v[12:13], v[4:5], v[122:123]
	v_fma_f64 v[2:3], v[2:3], v[122:123], -v[6:7]
	v_mov_b64_e32 v[4:5], v[12:13]
.LBB36_166:
	s_and_saveexec_b64 s[8:9], s[2:3]
	s_cbranch_execz .LBB36_170
; %bb.167:
	v_mov_b32_e32 v7, 0
	v_add_u32_e32 v6, -16, v0
	v_add_u32_e32 v7, 0x108, v7
	s_movk_i32 s10, 0x350
	s_mov_b64 s[2:3], 0
.LBB36_168:                             ; =>This Inner Loop Header: Depth=1
	v_add_u32_e32 v12, -8, v7
	scratch_load_dwordx4 v[122:125], v12, off
	v_mov_b32_e32 v12, s10
	ds_read_b128 v[126:129], v12
	v_add_u32_e32 v6, -1, v6
	s_add_i32 s10, s10, 16
	v_cmp_eq_u32_e32 vcc, 0, v6
	v_add_u32_e32 v7, 16, v7
	s_or_b64 s[2:3], vcc, s[2:3]
	s_waitcnt vmcnt(0) lgkmcnt(0)
	v_mul_f64 v[12:13], v[128:129], v[124:125]
	v_mul_f64 v[124:125], v[126:127], v[124:125]
	v_fma_f64 v[12:13], v[126:127], v[122:123], -v[12:13]
	v_fmac_f64_e32 v[124:125], v[128:129], v[122:123]
	v_add_f64 v[2:3], v[2:3], v[12:13]
	v_add_f64 v[4:5], v[4:5], v[124:125]
	s_andn2_b64 exec, exec, s[2:3]
	s_cbranch_execnz .LBB36_168
; %bb.169:
	s_or_b64 exec, exec, s[2:3]
.LBB36_170:
	s_or_b64 exec, exec, s[8:9]
	v_mov_b32_e32 v6, 0
	ds_read_b128 v[122:125], v6 offset:240
	s_waitcnt lgkmcnt(0)
	v_mul_f64 v[6:7], v[4:5], v[124:125]
	v_mul_f64 v[126:127], v[2:3], v[124:125]
	v_fma_f64 v[124:125], v[2:3], v[122:123], -v[6:7]
	v_fmac_f64_e32 v[126:127], v[4:5], v[122:123]
	scratch_store_dwordx4 off, v[124:127], off offset:240
.LBB36_171:
	s_or_b64 exec, exec, s[4:5]
	scratch_load_dwordx4 v[2:5], v108, off
	v_cmp_lt_u32_e64 s[2:3], 14, v0
	s_waitcnt vmcnt(0)
	ds_write_b128 v11, v[2:5]
	s_waitcnt lgkmcnt(0)
	; wave barrier
	s_waitcnt lgkmcnt(0)
	s_and_saveexec_b64 s[4:5], s[2:3]
	s_cbranch_execz .LBB36_179
; %bb.172:
	ds_read_b128 v[2:5], v11
	s_andn2_b64 vcc, exec, s[6:7]
	s_cbranch_vccnz .LBB36_174
; %bb.173:
	scratch_load_dwordx4 v[122:125], v10, off
	s_waitcnt vmcnt(0) lgkmcnt(0)
	v_mul_f64 v[12:13], v[2:3], v[124:125]
	v_mul_f64 v[6:7], v[4:5], v[124:125]
	v_fmac_f64_e32 v[12:13], v[4:5], v[122:123]
	v_fma_f64 v[2:3], v[2:3], v[122:123], -v[6:7]
	v_mov_b64_e32 v[4:5], v[12:13]
.LBB36_174:
	s_and_saveexec_b64 s[8:9], s[0:1]
	s_cbranch_execz .LBB36_178
; %bb.175:
	v_mov_b32_e32 v7, 0
	v_add_u32_e32 v6, -15, v0
	v_add_u32_e32 v7, 0xf8, v7
	s_movk_i32 s10, 0x340
	s_mov_b64 s[0:1], 0
.LBB36_176:                             ; =>This Inner Loop Header: Depth=1
	v_add_u32_e32 v12, -8, v7
	scratch_load_dwordx4 v[122:125], v12, off
	v_mov_b32_e32 v12, s10
	ds_read_b128 v[126:129], v12
	v_add_u32_e32 v6, -1, v6
	s_add_i32 s10, s10, 16
	v_cmp_eq_u32_e32 vcc, 0, v6
	v_add_u32_e32 v7, 16, v7
	s_or_b64 s[0:1], vcc, s[0:1]
	s_waitcnt vmcnt(0) lgkmcnt(0)
	v_mul_f64 v[12:13], v[128:129], v[124:125]
	v_mul_f64 v[124:125], v[126:127], v[124:125]
	v_fma_f64 v[12:13], v[126:127], v[122:123], -v[12:13]
	v_fmac_f64_e32 v[124:125], v[128:129], v[122:123]
	v_add_f64 v[2:3], v[2:3], v[12:13]
	v_add_f64 v[4:5], v[4:5], v[124:125]
	s_andn2_b64 exec, exec, s[0:1]
	s_cbranch_execnz .LBB36_176
; %bb.177:
	s_or_b64 exec, exec, s[0:1]
.LBB36_178:
	s_or_b64 exec, exec, s[8:9]
	v_mov_b32_e32 v6, 0
	ds_read_b128 v[122:125], v6 offset:224
	s_waitcnt lgkmcnt(0)
	v_mul_f64 v[6:7], v[4:5], v[124:125]
	v_mul_f64 v[126:127], v[2:3], v[124:125]
	v_fma_f64 v[124:125], v[2:3], v[122:123], -v[6:7]
	v_fmac_f64_e32 v[126:127], v[4:5], v[122:123]
	scratch_store_dwordx4 off, v[124:127], off offset:224
.LBB36_179:
	;; [unrolled: 63-line block ×15, first 2 shown]
	s_or_b64 exec, exec, s[4:5]
	scratch_load_dwordx4 v[2:5], off, off
	v_cmp_ne_u32_e32 vcc, 0, v0
	s_mov_b64 s[2:3], 0
	s_mov_b64 s[4:5], 0
                                        ; implicit-def: $vgpr6_vgpr7
                                        ; implicit-def: $vgpr12
	s_waitcnt vmcnt(0)
	ds_write_b128 v11, v[2:5]
	s_waitcnt lgkmcnt(0)
	; wave barrier
	s_waitcnt lgkmcnt(0)
	s_and_saveexec_b64 s[8:9], vcc
	s_cbranch_execz .LBB36_291
; %bb.284:
	ds_read_b128 v[2:5], v11
	s_andn2_b64 vcc, exec, s[6:7]
	s_cbranch_vccnz .LBB36_286
; %bb.285:
	scratch_load_dwordx4 v[122:125], v10, off
	s_waitcnt vmcnt(0) lgkmcnt(0)
	v_mul_f64 v[12:13], v[2:3], v[124:125]
	v_mul_f64 v[6:7], v[4:5], v[124:125]
	v_fmac_f64_e32 v[12:13], v[4:5], v[122:123]
	v_fma_f64 v[2:3], v[2:3], v[122:123], -v[6:7]
	v_mov_b64_e32 v[4:5], v[12:13]
.LBB36_286:
	s_and_saveexec_b64 s[4:5], s[0:1]
	s_cbranch_execz .LBB36_290
; %bb.287:
	v_mov_b32_e32 v7, 0
	v_add_u32_e32 v6, -1, v0
	v_add_u32_e32 v7, 24, v7
	s_movk_i32 s10, 0x260
	s_mov_b64 s[0:1], 0
.LBB36_288:                             ; =>This Inner Loop Header: Depth=1
	v_add_u32_e32 v12, -8, v7
	scratch_load_dwordx4 v[122:125], v12, off
	v_mov_b32_e32 v12, s10
	ds_read_b128 v[126:129], v12
	v_add_u32_e32 v6, -1, v6
	s_add_i32 s10, s10, 16
	v_cmp_eq_u32_e32 vcc, 0, v6
	v_add_u32_e32 v7, 16, v7
	s_or_b64 s[0:1], vcc, s[0:1]
	s_waitcnt vmcnt(0) lgkmcnt(0)
	v_mul_f64 v[12:13], v[128:129], v[124:125]
	v_mul_f64 v[124:125], v[126:127], v[124:125]
	v_fma_f64 v[12:13], v[126:127], v[122:123], -v[12:13]
	v_fmac_f64_e32 v[124:125], v[128:129], v[122:123]
	v_add_f64 v[2:3], v[2:3], v[12:13]
	v_add_f64 v[4:5], v[4:5], v[124:125]
	s_andn2_b64 exec, exec, s[0:1]
	s_cbranch_execnz .LBB36_288
; %bb.289:
	s_or_b64 exec, exec, s[0:1]
.LBB36_290:
	s_or_b64 exec, exec, s[4:5]
	v_mov_b32_e32 v6, 0
	ds_read_b128 v[122:125], v6
	v_mov_b32_e32 v6, 0
	v_or_b32_e32 v12, 8, v6
	s_mov_b64 s[4:5], exec
	s_waitcnt lgkmcnt(0)
	v_mul_f64 v[126:127], v[4:5], v[124:125]
	v_mul_f64 v[6:7], v[2:3], v[124:125]
	v_fma_f64 v[2:3], v[2:3], v[122:123], -v[126:127]
	v_fmac_f64_e32 v[6:7], v[4:5], v[122:123]
	scratch_store_dwordx2 off, v[2:3], off
.LBB36_291:
	s_or_b64 exec, exec, s[8:9]
	s_and_b64 vcc, exec, s[2:3]
	s_cbranch_vccnz .LBB36_293
	s_branch .LBB36_576
.LBB36_292:
	s_mov_b64 s[4:5], 0
                                        ; implicit-def: $vgpr6_vgpr7
                                        ; implicit-def: $vgpr12
	s_cbranch_execz .LBB36_576
.LBB36_293:
	scratch_load_dwordx4 v[2:5], v119, off
	v_cndmask_b32_e64 v6, 0, 1, s[6:7]
	v_cmp_eq_u32_e64 s[2:3], 0, v0
	v_cmp_ne_u32_e64 s[0:1], 1, v6
	s_waitcnt vmcnt(0)
	ds_write_b128 v11, v[2:5]
	s_waitcnt lgkmcnt(0)
	; wave barrier
	s_waitcnt lgkmcnt(0)
	s_and_saveexec_b64 s[6:7], s[2:3]
	s_cbranch_execz .LBB36_297
; %bb.294:
	ds_read_b128 v[2:5], v11
	s_and_b64 vcc, exec, s[0:1]
	s_cbranch_vccnz .LBB36_296
; %bb.295:
	scratch_load_dwordx4 v[122:125], v10, off
	s_waitcnt vmcnt(0) lgkmcnt(0)
	v_mul_f64 v[12:13], v[2:3], v[124:125]
	v_mul_f64 v[6:7], v[4:5], v[124:125]
	v_fmac_f64_e32 v[12:13], v[4:5], v[122:123]
	v_fma_f64 v[2:3], v[2:3], v[122:123], -v[6:7]
	v_mov_b64_e32 v[4:5], v[12:13]
.LBB36_296:
	v_mov_b32_e32 v6, 0
	ds_read_b128 v[122:125], v6 offset:16
	s_waitcnt lgkmcnt(0)
	v_mul_f64 v[6:7], v[4:5], v[124:125]
	v_mul_f64 v[126:127], v[2:3], v[124:125]
	v_fma_f64 v[124:125], v[2:3], v[122:123], -v[6:7]
	v_fmac_f64_e32 v[126:127], v[4:5], v[122:123]
	scratch_store_dwordx4 off, v[124:127], off offset:16
.LBB36_297:
	s_or_b64 exec, exec, s[6:7]
	scratch_load_dwordx4 v[2:5], v121, off
	v_cmp_gt_u32_e32 vcc, 2, v0
	s_waitcnt vmcnt(0)
	ds_write_b128 v11, v[2:5]
	s_waitcnt lgkmcnt(0)
	; wave barrier
	s_waitcnt lgkmcnt(0)
	s_and_saveexec_b64 s[6:7], vcc
	s_cbranch_execz .LBB36_303
; %bb.298:
	ds_read_b128 v[2:5], v11
	s_and_b64 vcc, exec, s[0:1]
	s_cbranch_vccnz .LBB36_300
; %bb.299:
	scratch_load_dwordx4 v[122:125], v10, off
	s_waitcnt vmcnt(0) lgkmcnt(0)
	v_mul_f64 v[12:13], v[2:3], v[124:125]
	v_mul_f64 v[6:7], v[4:5], v[124:125]
	v_fmac_f64_e32 v[12:13], v[4:5], v[122:123]
	v_fma_f64 v[2:3], v[2:3], v[122:123], -v[6:7]
	v_mov_b64_e32 v[4:5], v[12:13]
.LBB36_300:
	s_and_saveexec_b64 s[8:9], s[2:3]
	s_cbranch_execz .LBB36_302
; %bb.301:
	scratch_load_dwordx4 v[122:125], v10, off offset:16
	ds_read_b128 v[126:129], v11 offset:16
	s_waitcnt vmcnt(0) lgkmcnt(0)
	v_mul_f64 v[6:7], v[128:129], v[124:125]
	v_mul_f64 v[12:13], v[126:127], v[124:125]
	v_fma_f64 v[6:7], v[126:127], v[122:123], -v[6:7]
	v_fmac_f64_e32 v[12:13], v[128:129], v[122:123]
	v_add_f64 v[2:3], v[2:3], v[6:7]
	v_add_f64 v[4:5], v[4:5], v[12:13]
.LBB36_302:
	s_or_b64 exec, exec, s[8:9]
	v_mov_b32_e32 v6, 0
	ds_read_b128 v[122:125], v6 offset:32
	s_waitcnt lgkmcnt(0)
	v_mul_f64 v[6:7], v[4:5], v[124:125]
	v_mul_f64 v[126:127], v[2:3], v[124:125]
	v_fma_f64 v[124:125], v[2:3], v[122:123], -v[6:7]
	v_fmac_f64_e32 v[126:127], v[4:5], v[122:123]
	scratch_store_dwordx4 off, v[124:127], off offset:32
.LBB36_303:
	s_or_b64 exec, exec, s[6:7]
	scratch_load_dwordx4 v[2:5], v120, off
	v_cmp_gt_u32_e32 vcc, 3, v0
	s_waitcnt vmcnt(0)
	ds_write_b128 v11, v[2:5]
	s_waitcnt lgkmcnt(0)
	; wave barrier
	s_waitcnt lgkmcnt(0)
	s_and_saveexec_b64 s[6:7], vcc
	s_cbranch_execz .LBB36_311
; %bb.304:
	ds_read_b128 v[2:5], v11
	s_and_b64 vcc, exec, s[0:1]
	s_cbranch_vccnz .LBB36_306
; %bb.305:
	scratch_load_dwordx4 v[122:125], v10, off
	s_waitcnt vmcnt(0) lgkmcnt(0)
	v_mul_f64 v[12:13], v[2:3], v[124:125]
	v_mul_f64 v[6:7], v[4:5], v[124:125]
	v_fmac_f64_e32 v[12:13], v[4:5], v[122:123]
	v_fma_f64 v[2:3], v[2:3], v[122:123], -v[6:7]
	v_mov_b64_e32 v[4:5], v[12:13]
.LBB36_306:
	v_cmp_ne_u32_e32 vcc, 2, v0
	s_and_saveexec_b64 s[8:9], vcc
	s_cbranch_execz .LBB36_310
; %bb.307:
	scratch_load_dwordx4 v[122:125], v10, off offset:16
	ds_read_b128 v[126:129], v11 offset:16
	s_waitcnt vmcnt(0) lgkmcnt(0)
	v_mul_f64 v[6:7], v[128:129], v[124:125]
	v_mul_f64 v[12:13], v[126:127], v[124:125]
	v_fma_f64 v[6:7], v[126:127], v[122:123], -v[6:7]
	v_fmac_f64_e32 v[12:13], v[128:129], v[122:123]
	v_add_f64 v[2:3], v[2:3], v[6:7]
	v_add_f64 v[4:5], v[4:5], v[12:13]
	s_and_saveexec_b64 s[10:11], s[2:3]
	s_cbranch_execz .LBB36_309
; %bb.308:
	scratch_load_dwordx4 v[122:125], off, off offset:32
	v_mov_b32_e32 v6, 0
	ds_read_b128 v[126:129], v6 offset:624
	s_waitcnt vmcnt(0) lgkmcnt(0)
	v_mul_f64 v[6:7], v[126:127], v[124:125]
	v_mul_f64 v[12:13], v[128:129], v[124:125]
	v_fmac_f64_e32 v[6:7], v[128:129], v[122:123]
	v_fma_f64 v[12:13], v[126:127], v[122:123], -v[12:13]
	v_add_f64 v[4:5], v[4:5], v[6:7]
	v_add_f64 v[2:3], v[2:3], v[12:13]
.LBB36_309:
	s_or_b64 exec, exec, s[10:11]
.LBB36_310:
	s_or_b64 exec, exec, s[8:9]
	v_mov_b32_e32 v6, 0
	ds_read_b128 v[122:125], v6 offset:48
	s_waitcnt lgkmcnt(0)
	v_mul_f64 v[6:7], v[4:5], v[124:125]
	v_mul_f64 v[126:127], v[2:3], v[124:125]
	v_fma_f64 v[124:125], v[2:3], v[122:123], -v[6:7]
	v_fmac_f64_e32 v[126:127], v[4:5], v[122:123]
	scratch_store_dwordx4 off, v[124:127], off offset:48
.LBB36_311:
	s_or_b64 exec, exec, s[6:7]
	scratch_load_dwordx4 v[2:5], v118, off
	v_cmp_gt_u32_e32 vcc, 4, v0
	s_waitcnt vmcnt(0)
	ds_write_b128 v11, v[2:5]
	s_waitcnt lgkmcnt(0)
	; wave barrier
	s_waitcnt lgkmcnt(0)
	s_and_saveexec_b64 s[2:3], vcc
	s_cbranch_execz .LBB36_319
; %bb.312:
	ds_read_b128 v[2:5], v11
	s_and_b64 vcc, exec, s[0:1]
	s_cbranch_vccnz .LBB36_314
; %bb.313:
	scratch_load_dwordx4 v[122:125], v10, off
	s_waitcnt vmcnt(0) lgkmcnt(0)
	v_mul_f64 v[12:13], v[2:3], v[124:125]
	v_mul_f64 v[6:7], v[4:5], v[124:125]
	v_fmac_f64_e32 v[12:13], v[4:5], v[122:123]
	v_fma_f64 v[2:3], v[2:3], v[122:123], -v[6:7]
	v_mov_b64_e32 v[4:5], v[12:13]
.LBB36_314:
	v_cmp_ne_u32_e32 vcc, 3, v0
	s_and_saveexec_b64 s[6:7], vcc
	s_cbranch_execz .LBB36_318
; %bb.315:
	v_mov_b32_e32 v7, 0
	v_add_u32_e32 v6, 0x260, v58
	v_add3_u32 v7, v58, v7, 24
	s_mov_b64 s[8:9], 0
	v_mov_b32_e32 v12, v0
.LBB36_316:                             ; =>This Inner Loop Header: Depth=1
	v_add_u32_e32 v13, -8, v7
	scratch_load_dwordx4 v[122:125], v13, off
	ds_read_b128 v[126:129], v6
	v_add_u32_e32 v12, 1, v12
	v_cmp_lt_u32_e32 vcc, 2, v12
	v_add_u32_e32 v6, 16, v6
	v_add_u32_e32 v7, 16, v7
	s_or_b64 s[8:9], vcc, s[8:9]
	s_waitcnt vmcnt(0) lgkmcnt(0)
	v_mul_f64 v[130:131], v[128:129], v[124:125]
	v_mul_f64 v[124:125], v[126:127], v[124:125]
	v_fma_f64 v[126:127], v[126:127], v[122:123], -v[130:131]
	v_fmac_f64_e32 v[124:125], v[128:129], v[122:123]
	v_add_f64 v[2:3], v[2:3], v[126:127]
	v_add_f64 v[4:5], v[4:5], v[124:125]
	s_andn2_b64 exec, exec, s[8:9]
	s_cbranch_execnz .LBB36_316
; %bb.317:
	s_or_b64 exec, exec, s[8:9]
.LBB36_318:
	s_or_b64 exec, exec, s[6:7]
	v_mov_b32_e32 v6, 0
	ds_read_b128 v[122:125], v6 offset:64
	s_waitcnt lgkmcnt(0)
	v_mul_f64 v[6:7], v[4:5], v[124:125]
	v_mul_f64 v[126:127], v[2:3], v[124:125]
	v_fma_f64 v[124:125], v[2:3], v[122:123], -v[6:7]
	v_fmac_f64_e32 v[126:127], v[4:5], v[122:123]
	scratch_store_dwordx4 off, v[124:127], off offset:64
.LBB36_319:
	s_or_b64 exec, exec, s[2:3]
	scratch_load_dwordx4 v[2:5], v117, off
	v_cmp_gt_u32_e32 vcc, 5, v0
	s_waitcnt vmcnt(0)
	ds_write_b128 v11, v[2:5]
	s_waitcnt lgkmcnt(0)
	; wave barrier
	s_waitcnt lgkmcnt(0)
	s_and_saveexec_b64 s[2:3], vcc
	s_cbranch_execz .LBB36_327
; %bb.320:
	ds_read_b128 v[2:5], v11
	s_and_b64 vcc, exec, s[0:1]
	s_cbranch_vccnz .LBB36_322
; %bb.321:
	scratch_load_dwordx4 v[122:125], v10, off
	s_waitcnt vmcnt(0) lgkmcnt(0)
	v_mul_f64 v[12:13], v[2:3], v[124:125]
	v_mul_f64 v[6:7], v[4:5], v[124:125]
	v_fmac_f64_e32 v[12:13], v[4:5], v[122:123]
	v_fma_f64 v[2:3], v[2:3], v[122:123], -v[6:7]
	v_mov_b64_e32 v[4:5], v[12:13]
.LBB36_322:
	v_cmp_ne_u32_e32 vcc, 4, v0
	s_and_saveexec_b64 s[6:7], vcc
	s_cbranch_execz .LBB36_326
; %bb.323:
	v_mov_b32_e32 v7, 0
	v_add_u32_e32 v6, 0x260, v58
	v_add3_u32 v7, v58, v7, 24
	s_mov_b64 s[8:9], 0
	v_mov_b32_e32 v12, v0
.LBB36_324:                             ; =>This Inner Loop Header: Depth=1
	v_add_u32_e32 v13, -8, v7
	scratch_load_dwordx4 v[122:125], v13, off
	ds_read_b128 v[126:129], v6
	v_add_u32_e32 v12, 1, v12
	v_cmp_lt_u32_e32 vcc, 3, v12
	v_add_u32_e32 v6, 16, v6
	v_add_u32_e32 v7, 16, v7
	s_or_b64 s[8:9], vcc, s[8:9]
	s_waitcnt vmcnt(0) lgkmcnt(0)
	v_mul_f64 v[130:131], v[128:129], v[124:125]
	v_mul_f64 v[124:125], v[126:127], v[124:125]
	v_fma_f64 v[126:127], v[126:127], v[122:123], -v[130:131]
	v_fmac_f64_e32 v[124:125], v[128:129], v[122:123]
	v_add_f64 v[2:3], v[2:3], v[126:127]
	v_add_f64 v[4:5], v[4:5], v[124:125]
	s_andn2_b64 exec, exec, s[8:9]
	s_cbranch_execnz .LBB36_324
; %bb.325:
	s_or_b64 exec, exec, s[8:9]
.LBB36_326:
	s_or_b64 exec, exec, s[6:7]
	v_mov_b32_e32 v6, 0
	ds_read_b128 v[122:125], v6 offset:80
	s_waitcnt lgkmcnt(0)
	v_mul_f64 v[6:7], v[4:5], v[124:125]
	v_mul_f64 v[126:127], v[2:3], v[124:125]
	v_fma_f64 v[124:125], v[2:3], v[122:123], -v[6:7]
	v_fmac_f64_e32 v[126:127], v[4:5], v[122:123]
	scratch_store_dwordx4 off, v[124:127], off offset:80
.LBB36_327:
	;; [unrolled: 63-line block ×31, first 2 shown]
	s_or_b64 exec, exec, s[2:3]
	scratch_load_dwordx4 v[2:5], v8, off
	v_cmp_gt_u32_e64 s[2:3], 35, v0
	s_waitcnt vmcnt(0)
	ds_write_b128 v11, v[2:5]
	s_waitcnt lgkmcnt(0)
	; wave barrier
	s_waitcnt lgkmcnt(0)
	s_and_saveexec_b64 s[6:7], s[2:3]
	s_cbranch_execz .LBB36_567
; %bb.560:
	ds_read_b128 v[2:5], v11
	s_and_b64 vcc, exec, s[0:1]
	s_cbranch_vccnz .LBB36_562
; %bb.561:
	scratch_load_dwordx4 v[122:125], v10, off
	s_waitcnt vmcnt(0) lgkmcnt(0)
	v_mul_f64 v[12:13], v[2:3], v[124:125]
	v_mul_f64 v[6:7], v[4:5], v[124:125]
	v_fmac_f64_e32 v[12:13], v[4:5], v[122:123]
	v_fma_f64 v[2:3], v[2:3], v[122:123], -v[6:7]
	v_mov_b64_e32 v[4:5], v[12:13]
.LBB36_562:
	v_cmp_ne_u32_e32 vcc, 34, v0
	s_and_saveexec_b64 s[8:9], vcc
	s_cbranch_execz .LBB36_566
; %bb.563:
	v_mov_b32_e32 v7, 0
	v_add_u32_e32 v6, 0x260, v58
	v_add3_u32 v7, v58, v7, 24
	s_mov_b64 s[10:11], 0
	v_mov_b32_e32 v12, v0
.LBB36_564:                             ; =>This Inner Loop Header: Depth=1
	v_add_u32_e32 v13, -8, v7
	scratch_load_dwordx4 v[122:125], v13, off
	ds_read_b128 v[126:129], v6
	v_add_u32_e32 v12, 1, v12
	v_cmp_lt_u32_e32 vcc, 33, v12
	v_add_u32_e32 v6, 16, v6
	v_add_u32_e32 v7, 16, v7
	s_or_b64 s[10:11], vcc, s[10:11]
	s_waitcnt vmcnt(0) lgkmcnt(0)
	v_mul_f64 v[130:131], v[128:129], v[124:125]
	v_mul_f64 v[124:125], v[126:127], v[124:125]
	v_fma_f64 v[126:127], v[126:127], v[122:123], -v[130:131]
	v_fmac_f64_e32 v[124:125], v[128:129], v[122:123]
	v_add_f64 v[2:3], v[2:3], v[126:127]
	v_add_f64 v[4:5], v[4:5], v[124:125]
	s_andn2_b64 exec, exec, s[10:11]
	s_cbranch_execnz .LBB36_564
; %bb.565:
	s_or_b64 exec, exec, s[10:11]
.LBB36_566:
	s_or_b64 exec, exec, s[8:9]
	v_mov_b32_e32 v6, 0
	ds_read_b128 v[122:125], v6 offset:560
	s_waitcnt lgkmcnt(0)
	v_mul_f64 v[6:7], v[4:5], v[124:125]
	v_mul_f64 v[126:127], v[2:3], v[124:125]
	v_fma_f64 v[124:125], v[2:3], v[122:123], -v[6:7]
	v_fmac_f64_e32 v[126:127], v[4:5], v[122:123]
	scratch_store_dwordx4 off, v[124:127], off offset:560
.LBB36_567:
	s_or_b64 exec, exec, s[6:7]
	scratch_load_dwordx4 v[2:5], v1, off
	v_cmp_ne_u32_e32 vcc, 36, v0
                                        ; implicit-def: $vgpr6_vgpr7
                                        ; implicit-def: $vgpr12
	s_waitcnt vmcnt(0)
	ds_write_b128 v11, v[2:5]
	s_waitcnt lgkmcnt(0)
	; wave barrier
	s_waitcnt lgkmcnt(0)
	s_and_saveexec_b64 s[6:7], vcc
	s_cbranch_execz .LBB36_575
; %bb.568:
	ds_read_b128 v[2:5], v11
	s_and_b64 vcc, exec, s[0:1]
	s_cbranch_vccnz .LBB36_570
; %bb.569:
	scratch_load_dwordx4 v[10:13], v10, off
	s_waitcnt vmcnt(0) lgkmcnt(0)
	v_mul_f64 v[6:7], v[4:5], v[12:13]
	v_mul_f64 v[12:13], v[2:3], v[12:13]
	v_fmac_f64_e32 v[12:13], v[4:5], v[10:11]
	v_fma_f64 v[2:3], v[2:3], v[10:11], -v[6:7]
	v_mov_b64_e32 v[4:5], v[12:13]
.LBB36_570:
	s_and_saveexec_b64 s[0:1], s[2:3]
	s_cbranch_execz .LBB36_574
; %bb.571:
	v_mov_b32_e32 v7, 0
	v_add_u32_e32 v6, 0x260, v58
	v_add3_u32 v7, v58, v7, 24
	s_mov_b64 s[2:3], 0
.LBB36_572:                             ; =>This Inner Loop Header: Depth=1
	v_add_u32_e32 v10, -8, v7
	scratch_load_dwordx4 v[10:13], v10, off
	ds_read_b128 v[122:125], v6
	v_add_u32_e32 v0, 1, v0
	v_cmp_lt_u32_e32 vcc, 34, v0
	v_add_u32_e32 v6, 16, v6
	v_add_u32_e32 v7, 16, v7
	s_or_b64 s[2:3], vcc, s[2:3]
	s_waitcnt vmcnt(0) lgkmcnt(0)
	v_mul_f64 v[126:127], v[124:125], v[12:13]
	v_mul_f64 v[12:13], v[122:123], v[12:13]
	v_fma_f64 v[122:123], v[122:123], v[10:11], -v[126:127]
	v_fmac_f64_e32 v[12:13], v[124:125], v[10:11]
	v_add_f64 v[2:3], v[2:3], v[122:123]
	v_add_f64 v[4:5], v[4:5], v[12:13]
	s_andn2_b64 exec, exec, s[2:3]
	s_cbranch_execnz .LBB36_572
; %bb.573:
	s_or_b64 exec, exec, s[2:3]
.LBB36_574:
	s_or_b64 exec, exec, s[0:1]
	v_mov_b32_e32 v0, 0
	ds_read_b128 v[122:125], v0 offset:576
	v_mov_b32_e32 v0, 0
	v_add_u32_e32 v12, 0x248, v0
	s_or_b64 s[4:5], s[4:5], exec
	s_waitcnt lgkmcnt(0)
	v_mul_f64 v[10:11], v[4:5], v[124:125]
	v_mul_f64 v[6:7], v[2:3], v[124:125]
	v_fma_f64 v[2:3], v[2:3], v[122:123], -v[10:11]
	v_fmac_f64_e32 v[6:7], v[4:5], v[122:123]
	scratch_store_dwordx2 off, v[2:3], off offset:576
.LBB36_575:
	s_or_b64 exec, exec, s[6:7]
.LBB36_576:
	s_and_saveexec_b64 s[0:1], s[4:5]
	s_cbranch_execz .LBB36_578
; %bb.577:
	scratch_store_dwordx2 v12, v[6:7], off
.LBB36_578:
	s_or_b64 exec, exec, s[0:1]
	scratch_load_dwordx4 v[2:5], off, off
	scratch_load_dwordx4 v[10:13], v119, off
	scratch_load_dwordx4 v[122:125], v121, off
	;; [unrolled: 1-line block ×3, first 2 shown]
                                        ; kill: killed $vgpr121
                                        ; kill: killed $vgpr119
                                        ; kill: killed $vgpr120
	s_nop 0
	scratch_load_dwordx4 v[118:121], v118, off
	s_nop 0
	scratch_load_dwordx4 v[130:133], v117, off
	scratch_load_dwordx4 v[134:137], v116, off
	scratch_load_dwordx4 v[138:141], v115, off
	s_nop 0
	scratch_load_dwordx4 v[114:117], v114, off
	s_nop 0
	scratch_load_dwordx4 v[142:145], v113, off
	scratch_load_dwordx4 v[146:149], v112, off
	scratch_load_dwordx4 v[150:153], v111, off
	s_nop 0
	scratch_load_dwordx4 v[110:113], v110, off
	s_nop 0
	scratch_load_dwordx4 v[154:157], v109, off
	scratch_load_dwordx4 v[158:161], v108, off
	scratch_load_dwordx4 v[162:165], v107, off
	s_nop 0
	scratch_load_dwordx4 v[106:109], v106, off
	s_waitcnt vmcnt(16)
	global_store_dwordx4 v[14:15], v[2:5], off
	scratch_load_dwordx4 v[2:5], v105, off
	s_nop 0
	scratch_load_dwordx4 v[166:169], v104, off
	s_waitcnt vmcnt(18)
	global_store_dwordx4 v[16:17], v[10:13], off
	scratch_load_dwordx4 v[10:13], v103, off
	;; [unrolled: 5-line block ×10, first 2 shown]
	s_nop 0
	scratch_load_dwordx4 v[30:33], v1, off
	s_waitcnt vmcnt(36)
	global_store_dwordx4 v[34:35], v[146:149], off
	s_waitcnt vmcnt(36)
	global_store_dwordx4 v[36:37], v[150:153], off
	;; [unrolled: 2-line block ×27, first 2 shown]
.LBB36_579:
	s_endpgm
	.section	.rodata,"a",@progbits
	.p2align	6, 0x0
	.amdhsa_kernel _ZN9rocsolver6v33100L18trti2_kernel_smallILi37E19rocblas_complex_numIdEPS3_EEv13rocblas_fill_17rocblas_diagonal_T1_iil
		.amdhsa_group_segment_fixed_size 1184
		.amdhsa_private_segment_fixed_size 608
		.amdhsa_kernarg_size 32
		.amdhsa_user_sgpr_count 2
		.amdhsa_user_sgpr_dispatch_ptr 0
		.amdhsa_user_sgpr_queue_ptr 0
		.amdhsa_user_sgpr_kernarg_segment_ptr 1
		.amdhsa_user_sgpr_dispatch_id 0
		.amdhsa_user_sgpr_kernarg_preload_length 0
		.amdhsa_user_sgpr_kernarg_preload_offset 0
		.amdhsa_user_sgpr_private_segment_size 0
		.amdhsa_uses_dynamic_stack 0
		.amdhsa_enable_private_segment 1
		.amdhsa_system_sgpr_workgroup_id_x 1
		.amdhsa_system_sgpr_workgroup_id_y 0
		.amdhsa_system_sgpr_workgroup_id_z 0
		.amdhsa_system_sgpr_workgroup_info 0
		.amdhsa_system_vgpr_workitem_id 0
		.amdhsa_next_free_vgpr 170
		.amdhsa_next_free_sgpr 12
		.amdhsa_accum_offset 172
		.amdhsa_reserve_vcc 1
		.amdhsa_float_round_mode_32 0
		.amdhsa_float_round_mode_16_64 0
		.amdhsa_float_denorm_mode_32 3
		.amdhsa_float_denorm_mode_16_64 3
		.amdhsa_dx10_clamp 1
		.amdhsa_ieee_mode 1
		.amdhsa_fp16_overflow 0
		.amdhsa_tg_split 0
		.amdhsa_exception_fp_ieee_invalid_op 0
		.amdhsa_exception_fp_denorm_src 0
		.amdhsa_exception_fp_ieee_div_zero 0
		.amdhsa_exception_fp_ieee_overflow 0
		.amdhsa_exception_fp_ieee_underflow 0
		.amdhsa_exception_fp_ieee_inexact 0
		.amdhsa_exception_int_div_zero 0
	.end_amdhsa_kernel
	.section	.text._ZN9rocsolver6v33100L18trti2_kernel_smallILi37E19rocblas_complex_numIdEPS3_EEv13rocblas_fill_17rocblas_diagonal_T1_iil,"axG",@progbits,_ZN9rocsolver6v33100L18trti2_kernel_smallILi37E19rocblas_complex_numIdEPS3_EEv13rocblas_fill_17rocblas_diagonal_T1_iil,comdat
.Lfunc_end36:
	.size	_ZN9rocsolver6v33100L18trti2_kernel_smallILi37E19rocblas_complex_numIdEPS3_EEv13rocblas_fill_17rocblas_diagonal_T1_iil, .Lfunc_end36-_ZN9rocsolver6v33100L18trti2_kernel_smallILi37E19rocblas_complex_numIdEPS3_EEv13rocblas_fill_17rocblas_diagonal_T1_iil
                                        ; -- End function
	.section	.AMDGPU.csdata,"",@progbits
; Kernel info:
; codeLenInByte = 24340
; NumSgprs: 18
; NumVgprs: 170
; NumAgprs: 0
; TotalNumVgprs: 170
; ScratchSize: 608
; MemoryBound: 0
; FloatMode: 240
; IeeeMode: 1
; LDSByteSize: 1184 bytes/workgroup (compile time only)
; SGPRBlocks: 2
; VGPRBlocks: 21
; NumSGPRsForWavesPerEU: 18
; NumVGPRsForWavesPerEU: 170
; AccumOffset: 172
; Occupancy: 2
; WaveLimiterHint : 0
; COMPUTE_PGM_RSRC2:SCRATCH_EN: 1
; COMPUTE_PGM_RSRC2:USER_SGPR: 2
; COMPUTE_PGM_RSRC2:TRAP_HANDLER: 0
; COMPUTE_PGM_RSRC2:TGID_X_EN: 1
; COMPUTE_PGM_RSRC2:TGID_Y_EN: 0
; COMPUTE_PGM_RSRC2:TGID_Z_EN: 0
; COMPUTE_PGM_RSRC2:TIDIG_COMP_CNT: 0
; COMPUTE_PGM_RSRC3_GFX90A:ACCUM_OFFSET: 42
; COMPUTE_PGM_RSRC3_GFX90A:TG_SPLIT: 0
	.section	.text._ZN9rocsolver6v33100L18trti2_kernel_smallILi38E19rocblas_complex_numIdEPS3_EEv13rocblas_fill_17rocblas_diagonal_T1_iil,"axG",@progbits,_ZN9rocsolver6v33100L18trti2_kernel_smallILi38E19rocblas_complex_numIdEPS3_EEv13rocblas_fill_17rocblas_diagonal_T1_iil,comdat
	.globl	_ZN9rocsolver6v33100L18trti2_kernel_smallILi38E19rocblas_complex_numIdEPS3_EEv13rocblas_fill_17rocblas_diagonal_T1_iil ; -- Begin function _ZN9rocsolver6v33100L18trti2_kernel_smallILi38E19rocblas_complex_numIdEPS3_EEv13rocblas_fill_17rocblas_diagonal_T1_iil
	.p2align	8
	.type	_ZN9rocsolver6v33100L18trti2_kernel_smallILi38E19rocblas_complex_numIdEPS3_EEv13rocblas_fill_17rocblas_diagonal_T1_iil,@function
_ZN9rocsolver6v33100L18trti2_kernel_smallILi38E19rocblas_complex_numIdEPS3_EEv13rocblas_fill_17rocblas_diagonal_T1_iil: ; @_ZN9rocsolver6v33100L18trti2_kernel_smallILi38E19rocblas_complex_numIdEPS3_EEv13rocblas_fill_17rocblas_diagonal_T1_iil
; %bb.0:
	v_cmp_gt_u32_e32 vcc, 38, v0
	s_and_saveexec_b64 s[4:5], vcc
	s_cbranch_execz .LBB37_595
; %bb.1:
	s_load_dwordx8 s[4:11], s[0:1], 0x0
	s_ashr_i32 s3, s2, 31
	v_lshlrev_b32_e32 v90, 4, v0
	v_mov_b32_e32 v91, 0
	v_mov_b32_e32 v1, 0
	s_waitcnt lgkmcnt(0)
	s_ashr_i32 s1, s8, 31
	s_mov_b32 s0, s8
	s_mul_i32 s8, s2, s11
	s_mul_hi_u32 s11, s2, s10
	s_add_i32 s8, s11, s8
	s_mul_i32 s3, s3, s10
	s_add_i32 s3, s8, s3
	s_mul_i32 s2, s2, s10
	s_lshl_b64 s[2:3], s[2:3], 4
	s_add_u32 s2, s6, s2
	s_addc_u32 s3, s7, s3
	s_lshl_b64 s[0:1], s[0:1], 4
	s_add_u32 s0, s2, s0
	s_addc_u32 s1, s3, s1
	s_add_i32 s2, s9, s9
	v_add_u32_e32 v4, s2, v0
	v_add_u32_e32 v2, s9, v4
	;; [unrolled: 1-line block ×15, first 2 shown]
	s_mov_b32 s2, s9
	s_ashr_i32 s3, s9, 31
	v_lshl_add_u64 v[46:47], s[0:1], 0, v[90:91]
	v_ashrrev_i32_e32 v3, 31, v2
	v_ashrrev_i32_e32 v17, 31, v16
	;; [unrolled: 1-line block ×10, first 2 shown]
	v_lshl_add_u64 v[40:41], s[2:3], 4, v[46:47]
	v_lshl_add_u64 v[38:39], v[2:3], 4, s[0:1]
	v_ashrrev_i32_e32 v15, 31, v14
	v_lshl_add_u64 v[32:33], v[16:17], 4, s[0:1]
	v_lshl_add_u64 v[24:25], v[18:19], 4, s[0:1]
	;; [unrolled: 1-line block ×5, first 2 shown]
	v_ashrrev_i32_e32 v37, 31, v36
	v_lshl_add_u64 v[16:17], v[42:43], 4, s[0:1]
	v_ashrrev_i32_e32 v45, 31, v44
	v_lshl_add_u64 v[34:35], v[48:49], 4, s[0:1]
	;; [unrolled: 2-line block ×3, first 2 shown]
	v_ashrrev_i32_e32 v109, 31, v108
	global_load_dwordx4 v[6:9], v90, s[0:1]
	v_lshl_add_u64 v[28:29], v[4:5], 4, s[0:1]
	global_load_dwordx4 v[10:13], v[40:41], off
	global_load_dwordx4 v[50:53], v[28:29], off
	v_lshl_add_u64 v[30:31], v[14:15], 4, s[0:1]
	global_load_dwordx4 v[2:5], v[38:39], off
	global_load_dwordx4 v[54:57], v[30:31], off
	;; [unrolled: 1-line block ×6, first 2 shown]
	v_lshl_add_u64 v[14:15], v[36:37], 4, s[0:1]
	global_load_dwordx4 v[74:77], v[22:23], off
	global_load_dwordx4 v[78:81], v[14:15], off
	v_lshl_add_u64 v[20:21], v[44:45], 4, s[0:1]
	global_load_dwordx4 v[82:85], v[16:17], off
	global_load_dwordx4 v[86:89], v[20:21], off
	;; [unrolled: 3-line block ×4, first 2 shown]
	v_add_u32_e32 v112, s9, v108
	v_add_u32_e32 v114, s9, v112
	;; [unrolled: 1-line block ×21, first 2 shown]
	v_ashrrev_i32_e32 v49, 31, v48
	v_lshl_add_u64 v[48:49], v[48:49], 4, s[0:1]
	v_ashrrev_i32_e32 v113, 31, v112
	v_ashrrev_i32_e32 v117, 31, v116
	;; [unrolled: 1-line block ×10, first 2 shown]
	global_load_dwordx4 v[108:111], v[48:49], off
	s_waitcnt vmcnt(17)
	scratch_store_dwordx4 off, v[6:9], off
	s_waitcnt vmcnt(17)
	scratch_store_dwordx4 off, v[10:13], off offset:16
	s_waitcnt vmcnt(17)
	scratch_store_dwordx4 off, v[50:53], off offset:32
	;; [unrolled: 2-line block ×16, first 2 shown]
	v_lshl_add_u64 v[50:51], v[112:113], 4, s[0:1]
	v_ashrrev_i32_e32 v115, 31, v114
	v_lshl_add_u64 v[54:55], v[116:117], 4, s[0:1]
	v_ashrrev_i32_e32 v119, 31, v118
	;; [unrolled: 2-line block ×10, first 2 shown]
	v_lshl_add_u64 v[52:53], v[114:115], 4, s[0:1]
	global_load_dwordx4 v[2:5], v[50:51], off
	global_load_dwordx4 v[6:9], v[52:53], off
	v_lshl_add_u64 v[56:57], v[118:119], 4, s[0:1]
	global_load_dwordx4 v[10:13], v[54:55], off
	global_load_dwordx4 v[92:95], v[56:57], off
	;; [unrolled: 3-line block ×10, first 2 shown]
	s_cmpk_lg_i32 s5, 0x84
	s_cselect_b64 s[6:7], -1, 0
	s_cmpk_eq_i32 s5, 0x84
	s_waitcnt vmcnt(19)
	scratch_store_dwordx4 off, v[2:5], off offset:272
	s_waitcnt vmcnt(19)
	scratch_store_dwordx4 off, v[6:9], off offset:288
	;; [unrolled: 2-line block ×20, first 2 shown]
	scratch_store_dwordx4 off, v[108:111], off offset:592
	s_cbranch_scc1 .LBB37_7
; %bb.2:
	scratch_load_dwordx4 v[6:9], v90, off
                                        ; implicit-def: $vgpr10_vgpr11
	s_waitcnt vmcnt(0)
	v_xor_b32_e32 v3, 0x80000000, v7
	v_cmp_gt_f64_e32 vcc, 0, v[6:7]
	v_xor_b32_e32 v4, 0x80000000, v9
	v_mov_b32_e32 v2, v6
	v_cndmask_b32_e32 v3, v7, v3, vcc
	v_cmp_gt_f64_e32 vcc, 0, v[8:9]
	s_nop 1
	v_cndmask_b32_e32 v5, v9, v4, vcc
	v_mov_b32_e32 v4, v8
	v_cmp_ngt_f64_e32 vcc, v[2:3], v[4:5]
                                        ; implicit-def: $vgpr2_vgpr3
	s_and_saveexec_b64 s[0:1], vcc
	s_xor_b64 s[0:1], exec, s[0:1]
	s_cbranch_execz .LBB37_4
; %bb.3:
	v_div_scale_f64 v[2:3], s[2:3], v[8:9], v[8:9], v[6:7]
	v_rcp_f64_e32 v[4:5], v[2:3]
	v_div_scale_f64 v[10:11], vcc, v[6:7], v[8:9], v[6:7]
	v_fma_f64 v[12:13], -v[2:3], v[4:5], 1.0
	v_fmac_f64_e32 v[4:5], v[4:5], v[12:13]
	v_fma_f64 v[12:13], -v[2:3], v[4:5], 1.0
	v_fmac_f64_e32 v[4:5], v[4:5], v[12:13]
	v_mul_f64 v[12:13], v[10:11], v[4:5]
	v_fma_f64 v[2:3], -v[2:3], v[12:13], v[10:11]
	v_div_fmas_f64 v[2:3], v[2:3], v[4:5], v[12:13]
	v_div_fixup_f64 v[2:3], v[2:3], v[8:9], v[6:7]
	v_fmac_f64_e32 v[8:9], v[6:7], v[2:3]
	v_div_scale_f64 v[4:5], s[2:3], v[8:9], v[8:9], 1.0
	v_rcp_f64_e32 v[6:7], v[4:5]
	s_nop 0
	v_fma_f64 v[10:11], -v[4:5], v[6:7], 1.0
	v_fmac_f64_e32 v[6:7], v[6:7], v[10:11]
	v_fma_f64 v[10:11], -v[4:5], v[6:7], 1.0
	v_fmac_f64_e32 v[6:7], v[6:7], v[10:11]
	v_div_scale_f64 v[10:11], vcc, 1.0, v[8:9], 1.0
	v_mul_f64 v[12:13], v[10:11], v[6:7]
	v_fma_f64 v[4:5], -v[4:5], v[12:13], v[10:11]
	s_nop 1
	v_div_fmas_f64 v[4:5], v[4:5], v[6:7], v[12:13]
	v_div_fixup_f64 v[4:5], v[4:5], v[8:9], 1.0
	v_mul_f64 v[2:3], v[2:3], v[4:5]
	v_xor_b32_e32 v5, 0x80000000, v5
	v_xor_b32_e32 v11, 0x80000000, v3
	v_mov_b32_e32 v10, v2
                                        ; implicit-def: $vgpr6_vgpr7
.LBB37_4:
	s_or_saveexec_b64 s[0:1], s[0:1]
	v_add_u32_e32 v12, 0, v90
	s_xor_b64 exec, exec, s[0:1]
	s_cbranch_execz .LBB37_6
; %bb.5:
	v_div_scale_f64 v[2:3], s[2:3], v[6:7], v[6:7], v[8:9]
	v_rcp_f64_e32 v[4:5], v[2:3]
	v_div_scale_f64 v[10:11], vcc, v[8:9], v[6:7], v[8:9]
	v_fma_f64 v[92:93], -v[2:3], v[4:5], 1.0
	v_fmac_f64_e32 v[4:5], v[4:5], v[92:93]
	v_fma_f64 v[92:93], -v[2:3], v[4:5], 1.0
	v_fmac_f64_e32 v[4:5], v[4:5], v[92:93]
	v_mul_f64 v[92:93], v[10:11], v[4:5]
	v_fma_f64 v[2:3], -v[2:3], v[92:93], v[10:11]
	v_div_fmas_f64 v[2:3], v[2:3], v[4:5], v[92:93]
	v_div_fixup_f64 v[4:5], v[2:3], v[6:7], v[8:9]
	v_fmac_f64_e32 v[6:7], v[8:9], v[4:5]
	v_div_scale_f64 v[2:3], s[2:3], v[6:7], v[6:7], 1.0
	v_rcp_f64_e32 v[8:9], v[2:3]
	s_nop 0
	v_fma_f64 v[10:11], -v[2:3], v[8:9], 1.0
	v_fmac_f64_e32 v[8:9], v[8:9], v[10:11]
	v_fma_f64 v[10:11], -v[2:3], v[8:9], 1.0
	v_fmac_f64_e32 v[8:9], v[8:9], v[10:11]
	v_div_scale_f64 v[10:11], vcc, 1.0, v[6:7], 1.0
	v_mul_f64 v[92:93], v[10:11], v[8:9]
	v_fma_f64 v[2:3], -v[2:3], v[92:93], v[10:11]
	s_nop 1
	v_div_fmas_f64 v[2:3], v[2:3], v[8:9], v[92:93]
	v_div_fixup_f64 v[2:3], v[2:3], v[6:7], 1.0
	v_xor_b32_e32 v11, 0x80000000, v3
	v_mov_b32_e32 v10, v2
	v_mul_f64 v[4:5], v[4:5], -v[2:3]
.LBB37_6:
	s_or_b64 exec, exec, s[0:1]
	scratch_store_dwordx4 v12, v[2:5], off
	s_nop 1
	v_xor_b32_e32 v5, 0x80000000, v5
	s_branch .LBB37_8
.LBB37_7:
	v_mov_b64_e32 v[4:5], 0
	v_mov_b64_e32 v[10:11], -1.0
.LBB37_8:
	v_mov_b32_e32 v12, v4
	v_mov_b32_e32 v13, v5
	v_add_u32_e32 v124, 16, v1
	v_add_u32_e32 v123, 32, v1
	;; [unrolled: 1-line block ×37, first 2 shown]
	ds_write_b128 v90, v[10:13]
	s_cmpk_eq_i32 s4, 0x79
	v_add_u32_e32 v11, 0x260, v90
	v_add_u32_e32 v10, 0, v90
	s_cbranch_scc1 .LBB37_300
; %bb.9:
	scratch_load_dwordx4 v[2:5], v8, off
	v_cmp_eq_u32_e64 s[0:1], 37, v0
	s_waitcnt vmcnt(0)
	ds_write_b128 v11, v[2:5]
	s_waitcnt lgkmcnt(0)
	; wave barrier
	s_waitcnt lgkmcnt(0)
	s_and_saveexec_b64 s[2:3], s[0:1]
	s_cbranch_execz .LBB37_13
; %bb.10:
	ds_read_b128 v[2:5], v11
	s_andn2_b64 vcc, exec, s[6:7]
	s_cbranch_vccnz .LBB37_12
; %bb.11:
	scratch_load_dwordx4 v[126:129], v10, off
	s_waitcnt vmcnt(0) lgkmcnt(0)
	v_mul_f64 v[12:13], v[2:3], v[128:129]
	v_mul_f64 v[6:7], v[4:5], v[128:129]
	v_fmac_f64_e32 v[12:13], v[4:5], v[126:127]
	v_fma_f64 v[2:3], v[2:3], v[126:127], -v[6:7]
	v_mov_b64_e32 v[4:5], v[12:13]
.LBB37_12:
	v_mov_b32_e32 v6, 0
	ds_read_b128 v[126:129], v6 offset:576
	s_waitcnt lgkmcnt(0)
	v_mul_f64 v[6:7], v[4:5], v[128:129]
	v_mul_f64 v[130:131], v[2:3], v[128:129]
	v_fma_f64 v[128:129], v[2:3], v[126:127], -v[6:7]
	v_fmac_f64_e32 v[130:131], v[4:5], v[126:127]
	scratch_store_dwordx4 off, v[128:131], off offset:576
.LBB37_13:
	s_or_b64 exec, exec, s[2:3]
	scratch_load_dwordx4 v[2:5], v9, off
	v_cmp_lt_u32_e64 s[2:3], 35, v0
	s_waitcnt vmcnt(0)
	ds_write_b128 v11, v[2:5]
	s_waitcnt lgkmcnt(0)
	; wave barrier
	s_waitcnt lgkmcnt(0)
	s_and_saveexec_b64 s[4:5], s[2:3]
	s_cbranch_execz .LBB37_19
; %bb.14:
	ds_read_b128 v[2:5], v11
	s_andn2_b64 vcc, exec, s[6:7]
	s_cbranch_vccnz .LBB37_16
; %bb.15:
	scratch_load_dwordx4 v[126:129], v10, off
	s_waitcnt vmcnt(0) lgkmcnt(0)
	v_mul_f64 v[12:13], v[2:3], v[128:129]
	v_mul_f64 v[6:7], v[4:5], v[128:129]
	v_fmac_f64_e32 v[12:13], v[4:5], v[126:127]
	v_fma_f64 v[2:3], v[2:3], v[126:127], -v[6:7]
	v_mov_b64_e32 v[4:5], v[12:13]
.LBB37_16:
	s_and_saveexec_b64 s[8:9], s[0:1]
	s_cbranch_execz .LBB37_18
; %bb.17:
	scratch_load_dwordx4 v[126:129], off, off offset:576
	v_mov_b32_e32 v6, 0
	ds_read_b128 v[130:133], v6 offset:1184
	s_waitcnt vmcnt(0) lgkmcnt(0)
	v_mul_f64 v[6:7], v[130:131], v[128:129]
	v_mul_f64 v[12:13], v[132:133], v[128:129]
	v_fmac_f64_e32 v[6:7], v[132:133], v[126:127]
	v_fma_f64 v[12:13], v[130:131], v[126:127], -v[12:13]
	v_add_f64 v[4:5], v[4:5], v[6:7]
	v_add_f64 v[2:3], v[2:3], v[12:13]
.LBB37_18:
	s_or_b64 exec, exec, s[8:9]
	v_mov_b32_e32 v6, 0
	ds_read_b128 v[126:129], v6 offset:560
	s_waitcnt lgkmcnt(0)
	v_mul_f64 v[6:7], v[4:5], v[128:129]
	v_mul_f64 v[130:131], v[2:3], v[128:129]
	v_fma_f64 v[128:129], v[2:3], v[126:127], -v[6:7]
	v_fmac_f64_e32 v[130:131], v[4:5], v[126:127]
	scratch_store_dwordx4 off, v[128:131], off offset:560
.LBB37_19:
	s_or_b64 exec, exec, s[4:5]
	scratch_load_dwordx4 v[2:5], v91, off
	v_cmp_lt_u32_e64 s[0:1], 34, v0
	s_waitcnt vmcnt(0)
	ds_write_b128 v11, v[2:5]
	s_waitcnt lgkmcnt(0)
	; wave barrier
	s_waitcnt lgkmcnt(0)
	s_and_saveexec_b64 s[4:5], s[0:1]
	s_cbranch_execz .LBB37_27
; %bb.20:
	ds_read_b128 v[2:5], v11
	s_andn2_b64 vcc, exec, s[6:7]
	s_cbranch_vccnz .LBB37_22
; %bb.21:
	scratch_load_dwordx4 v[126:129], v10, off
	s_waitcnt vmcnt(0) lgkmcnt(0)
	v_mul_f64 v[12:13], v[2:3], v[128:129]
	v_mul_f64 v[6:7], v[4:5], v[128:129]
	v_fmac_f64_e32 v[12:13], v[4:5], v[126:127]
	v_fma_f64 v[2:3], v[2:3], v[126:127], -v[6:7]
	v_mov_b64_e32 v[4:5], v[12:13]
.LBB37_22:
	s_and_saveexec_b64 s[8:9], s[2:3]
	s_cbranch_execz .LBB37_26
; %bb.23:
	v_mov_b32_e32 v7, 0
	v_subrev_u32_e32 v6, 35, v0
	v_add_u32_e32 v7, 0x238, v7
	s_movk_i32 s10, 0x490
	s_mov_b64 s[2:3], 0
.LBB37_24:                              ; =>This Inner Loop Header: Depth=1
	v_add_u32_e32 v12, -8, v7
	scratch_load_dwordx4 v[126:129], v12, off
	v_mov_b32_e32 v12, s10
	ds_read_b128 v[130:133], v12
	v_add_u32_e32 v6, -1, v6
	s_add_i32 s10, s10, 16
	v_cmp_eq_u32_e32 vcc, 0, v6
	v_add_u32_e32 v7, 16, v7
	s_or_b64 s[2:3], vcc, s[2:3]
	s_waitcnt vmcnt(0) lgkmcnt(0)
	v_mul_f64 v[12:13], v[132:133], v[128:129]
	v_mul_f64 v[128:129], v[130:131], v[128:129]
	v_fma_f64 v[12:13], v[130:131], v[126:127], -v[12:13]
	v_fmac_f64_e32 v[128:129], v[132:133], v[126:127]
	v_add_f64 v[2:3], v[2:3], v[12:13]
	v_add_f64 v[4:5], v[4:5], v[128:129]
	s_andn2_b64 exec, exec, s[2:3]
	s_cbranch_execnz .LBB37_24
; %bb.25:
	s_or_b64 exec, exec, s[2:3]
.LBB37_26:
	s_or_b64 exec, exec, s[8:9]
	v_mov_b32_e32 v6, 0
	ds_read_b128 v[126:129], v6 offset:544
	s_waitcnt lgkmcnt(0)
	v_mul_f64 v[6:7], v[4:5], v[128:129]
	v_mul_f64 v[130:131], v[2:3], v[128:129]
	v_fma_f64 v[128:129], v[2:3], v[126:127], -v[6:7]
	v_fmac_f64_e32 v[130:131], v[4:5], v[126:127]
	scratch_store_dwordx4 off, v[128:131], off offset:544
.LBB37_27:
	s_or_b64 exec, exec, s[4:5]
	scratch_load_dwordx4 v[2:5], v92, off
	v_cmp_lt_u32_e64 s[2:3], 33, v0
	s_waitcnt vmcnt(0)
	ds_write_b128 v11, v[2:5]
	s_waitcnt lgkmcnt(0)
	; wave barrier
	s_waitcnt lgkmcnt(0)
	s_and_saveexec_b64 s[4:5], s[2:3]
	s_cbranch_execz .LBB37_35
; %bb.28:
	ds_read_b128 v[2:5], v11
	s_andn2_b64 vcc, exec, s[6:7]
	s_cbranch_vccnz .LBB37_30
; %bb.29:
	scratch_load_dwordx4 v[126:129], v10, off
	s_waitcnt vmcnt(0) lgkmcnt(0)
	v_mul_f64 v[12:13], v[2:3], v[128:129]
	v_mul_f64 v[6:7], v[4:5], v[128:129]
	v_fmac_f64_e32 v[12:13], v[4:5], v[126:127]
	v_fma_f64 v[2:3], v[2:3], v[126:127], -v[6:7]
	v_mov_b64_e32 v[4:5], v[12:13]
.LBB37_30:
	s_and_saveexec_b64 s[8:9], s[0:1]
	s_cbranch_execz .LBB37_34
; %bb.31:
	v_mov_b32_e32 v7, 0
	v_subrev_u32_e32 v6, 34, v0
	v_add_u32_e32 v7, 0x228, v7
	s_movk_i32 s10, 0x480
	s_mov_b64 s[0:1], 0
.LBB37_32:                              ; =>This Inner Loop Header: Depth=1
	v_add_u32_e32 v12, -8, v7
	scratch_load_dwordx4 v[126:129], v12, off
	v_mov_b32_e32 v12, s10
	ds_read_b128 v[130:133], v12
	v_add_u32_e32 v6, -1, v6
	s_add_i32 s10, s10, 16
	v_cmp_eq_u32_e32 vcc, 0, v6
	v_add_u32_e32 v7, 16, v7
	s_or_b64 s[0:1], vcc, s[0:1]
	s_waitcnt vmcnt(0) lgkmcnt(0)
	v_mul_f64 v[12:13], v[132:133], v[128:129]
	v_mul_f64 v[128:129], v[130:131], v[128:129]
	v_fma_f64 v[12:13], v[130:131], v[126:127], -v[12:13]
	v_fmac_f64_e32 v[128:129], v[132:133], v[126:127]
	v_add_f64 v[2:3], v[2:3], v[12:13]
	v_add_f64 v[4:5], v[4:5], v[128:129]
	s_andn2_b64 exec, exec, s[0:1]
	s_cbranch_execnz .LBB37_32
; %bb.33:
	s_or_b64 exec, exec, s[0:1]
.LBB37_34:
	s_or_b64 exec, exec, s[8:9]
	v_mov_b32_e32 v6, 0
	ds_read_b128 v[126:129], v6 offset:528
	s_waitcnt lgkmcnt(0)
	v_mul_f64 v[6:7], v[4:5], v[128:129]
	v_mul_f64 v[130:131], v[2:3], v[128:129]
	v_fma_f64 v[128:129], v[2:3], v[126:127], -v[6:7]
	v_fmac_f64_e32 v[130:131], v[4:5], v[126:127]
	scratch_store_dwordx4 off, v[128:131], off offset:528
.LBB37_35:
	;; [unrolled: 63-line block ×10, first 2 shown]
	s_or_b64 exec, exec, s[4:5]
	scratch_load_dwordx4 v[2:5], v101, off
	v_cmp_lt_u32_e64 s[0:1], 24, v0
	s_waitcnt vmcnt(0)
	ds_write_b128 v11, v[2:5]
	s_waitcnt lgkmcnt(0)
	; wave barrier
	s_waitcnt lgkmcnt(0)
	s_and_saveexec_b64 s[4:5], s[0:1]
	s_cbranch_execz .LBB37_107
; %bb.100:
	ds_read_b128 v[2:5], v11
	s_andn2_b64 vcc, exec, s[6:7]
	s_cbranch_vccnz .LBB37_102
; %bb.101:
	scratch_load_dwordx4 v[126:129], v10, off
	s_waitcnt vmcnt(0) lgkmcnt(0)
	v_mul_f64 v[12:13], v[2:3], v[128:129]
	v_mul_f64 v[6:7], v[4:5], v[128:129]
	v_fmac_f64_e32 v[12:13], v[4:5], v[126:127]
	v_fma_f64 v[2:3], v[2:3], v[126:127], -v[6:7]
	v_mov_b64_e32 v[4:5], v[12:13]
.LBB37_102:
	s_and_saveexec_b64 s[8:9], s[2:3]
	s_cbranch_execz .LBB37_106
; %bb.103:
	v_mov_b32_e32 v7, 0
	v_subrev_u32_e32 v6, 25, v0
	v_add_u32_e32 v7, 0x198, v7
	s_movk_i32 s10, 0x3f0
	s_mov_b64 s[2:3], 0
.LBB37_104:                             ; =>This Inner Loop Header: Depth=1
	v_add_u32_e32 v12, -8, v7
	scratch_load_dwordx4 v[126:129], v12, off
	v_mov_b32_e32 v12, s10
	ds_read_b128 v[130:133], v12
	v_add_u32_e32 v6, -1, v6
	s_add_i32 s10, s10, 16
	v_cmp_eq_u32_e32 vcc, 0, v6
	v_add_u32_e32 v7, 16, v7
	s_or_b64 s[2:3], vcc, s[2:3]
	s_waitcnt vmcnt(0) lgkmcnt(0)
	v_mul_f64 v[12:13], v[132:133], v[128:129]
	v_mul_f64 v[128:129], v[130:131], v[128:129]
	v_fma_f64 v[12:13], v[130:131], v[126:127], -v[12:13]
	v_fmac_f64_e32 v[128:129], v[132:133], v[126:127]
	v_add_f64 v[2:3], v[2:3], v[12:13]
	v_add_f64 v[4:5], v[4:5], v[128:129]
	s_andn2_b64 exec, exec, s[2:3]
	s_cbranch_execnz .LBB37_104
; %bb.105:
	s_or_b64 exec, exec, s[2:3]
.LBB37_106:
	s_or_b64 exec, exec, s[8:9]
	v_mov_b32_e32 v6, 0
	ds_read_b128 v[126:129], v6 offset:384
	s_waitcnt lgkmcnt(0)
	v_mul_f64 v[6:7], v[4:5], v[128:129]
	v_mul_f64 v[130:131], v[2:3], v[128:129]
	v_fma_f64 v[128:129], v[2:3], v[126:127], -v[6:7]
	v_fmac_f64_e32 v[130:131], v[4:5], v[126:127]
	scratch_store_dwordx4 off, v[128:131], off offset:384
.LBB37_107:
	s_or_b64 exec, exec, s[4:5]
	scratch_load_dwordx4 v[2:5], v102, off
	v_cmp_lt_u32_e64 s[2:3], 23, v0
	s_waitcnt vmcnt(0)
	ds_write_b128 v11, v[2:5]
	s_waitcnt lgkmcnt(0)
	; wave barrier
	s_waitcnt lgkmcnt(0)
	s_and_saveexec_b64 s[4:5], s[2:3]
	s_cbranch_execz .LBB37_115
; %bb.108:
	ds_read_b128 v[2:5], v11
	s_andn2_b64 vcc, exec, s[6:7]
	s_cbranch_vccnz .LBB37_110
; %bb.109:
	scratch_load_dwordx4 v[126:129], v10, off
	s_waitcnt vmcnt(0) lgkmcnt(0)
	v_mul_f64 v[12:13], v[2:3], v[128:129]
	v_mul_f64 v[6:7], v[4:5], v[128:129]
	v_fmac_f64_e32 v[12:13], v[4:5], v[126:127]
	v_fma_f64 v[2:3], v[2:3], v[126:127], -v[6:7]
	v_mov_b64_e32 v[4:5], v[12:13]
.LBB37_110:
	s_and_saveexec_b64 s[8:9], s[0:1]
	s_cbranch_execz .LBB37_114
; %bb.111:
	v_mov_b32_e32 v7, 0
	v_subrev_u32_e32 v6, 24, v0
	v_add_u32_e32 v7, 0x188, v7
	s_movk_i32 s10, 0x3e0
	s_mov_b64 s[0:1], 0
.LBB37_112:                             ; =>This Inner Loop Header: Depth=1
	v_add_u32_e32 v12, -8, v7
	scratch_load_dwordx4 v[126:129], v12, off
	v_mov_b32_e32 v12, s10
	ds_read_b128 v[130:133], v12
	v_add_u32_e32 v6, -1, v6
	s_add_i32 s10, s10, 16
	v_cmp_eq_u32_e32 vcc, 0, v6
	v_add_u32_e32 v7, 16, v7
	s_or_b64 s[0:1], vcc, s[0:1]
	s_waitcnt vmcnt(0) lgkmcnt(0)
	v_mul_f64 v[12:13], v[132:133], v[128:129]
	v_mul_f64 v[128:129], v[130:131], v[128:129]
	v_fma_f64 v[12:13], v[130:131], v[126:127], -v[12:13]
	v_fmac_f64_e32 v[128:129], v[132:133], v[126:127]
	v_add_f64 v[2:3], v[2:3], v[12:13]
	v_add_f64 v[4:5], v[4:5], v[128:129]
	s_andn2_b64 exec, exec, s[0:1]
	s_cbranch_execnz .LBB37_112
; %bb.113:
	s_or_b64 exec, exec, s[0:1]
.LBB37_114:
	s_or_b64 exec, exec, s[8:9]
	v_mov_b32_e32 v6, 0
	ds_read_b128 v[126:129], v6 offset:368
	s_waitcnt lgkmcnt(0)
	v_mul_f64 v[6:7], v[4:5], v[128:129]
	v_mul_f64 v[130:131], v[2:3], v[128:129]
	v_fma_f64 v[128:129], v[2:3], v[126:127], -v[6:7]
	v_fmac_f64_e32 v[130:131], v[4:5], v[126:127]
	scratch_store_dwordx4 off, v[128:131], off offset:368
.LBB37_115:
	;; [unrolled: 63-line block ×9, first 2 shown]
	s_or_b64 exec, exec, s[4:5]
	scratch_load_dwordx4 v[2:5], v110, off
	v_cmp_lt_u32_e64 s[2:3], 15, v0
	s_waitcnt vmcnt(0)
	ds_write_b128 v11, v[2:5]
	s_waitcnt lgkmcnt(0)
	; wave barrier
	s_waitcnt lgkmcnt(0)
	s_and_saveexec_b64 s[4:5], s[2:3]
	s_cbranch_execz .LBB37_179
; %bb.172:
	ds_read_b128 v[2:5], v11
	s_andn2_b64 vcc, exec, s[6:7]
	s_cbranch_vccnz .LBB37_174
; %bb.173:
	scratch_load_dwordx4 v[126:129], v10, off
	s_waitcnt vmcnt(0) lgkmcnt(0)
	v_mul_f64 v[12:13], v[2:3], v[128:129]
	v_mul_f64 v[6:7], v[4:5], v[128:129]
	v_fmac_f64_e32 v[12:13], v[4:5], v[126:127]
	v_fma_f64 v[2:3], v[2:3], v[126:127], -v[6:7]
	v_mov_b64_e32 v[4:5], v[12:13]
.LBB37_174:
	s_and_saveexec_b64 s[8:9], s[0:1]
	s_cbranch_execz .LBB37_178
; %bb.175:
	v_mov_b32_e32 v7, 0
	v_add_u32_e32 v6, -16, v0
	v_add_u32_e32 v7, 0x108, v7
	s_movk_i32 s10, 0x360
	s_mov_b64 s[0:1], 0
.LBB37_176:                             ; =>This Inner Loop Header: Depth=1
	v_add_u32_e32 v12, -8, v7
	scratch_load_dwordx4 v[126:129], v12, off
	v_mov_b32_e32 v12, s10
	ds_read_b128 v[130:133], v12
	v_add_u32_e32 v6, -1, v6
	s_add_i32 s10, s10, 16
	v_cmp_eq_u32_e32 vcc, 0, v6
	v_add_u32_e32 v7, 16, v7
	s_or_b64 s[0:1], vcc, s[0:1]
	s_waitcnt vmcnt(0) lgkmcnt(0)
	v_mul_f64 v[12:13], v[132:133], v[128:129]
	v_mul_f64 v[128:129], v[130:131], v[128:129]
	v_fma_f64 v[12:13], v[130:131], v[126:127], -v[12:13]
	v_fmac_f64_e32 v[128:129], v[132:133], v[126:127]
	v_add_f64 v[2:3], v[2:3], v[12:13]
	v_add_f64 v[4:5], v[4:5], v[128:129]
	s_andn2_b64 exec, exec, s[0:1]
	s_cbranch_execnz .LBB37_176
; %bb.177:
	s_or_b64 exec, exec, s[0:1]
.LBB37_178:
	s_or_b64 exec, exec, s[8:9]
	v_mov_b32_e32 v6, 0
	ds_read_b128 v[126:129], v6 offset:240
	s_waitcnt lgkmcnt(0)
	v_mul_f64 v[6:7], v[4:5], v[128:129]
	v_mul_f64 v[130:131], v[2:3], v[128:129]
	v_fma_f64 v[128:129], v[2:3], v[126:127], -v[6:7]
	v_fmac_f64_e32 v[130:131], v[4:5], v[126:127]
	scratch_store_dwordx4 off, v[128:131], off offset:240
.LBB37_179:
	s_or_b64 exec, exec, s[4:5]
	scratch_load_dwordx4 v[2:5], v111, off
	v_cmp_lt_u32_e64 s[0:1], 14, v0
	s_waitcnt vmcnt(0)
	ds_write_b128 v11, v[2:5]
	s_waitcnt lgkmcnt(0)
	; wave barrier
	s_waitcnt lgkmcnt(0)
	s_and_saveexec_b64 s[4:5], s[0:1]
	s_cbranch_execz .LBB37_187
; %bb.180:
	ds_read_b128 v[2:5], v11
	s_andn2_b64 vcc, exec, s[6:7]
	s_cbranch_vccnz .LBB37_182
; %bb.181:
	scratch_load_dwordx4 v[126:129], v10, off
	s_waitcnt vmcnt(0) lgkmcnt(0)
	v_mul_f64 v[12:13], v[2:3], v[128:129]
	v_mul_f64 v[6:7], v[4:5], v[128:129]
	v_fmac_f64_e32 v[12:13], v[4:5], v[126:127]
	v_fma_f64 v[2:3], v[2:3], v[126:127], -v[6:7]
	v_mov_b64_e32 v[4:5], v[12:13]
.LBB37_182:
	s_and_saveexec_b64 s[8:9], s[2:3]
	s_cbranch_execz .LBB37_186
; %bb.183:
	v_mov_b32_e32 v7, 0
	v_add_u32_e32 v6, -15, v0
	v_add_u32_e32 v7, 0xf8, v7
	s_movk_i32 s10, 0x350
	s_mov_b64 s[2:3], 0
.LBB37_184:                             ; =>This Inner Loop Header: Depth=1
	v_add_u32_e32 v12, -8, v7
	scratch_load_dwordx4 v[126:129], v12, off
	v_mov_b32_e32 v12, s10
	ds_read_b128 v[130:133], v12
	v_add_u32_e32 v6, -1, v6
	s_add_i32 s10, s10, 16
	v_cmp_eq_u32_e32 vcc, 0, v6
	v_add_u32_e32 v7, 16, v7
	s_or_b64 s[2:3], vcc, s[2:3]
	s_waitcnt vmcnt(0) lgkmcnt(0)
	v_mul_f64 v[12:13], v[132:133], v[128:129]
	v_mul_f64 v[128:129], v[130:131], v[128:129]
	v_fma_f64 v[12:13], v[130:131], v[126:127], -v[12:13]
	v_fmac_f64_e32 v[128:129], v[132:133], v[126:127]
	v_add_f64 v[2:3], v[2:3], v[12:13]
	v_add_f64 v[4:5], v[4:5], v[128:129]
	s_andn2_b64 exec, exec, s[2:3]
	s_cbranch_execnz .LBB37_184
; %bb.185:
	s_or_b64 exec, exec, s[2:3]
.LBB37_186:
	s_or_b64 exec, exec, s[8:9]
	v_mov_b32_e32 v6, 0
	ds_read_b128 v[126:129], v6 offset:224
	s_waitcnt lgkmcnt(0)
	v_mul_f64 v[6:7], v[4:5], v[128:129]
	v_mul_f64 v[130:131], v[2:3], v[128:129]
	v_fma_f64 v[128:129], v[2:3], v[126:127], -v[6:7]
	v_fmac_f64_e32 v[130:131], v[4:5], v[126:127]
	scratch_store_dwordx4 off, v[128:131], off offset:224
.LBB37_187:
	;; [unrolled: 63-line block ×15, first 2 shown]
	s_or_b64 exec, exec, s[2:3]
	scratch_load_dwordx4 v[2:5], off, off
	v_cmp_ne_u32_e32 vcc, 0, v0
	s_mov_b64 s[2:3], 0
	s_mov_b64 s[4:5], 0
                                        ; implicit-def: $vgpr6_vgpr7
                                        ; implicit-def: $vgpr12
	s_waitcnt vmcnt(0)
	ds_write_b128 v11, v[2:5]
	s_waitcnt lgkmcnt(0)
	; wave barrier
	s_waitcnt lgkmcnt(0)
	s_and_saveexec_b64 s[8:9], vcc
	s_cbranch_execz .LBB37_299
; %bb.292:
	ds_read_b128 v[2:5], v11
	s_andn2_b64 vcc, exec, s[6:7]
	s_cbranch_vccnz .LBB37_294
; %bb.293:
	scratch_load_dwordx4 v[126:129], v10, off
	s_waitcnt vmcnt(0) lgkmcnt(0)
	v_mul_f64 v[12:13], v[2:3], v[128:129]
	v_mul_f64 v[6:7], v[4:5], v[128:129]
	v_fmac_f64_e32 v[12:13], v[4:5], v[126:127]
	v_fma_f64 v[2:3], v[2:3], v[126:127], -v[6:7]
	v_mov_b64_e32 v[4:5], v[12:13]
.LBB37_294:
	s_and_saveexec_b64 s[4:5], s[0:1]
	s_cbranch_execz .LBB37_298
; %bb.295:
	v_mov_b32_e32 v7, 0
	v_add_u32_e32 v6, -1, v0
	v_add_u32_e32 v7, 24, v7
	s_movk_i32 s10, 0x270
	s_mov_b64 s[0:1], 0
.LBB37_296:                             ; =>This Inner Loop Header: Depth=1
	v_add_u32_e32 v12, -8, v7
	scratch_load_dwordx4 v[126:129], v12, off
	v_mov_b32_e32 v12, s10
	ds_read_b128 v[130:133], v12
	v_add_u32_e32 v6, -1, v6
	s_add_i32 s10, s10, 16
	v_cmp_eq_u32_e32 vcc, 0, v6
	v_add_u32_e32 v7, 16, v7
	s_or_b64 s[0:1], vcc, s[0:1]
	s_waitcnt vmcnt(0) lgkmcnt(0)
	v_mul_f64 v[12:13], v[132:133], v[128:129]
	v_mul_f64 v[128:129], v[130:131], v[128:129]
	v_fma_f64 v[12:13], v[130:131], v[126:127], -v[12:13]
	v_fmac_f64_e32 v[128:129], v[132:133], v[126:127]
	v_add_f64 v[2:3], v[2:3], v[12:13]
	v_add_f64 v[4:5], v[4:5], v[128:129]
	s_andn2_b64 exec, exec, s[0:1]
	s_cbranch_execnz .LBB37_296
; %bb.297:
	s_or_b64 exec, exec, s[0:1]
.LBB37_298:
	s_or_b64 exec, exec, s[4:5]
	v_mov_b32_e32 v6, 0
	ds_read_b128 v[126:129], v6
	v_mov_b32_e32 v6, 0
	v_or_b32_e32 v12, 8, v6
	s_mov_b64 s[4:5], exec
	s_waitcnt lgkmcnt(0)
	v_mul_f64 v[130:131], v[4:5], v[128:129]
	v_mul_f64 v[6:7], v[2:3], v[128:129]
	v_fma_f64 v[2:3], v[2:3], v[126:127], -v[130:131]
	v_fmac_f64_e32 v[6:7], v[4:5], v[126:127]
	scratch_store_dwordx2 off, v[2:3], off
.LBB37_299:
	s_or_b64 exec, exec, s[8:9]
	s_and_b64 vcc, exec, s[2:3]
	s_cbranch_vccnz .LBB37_301
	s_branch .LBB37_592
.LBB37_300:
	s_mov_b64 s[4:5], 0
                                        ; implicit-def: $vgpr6_vgpr7
                                        ; implicit-def: $vgpr12
	s_cbranch_execz .LBB37_592
.LBB37_301:
	scratch_load_dwordx4 v[2:5], v124, off
	v_cndmask_b32_e64 v6, 0, 1, s[6:7]
	v_cmp_eq_u32_e64 s[2:3], 0, v0
	v_cmp_ne_u32_e64 s[0:1], 1, v6
	s_waitcnt vmcnt(0)
	ds_write_b128 v11, v[2:5]
	s_waitcnt lgkmcnt(0)
	; wave barrier
	s_waitcnt lgkmcnt(0)
	s_and_saveexec_b64 s[6:7], s[2:3]
	s_cbranch_execz .LBB37_305
; %bb.302:
	ds_read_b128 v[2:5], v11
	s_and_b64 vcc, exec, s[0:1]
	s_cbranch_vccnz .LBB37_304
; %bb.303:
	scratch_load_dwordx4 v[126:129], v10, off
	s_waitcnt vmcnt(0) lgkmcnt(0)
	v_mul_f64 v[12:13], v[2:3], v[128:129]
	v_mul_f64 v[6:7], v[4:5], v[128:129]
	v_fmac_f64_e32 v[12:13], v[4:5], v[126:127]
	v_fma_f64 v[2:3], v[2:3], v[126:127], -v[6:7]
	v_mov_b64_e32 v[4:5], v[12:13]
.LBB37_304:
	v_mov_b32_e32 v6, 0
	ds_read_b128 v[126:129], v6 offset:16
	s_waitcnt lgkmcnt(0)
	v_mul_f64 v[6:7], v[4:5], v[128:129]
	v_mul_f64 v[130:131], v[2:3], v[128:129]
	v_fma_f64 v[128:129], v[2:3], v[126:127], -v[6:7]
	v_fmac_f64_e32 v[130:131], v[4:5], v[126:127]
	scratch_store_dwordx4 off, v[128:131], off offset:16
.LBB37_305:
	s_or_b64 exec, exec, s[6:7]
	scratch_load_dwordx4 v[2:5], v123, off
	v_cmp_gt_u32_e32 vcc, 2, v0
	s_waitcnt vmcnt(0)
	ds_write_b128 v11, v[2:5]
	s_waitcnt lgkmcnt(0)
	; wave barrier
	s_waitcnt lgkmcnt(0)
	s_and_saveexec_b64 s[6:7], vcc
	s_cbranch_execz .LBB37_311
; %bb.306:
	ds_read_b128 v[2:5], v11
	s_and_b64 vcc, exec, s[0:1]
	s_cbranch_vccnz .LBB37_308
; %bb.307:
	scratch_load_dwordx4 v[126:129], v10, off
	s_waitcnt vmcnt(0) lgkmcnt(0)
	v_mul_f64 v[12:13], v[2:3], v[128:129]
	v_mul_f64 v[6:7], v[4:5], v[128:129]
	v_fmac_f64_e32 v[12:13], v[4:5], v[126:127]
	v_fma_f64 v[2:3], v[2:3], v[126:127], -v[6:7]
	v_mov_b64_e32 v[4:5], v[12:13]
.LBB37_308:
	s_and_saveexec_b64 s[8:9], s[2:3]
	s_cbranch_execz .LBB37_310
; %bb.309:
	scratch_load_dwordx4 v[126:129], v10, off offset:16
	ds_read_b128 v[130:133], v11 offset:16
	s_waitcnt vmcnt(0) lgkmcnt(0)
	v_mul_f64 v[6:7], v[132:133], v[128:129]
	v_mul_f64 v[12:13], v[130:131], v[128:129]
	v_fma_f64 v[6:7], v[130:131], v[126:127], -v[6:7]
	v_fmac_f64_e32 v[12:13], v[132:133], v[126:127]
	v_add_f64 v[2:3], v[2:3], v[6:7]
	v_add_f64 v[4:5], v[4:5], v[12:13]
.LBB37_310:
	s_or_b64 exec, exec, s[8:9]
	v_mov_b32_e32 v6, 0
	ds_read_b128 v[126:129], v6 offset:32
	s_waitcnt lgkmcnt(0)
	v_mul_f64 v[6:7], v[4:5], v[128:129]
	v_mul_f64 v[130:131], v[2:3], v[128:129]
	v_fma_f64 v[128:129], v[2:3], v[126:127], -v[6:7]
	v_fmac_f64_e32 v[130:131], v[4:5], v[126:127]
	scratch_store_dwordx4 off, v[128:131], off offset:32
.LBB37_311:
	s_or_b64 exec, exec, s[6:7]
	scratch_load_dwordx4 v[2:5], v122, off
	v_cmp_gt_u32_e32 vcc, 3, v0
	s_waitcnt vmcnt(0)
	ds_write_b128 v11, v[2:5]
	s_waitcnt lgkmcnt(0)
	; wave barrier
	s_waitcnt lgkmcnt(0)
	s_and_saveexec_b64 s[6:7], vcc
	s_cbranch_execz .LBB37_319
; %bb.312:
	ds_read_b128 v[2:5], v11
	s_and_b64 vcc, exec, s[0:1]
	s_cbranch_vccnz .LBB37_314
; %bb.313:
	scratch_load_dwordx4 v[126:129], v10, off
	s_waitcnt vmcnt(0) lgkmcnt(0)
	v_mul_f64 v[12:13], v[2:3], v[128:129]
	v_mul_f64 v[6:7], v[4:5], v[128:129]
	v_fmac_f64_e32 v[12:13], v[4:5], v[126:127]
	v_fma_f64 v[2:3], v[2:3], v[126:127], -v[6:7]
	v_mov_b64_e32 v[4:5], v[12:13]
.LBB37_314:
	v_cmp_ne_u32_e32 vcc, 2, v0
	s_and_saveexec_b64 s[8:9], vcc
	s_cbranch_execz .LBB37_318
; %bb.315:
	scratch_load_dwordx4 v[126:129], v10, off offset:16
	ds_read_b128 v[130:133], v11 offset:16
	s_waitcnt vmcnt(0) lgkmcnt(0)
	v_mul_f64 v[6:7], v[132:133], v[128:129]
	v_mul_f64 v[12:13], v[130:131], v[128:129]
	v_fma_f64 v[6:7], v[130:131], v[126:127], -v[6:7]
	v_fmac_f64_e32 v[12:13], v[132:133], v[126:127]
	v_add_f64 v[2:3], v[2:3], v[6:7]
	v_add_f64 v[4:5], v[4:5], v[12:13]
	s_and_saveexec_b64 s[10:11], s[2:3]
	s_cbranch_execz .LBB37_317
; %bb.316:
	scratch_load_dwordx4 v[126:129], off, off offset:32
	v_mov_b32_e32 v6, 0
	ds_read_b128 v[130:133], v6 offset:640
	s_waitcnt vmcnt(0) lgkmcnt(0)
	v_mul_f64 v[6:7], v[130:131], v[128:129]
	v_mul_f64 v[12:13], v[132:133], v[128:129]
	v_fmac_f64_e32 v[6:7], v[132:133], v[126:127]
	v_fma_f64 v[12:13], v[130:131], v[126:127], -v[12:13]
	v_add_f64 v[4:5], v[4:5], v[6:7]
	v_add_f64 v[2:3], v[2:3], v[12:13]
.LBB37_317:
	s_or_b64 exec, exec, s[10:11]
.LBB37_318:
	s_or_b64 exec, exec, s[8:9]
	v_mov_b32_e32 v6, 0
	ds_read_b128 v[126:129], v6 offset:48
	s_waitcnt lgkmcnt(0)
	v_mul_f64 v[6:7], v[4:5], v[128:129]
	v_mul_f64 v[130:131], v[2:3], v[128:129]
	v_fma_f64 v[128:129], v[2:3], v[126:127], -v[6:7]
	v_fmac_f64_e32 v[130:131], v[4:5], v[126:127]
	scratch_store_dwordx4 off, v[128:131], off offset:48
.LBB37_319:
	s_or_b64 exec, exec, s[6:7]
	scratch_load_dwordx4 v[2:5], v121, off
	v_cmp_gt_u32_e32 vcc, 4, v0
	s_waitcnt vmcnt(0)
	ds_write_b128 v11, v[2:5]
	s_waitcnt lgkmcnt(0)
	; wave barrier
	s_waitcnt lgkmcnt(0)
	s_and_saveexec_b64 s[2:3], vcc
	s_cbranch_execz .LBB37_327
; %bb.320:
	ds_read_b128 v[2:5], v11
	s_and_b64 vcc, exec, s[0:1]
	s_cbranch_vccnz .LBB37_322
; %bb.321:
	scratch_load_dwordx4 v[126:129], v10, off
	s_waitcnt vmcnt(0) lgkmcnt(0)
	v_mul_f64 v[12:13], v[2:3], v[128:129]
	v_mul_f64 v[6:7], v[4:5], v[128:129]
	v_fmac_f64_e32 v[12:13], v[4:5], v[126:127]
	v_fma_f64 v[2:3], v[2:3], v[126:127], -v[6:7]
	v_mov_b64_e32 v[4:5], v[12:13]
.LBB37_322:
	v_cmp_ne_u32_e32 vcc, 3, v0
	s_and_saveexec_b64 s[6:7], vcc
	s_cbranch_execz .LBB37_326
; %bb.323:
	v_mov_b32_e32 v7, 0
	v_add_u32_e32 v6, 0x270, v90
	v_add3_u32 v7, v90, v7, 24
	s_mov_b64 s[8:9], 0
	v_mov_b32_e32 v12, v0
.LBB37_324:                             ; =>This Inner Loop Header: Depth=1
	v_add_u32_e32 v13, -8, v7
	scratch_load_dwordx4 v[126:129], v13, off
	ds_read_b128 v[130:133], v6
	v_add_u32_e32 v12, 1, v12
	v_cmp_lt_u32_e32 vcc, 2, v12
	v_add_u32_e32 v6, 16, v6
	v_add_u32_e32 v7, 16, v7
	s_or_b64 s[8:9], vcc, s[8:9]
	s_waitcnt vmcnt(0) lgkmcnt(0)
	v_mul_f64 v[134:135], v[132:133], v[128:129]
	v_mul_f64 v[128:129], v[130:131], v[128:129]
	v_fma_f64 v[130:131], v[130:131], v[126:127], -v[134:135]
	v_fmac_f64_e32 v[128:129], v[132:133], v[126:127]
	v_add_f64 v[2:3], v[2:3], v[130:131]
	v_add_f64 v[4:5], v[4:5], v[128:129]
	s_andn2_b64 exec, exec, s[8:9]
	s_cbranch_execnz .LBB37_324
; %bb.325:
	s_or_b64 exec, exec, s[8:9]
.LBB37_326:
	s_or_b64 exec, exec, s[6:7]
	v_mov_b32_e32 v6, 0
	ds_read_b128 v[126:129], v6 offset:64
	s_waitcnt lgkmcnt(0)
	v_mul_f64 v[6:7], v[4:5], v[128:129]
	v_mul_f64 v[130:131], v[2:3], v[128:129]
	v_fma_f64 v[128:129], v[2:3], v[126:127], -v[6:7]
	v_fmac_f64_e32 v[130:131], v[4:5], v[126:127]
	scratch_store_dwordx4 off, v[128:131], off offset:64
.LBB37_327:
	s_or_b64 exec, exec, s[2:3]
	scratch_load_dwordx4 v[2:5], v120, off
	v_cmp_gt_u32_e32 vcc, 5, v0
	s_waitcnt vmcnt(0)
	ds_write_b128 v11, v[2:5]
	s_waitcnt lgkmcnt(0)
	; wave barrier
	s_waitcnt lgkmcnt(0)
	s_and_saveexec_b64 s[2:3], vcc
	s_cbranch_execz .LBB37_335
; %bb.328:
	ds_read_b128 v[2:5], v11
	s_and_b64 vcc, exec, s[0:1]
	s_cbranch_vccnz .LBB37_330
; %bb.329:
	scratch_load_dwordx4 v[126:129], v10, off
	s_waitcnt vmcnt(0) lgkmcnt(0)
	v_mul_f64 v[12:13], v[2:3], v[128:129]
	v_mul_f64 v[6:7], v[4:5], v[128:129]
	v_fmac_f64_e32 v[12:13], v[4:5], v[126:127]
	v_fma_f64 v[2:3], v[2:3], v[126:127], -v[6:7]
	v_mov_b64_e32 v[4:5], v[12:13]
.LBB37_330:
	v_cmp_ne_u32_e32 vcc, 4, v0
	s_and_saveexec_b64 s[6:7], vcc
	s_cbranch_execz .LBB37_334
; %bb.331:
	v_mov_b32_e32 v7, 0
	v_add_u32_e32 v6, 0x270, v90
	v_add3_u32 v7, v90, v7, 24
	s_mov_b64 s[8:9], 0
	v_mov_b32_e32 v12, v0
.LBB37_332:                             ; =>This Inner Loop Header: Depth=1
	v_add_u32_e32 v13, -8, v7
	scratch_load_dwordx4 v[126:129], v13, off
	ds_read_b128 v[130:133], v6
	v_add_u32_e32 v12, 1, v12
	v_cmp_lt_u32_e32 vcc, 3, v12
	v_add_u32_e32 v6, 16, v6
	v_add_u32_e32 v7, 16, v7
	s_or_b64 s[8:9], vcc, s[8:9]
	s_waitcnt vmcnt(0) lgkmcnt(0)
	v_mul_f64 v[134:135], v[132:133], v[128:129]
	v_mul_f64 v[128:129], v[130:131], v[128:129]
	v_fma_f64 v[130:131], v[130:131], v[126:127], -v[134:135]
	v_fmac_f64_e32 v[128:129], v[132:133], v[126:127]
	v_add_f64 v[2:3], v[2:3], v[130:131]
	v_add_f64 v[4:5], v[4:5], v[128:129]
	s_andn2_b64 exec, exec, s[8:9]
	s_cbranch_execnz .LBB37_332
; %bb.333:
	s_or_b64 exec, exec, s[8:9]
.LBB37_334:
	s_or_b64 exec, exec, s[6:7]
	v_mov_b32_e32 v6, 0
	ds_read_b128 v[126:129], v6 offset:80
	s_waitcnt lgkmcnt(0)
	v_mul_f64 v[6:7], v[4:5], v[128:129]
	v_mul_f64 v[130:131], v[2:3], v[128:129]
	v_fma_f64 v[128:129], v[2:3], v[126:127], -v[6:7]
	v_fmac_f64_e32 v[130:131], v[4:5], v[126:127]
	scratch_store_dwordx4 off, v[128:131], off offset:80
.LBB37_335:
	;; [unrolled: 63-line block ×32, first 2 shown]
	s_or_b64 exec, exec, s[2:3]
	scratch_load_dwordx4 v[2:5], v8, off
	v_cmp_gt_u32_e64 s[2:3], 36, v0
	s_waitcnt vmcnt(0)
	ds_write_b128 v11, v[2:5]
	s_waitcnt lgkmcnt(0)
	; wave barrier
	s_waitcnt lgkmcnt(0)
	s_and_saveexec_b64 s[6:7], s[2:3]
	s_cbranch_execz .LBB37_583
; %bb.576:
	ds_read_b128 v[2:5], v11
	s_and_b64 vcc, exec, s[0:1]
	s_cbranch_vccnz .LBB37_578
; %bb.577:
	scratch_load_dwordx4 v[126:129], v10, off
	s_waitcnt vmcnt(0) lgkmcnt(0)
	v_mul_f64 v[12:13], v[2:3], v[128:129]
	v_mul_f64 v[6:7], v[4:5], v[128:129]
	v_fmac_f64_e32 v[12:13], v[4:5], v[126:127]
	v_fma_f64 v[2:3], v[2:3], v[126:127], -v[6:7]
	v_mov_b64_e32 v[4:5], v[12:13]
.LBB37_578:
	v_cmp_ne_u32_e32 vcc, 35, v0
	s_and_saveexec_b64 s[8:9], vcc
	s_cbranch_execz .LBB37_582
; %bb.579:
	v_mov_b32_e32 v7, 0
	v_add_u32_e32 v6, 0x270, v90
	v_add3_u32 v7, v90, v7, 24
	s_mov_b64 s[10:11], 0
	v_mov_b32_e32 v12, v0
.LBB37_580:                             ; =>This Inner Loop Header: Depth=1
	v_add_u32_e32 v13, -8, v7
	scratch_load_dwordx4 v[126:129], v13, off
	ds_read_b128 v[130:133], v6
	v_add_u32_e32 v12, 1, v12
	v_cmp_lt_u32_e32 vcc, 34, v12
	v_add_u32_e32 v6, 16, v6
	v_add_u32_e32 v7, 16, v7
	s_or_b64 s[10:11], vcc, s[10:11]
	s_waitcnt vmcnt(0) lgkmcnt(0)
	v_mul_f64 v[134:135], v[132:133], v[128:129]
	v_mul_f64 v[128:129], v[130:131], v[128:129]
	v_fma_f64 v[130:131], v[130:131], v[126:127], -v[134:135]
	v_fmac_f64_e32 v[128:129], v[132:133], v[126:127]
	v_add_f64 v[2:3], v[2:3], v[130:131]
	v_add_f64 v[4:5], v[4:5], v[128:129]
	s_andn2_b64 exec, exec, s[10:11]
	s_cbranch_execnz .LBB37_580
; %bb.581:
	s_or_b64 exec, exec, s[10:11]
.LBB37_582:
	s_or_b64 exec, exec, s[8:9]
	v_mov_b32_e32 v6, 0
	ds_read_b128 v[126:129], v6 offset:576
	s_waitcnt lgkmcnt(0)
	v_mul_f64 v[6:7], v[4:5], v[128:129]
	v_mul_f64 v[130:131], v[2:3], v[128:129]
	v_fma_f64 v[128:129], v[2:3], v[126:127], -v[6:7]
	v_fmac_f64_e32 v[130:131], v[4:5], v[126:127]
	scratch_store_dwordx4 off, v[128:131], off offset:576
.LBB37_583:
	s_or_b64 exec, exec, s[6:7]
	scratch_load_dwordx4 v[2:5], v1, off
	v_cmp_ne_u32_e32 vcc, 37, v0
                                        ; implicit-def: $vgpr6_vgpr7
                                        ; implicit-def: $vgpr12
	s_waitcnt vmcnt(0)
	ds_write_b128 v11, v[2:5]
	s_waitcnt lgkmcnt(0)
	; wave barrier
	s_waitcnt lgkmcnt(0)
	s_and_saveexec_b64 s[6:7], vcc
	s_cbranch_execz .LBB37_591
; %bb.584:
	ds_read_b128 v[2:5], v11
	s_and_b64 vcc, exec, s[0:1]
	s_cbranch_vccnz .LBB37_586
; %bb.585:
	scratch_load_dwordx4 v[10:13], v10, off
	s_waitcnt vmcnt(0) lgkmcnt(0)
	v_mul_f64 v[6:7], v[4:5], v[12:13]
	v_mul_f64 v[12:13], v[2:3], v[12:13]
	v_fmac_f64_e32 v[12:13], v[4:5], v[10:11]
	v_fma_f64 v[2:3], v[2:3], v[10:11], -v[6:7]
	v_mov_b64_e32 v[4:5], v[12:13]
.LBB37_586:
	s_and_saveexec_b64 s[0:1], s[2:3]
	s_cbranch_execz .LBB37_590
; %bb.587:
	v_mov_b32_e32 v7, 0
	v_add_u32_e32 v6, 0x270, v90
	v_add3_u32 v7, v90, v7, 24
	s_mov_b64 s[2:3], 0
.LBB37_588:                             ; =>This Inner Loop Header: Depth=1
	v_add_u32_e32 v10, -8, v7
	scratch_load_dwordx4 v[10:13], v10, off
	ds_read_b128 v[126:129], v6
	v_add_u32_e32 v0, 1, v0
	v_cmp_lt_u32_e32 vcc, 35, v0
	v_add_u32_e32 v6, 16, v6
	v_add_u32_e32 v7, 16, v7
	s_or_b64 s[2:3], vcc, s[2:3]
	s_waitcnt vmcnt(0) lgkmcnt(0)
	v_mul_f64 v[130:131], v[128:129], v[12:13]
	v_mul_f64 v[12:13], v[126:127], v[12:13]
	v_fma_f64 v[126:127], v[126:127], v[10:11], -v[130:131]
	v_fmac_f64_e32 v[12:13], v[128:129], v[10:11]
	v_add_f64 v[2:3], v[2:3], v[126:127]
	v_add_f64 v[4:5], v[4:5], v[12:13]
	s_andn2_b64 exec, exec, s[2:3]
	s_cbranch_execnz .LBB37_588
; %bb.589:
	s_or_b64 exec, exec, s[2:3]
.LBB37_590:
	s_or_b64 exec, exec, s[0:1]
	v_mov_b32_e32 v0, 0
	ds_read_b128 v[126:129], v0 offset:592
	v_mov_b32_e32 v0, 0
	v_add_u32_e32 v12, 0x258, v0
	s_or_b64 s[4:5], s[4:5], exec
	s_waitcnt lgkmcnt(0)
	v_mul_f64 v[10:11], v[4:5], v[128:129]
	v_mul_f64 v[6:7], v[2:3], v[128:129]
	v_fma_f64 v[2:3], v[2:3], v[126:127], -v[10:11]
	v_fmac_f64_e32 v[6:7], v[4:5], v[126:127]
	scratch_store_dwordx2 off, v[2:3], off offset:592
.LBB37_591:
	s_or_b64 exec, exec, s[6:7]
.LBB37_592:
	s_and_saveexec_b64 s[0:1], s[4:5]
	s_cbranch_execz .LBB37_594
; %bb.593:
	scratch_store_dwordx2 v12, v[6:7], off
.LBB37_594:
	s_or_b64 exec, exec, s[0:1]
	scratch_load_dwordx4 v[2:5], off, off
	scratch_load_dwordx4 v[10:13], v124, off
	scratch_load_dwordx4 v[126:129], v123, off
                                        ; kill: killed $vgpr124
                                        ; kill: killed $vgpr123
	s_nop 0
	scratch_load_dwordx4 v[122:125], v122, off
	s_nop 0
	scratch_load_dwordx4 v[130:133], v121, off
	scratch_load_dwordx4 v[134:137], v120, off
	scratch_load_dwordx4 v[138:141], v119, off
	s_nop 0
	scratch_load_dwordx4 v[118:121], v118, off
	s_nop 0
	scratch_load_dwordx4 v[142:145], v117, off
	scratch_load_dwordx4 v[146:149], v116, off
	scratch_load_dwordx4 v[150:153], v115, off
	;; [unrolled: 6-line block ×3, first 2 shown]
	s_nop 0
	scratch_load_dwordx4 v[110:113], v110, off
	s_waitcnt vmcnt(15)
	global_store_dwordx4 v[46:47], v[2:5], off
	scratch_load_dwordx4 v[2:5], v109, off
	s_nop 0
	scratch_load_dwordx4 v[166:169], v108, off
	s_waitcnt vmcnt(17)
	global_store_dwordx4 v[40:41], v[10:13], off
	scratch_load_dwordx4 v[10:13], v107, off
	;; [unrolled: 5-line block ×11, first 2 shown]
	s_nop 0
	scratch_load_dwordx4 v[150:153], v1, off
	s_waitcnt vmcnt(37)
	global_store_dwordx4 v[16:17], v[114:117], off
	s_waitcnt vmcnt(37)
	global_store_dwordx4 v[20:21], v[154:157], off
	;; [unrolled: 2-line block ×27, first 2 shown]
.LBB37_595:
	s_endpgm
	.section	.rodata,"a",@progbits
	.p2align	6, 0x0
	.amdhsa_kernel _ZN9rocsolver6v33100L18trti2_kernel_smallILi38E19rocblas_complex_numIdEPS3_EEv13rocblas_fill_17rocblas_diagonal_T1_iil
		.amdhsa_group_segment_fixed_size 1216
		.amdhsa_private_segment_fixed_size 624
		.amdhsa_kernarg_size 32
		.amdhsa_user_sgpr_count 2
		.amdhsa_user_sgpr_dispatch_ptr 0
		.amdhsa_user_sgpr_queue_ptr 0
		.amdhsa_user_sgpr_kernarg_segment_ptr 1
		.amdhsa_user_sgpr_dispatch_id 0
		.amdhsa_user_sgpr_kernarg_preload_length 0
		.amdhsa_user_sgpr_kernarg_preload_offset 0
		.amdhsa_user_sgpr_private_segment_size 0
		.amdhsa_uses_dynamic_stack 0
		.amdhsa_enable_private_segment 1
		.amdhsa_system_sgpr_workgroup_id_x 1
		.amdhsa_system_sgpr_workgroup_id_y 0
		.amdhsa_system_sgpr_workgroup_id_z 0
		.amdhsa_system_sgpr_workgroup_info 0
		.amdhsa_system_vgpr_workitem_id 0
		.amdhsa_next_free_vgpr 174
		.amdhsa_next_free_sgpr 12
		.amdhsa_accum_offset 176
		.amdhsa_reserve_vcc 1
		.amdhsa_float_round_mode_32 0
		.amdhsa_float_round_mode_16_64 0
		.amdhsa_float_denorm_mode_32 3
		.amdhsa_float_denorm_mode_16_64 3
		.amdhsa_dx10_clamp 1
		.amdhsa_ieee_mode 1
		.amdhsa_fp16_overflow 0
		.amdhsa_tg_split 0
		.amdhsa_exception_fp_ieee_invalid_op 0
		.amdhsa_exception_fp_denorm_src 0
		.amdhsa_exception_fp_ieee_div_zero 0
		.amdhsa_exception_fp_ieee_overflow 0
		.amdhsa_exception_fp_ieee_underflow 0
		.amdhsa_exception_fp_ieee_inexact 0
		.amdhsa_exception_int_div_zero 0
	.end_amdhsa_kernel
	.section	.text._ZN9rocsolver6v33100L18trti2_kernel_smallILi38E19rocblas_complex_numIdEPS3_EEv13rocblas_fill_17rocblas_diagonal_T1_iil,"axG",@progbits,_ZN9rocsolver6v33100L18trti2_kernel_smallILi38E19rocblas_complex_numIdEPS3_EEv13rocblas_fill_17rocblas_diagonal_T1_iil,comdat
.Lfunc_end37:
	.size	_ZN9rocsolver6v33100L18trti2_kernel_smallILi38E19rocblas_complex_numIdEPS3_EEv13rocblas_fill_17rocblas_diagonal_T1_iil, .Lfunc_end37-_ZN9rocsolver6v33100L18trti2_kernel_smallILi38E19rocblas_complex_numIdEPS3_EEv13rocblas_fill_17rocblas_diagonal_T1_iil
                                        ; -- End function
	.section	.AMDGPU.csdata,"",@progbits
; Kernel info:
; codeLenInByte = 25004
; NumSgprs: 18
; NumVgprs: 174
; NumAgprs: 0
; TotalNumVgprs: 174
; ScratchSize: 624
; MemoryBound: 0
; FloatMode: 240
; IeeeMode: 1
; LDSByteSize: 1216 bytes/workgroup (compile time only)
; SGPRBlocks: 2
; VGPRBlocks: 21
; NumSGPRsForWavesPerEU: 18
; NumVGPRsForWavesPerEU: 174
; AccumOffset: 176
; Occupancy: 2
; WaveLimiterHint : 0
; COMPUTE_PGM_RSRC2:SCRATCH_EN: 1
; COMPUTE_PGM_RSRC2:USER_SGPR: 2
; COMPUTE_PGM_RSRC2:TRAP_HANDLER: 0
; COMPUTE_PGM_RSRC2:TGID_X_EN: 1
; COMPUTE_PGM_RSRC2:TGID_Y_EN: 0
; COMPUTE_PGM_RSRC2:TGID_Z_EN: 0
; COMPUTE_PGM_RSRC2:TIDIG_COMP_CNT: 0
; COMPUTE_PGM_RSRC3_GFX90A:ACCUM_OFFSET: 43
; COMPUTE_PGM_RSRC3_GFX90A:TG_SPLIT: 0
	.section	.text._ZN9rocsolver6v33100L18trti2_kernel_smallILi39E19rocblas_complex_numIdEPS3_EEv13rocblas_fill_17rocblas_diagonal_T1_iil,"axG",@progbits,_ZN9rocsolver6v33100L18trti2_kernel_smallILi39E19rocblas_complex_numIdEPS3_EEv13rocblas_fill_17rocblas_diagonal_T1_iil,comdat
	.globl	_ZN9rocsolver6v33100L18trti2_kernel_smallILi39E19rocblas_complex_numIdEPS3_EEv13rocblas_fill_17rocblas_diagonal_T1_iil ; -- Begin function _ZN9rocsolver6v33100L18trti2_kernel_smallILi39E19rocblas_complex_numIdEPS3_EEv13rocblas_fill_17rocblas_diagonal_T1_iil
	.p2align	8
	.type	_ZN9rocsolver6v33100L18trti2_kernel_smallILi39E19rocblas_complex_numIdEPS3_EEv13rocblas_fill_17rocblas_diagonal_T1_iil,@function
_ZN9rocsolver6v33100L18trti2_kernel_smallILi39E19rocblas_complex_numIdEPS3_EEv13rocblas_fill_17rocblas_diagonal_T1_iil: ; @_ZN9rocsolver6v33100L18trti2_kernel_smallILi39E19rocblas_complex_numIdEPS3_EEv13rocblas_fill_17rocblas_diagonal_T1_iil
; %bb.0:
	v_cmp_gt_u32_e32 vcc, 39, v0
	s_and_saveexec_b64 s[4:5], vcc
	s_cbranch_execz .LBB38_611
; %bb.1:
	s_load_dwordx8 s[4:11], s[0:1], 0x0
	s_ashr_i32 s3, s2, 31
	v_lshlrev_b32_e32 v62, 4, v0
	v_mov_b32_e32 v63, 0
	v_mov_b32_e32 v1, 0
	s_waitcnt lgkmcnt(0)
	s_ashr_i32 s1, s8, 31
	s_mov_b32 s0, s8
	s_mul_i32 s8, s2, s11
	s_mul_hi_u32 s11, s2, s10
	s_add_i32 s8, s11, s8
	s_mul_i32 s3, s3, s10
	s_add_i32 s3, s8, s3
	s_mul_i32 s2, s2, s10
	s_lshl_b64 s[2:3], s[2:3], 4
	s_add_u32 s2, s6, s2
	s_addc_u32 s3, s7, s3
	s_lshl_b64 s[0:1], s[0:1], 4
	s_add_u32 s0, s2, s0
	s_addc_u32 s1, s3, s1
	v_lshl_add_u64 v[14:15], s[0:1], 0, v[62:63]
	s_ashr_i32 s3, s9, 31
	s_mov_b32 s2, s9
	v_lshl_add_u64 v[16:17], s[2:3], 4, v[14:15]
	s_add_i32 s2, s9, s9
	v_add_u32_e32 v20, s2, v0
	v_add_u32_e32 v22, s9, v20
	;; [unrolled: 1-line block ×6, first 2 shown]
	v_ashrrev_i32_e32 v21, 31, v20
	v_ashrrev_i32_e32 v23, 31, v22
	;; [unrolled: 1-line block ×6, first 2 shown]
	v_lshl_add_u64 v[18:19], v[20:21], 4, s[0:1]
	v_lshl_add_u64 v[20:21], v[22:23], 4, s[0:1]
	;; [unrolled: 1-line block ×6, first 2 shown]
	v_add_u32_e32 v30, s9, v30
	v_add_u32_e32 v32, s9, v30
	;; [unrolled: 1-line block ×6, first 2 shown]
	v_ashrrev_i32_e32 v43, 31, v42
	v_lshl_add_u64 v[40:41], v[42:43], 4, s[0:1]
	v_add_u32_e32 v42, s9, v42
	v_add_u32_e32 v44, s9, v42
	v_ashrrev_i32_e32 v33, 31, v32
	v_ashrrev_i32_e32 v37, 31, v36
	;; [unrolled: 1-line block ×3, first 2 shown]
	v_add_u32_e32 v46, s9, v44
	v_ashrrev_i32_e32 v31, 31, v30
	v_lshl_add_u64 v[32:33], v[32:33], 4, s[0:1]
	v_ashrrev_i32_e32 v35, 31, v34
	v_lshl_add_u64 v[36:37], v[36:37], 4, s[0:1]
	v_ashrrev_i32_e32 v39, 31, v38
	v_ashrrev_i32_e32 v43, 31, v42
	v_lshl_add_u64 v[44:45], v[44:45], 4, s[0:1]
	v_ashrrev_i32_e32 v47, 31, v46
	global_load_dwordx4 v[2:5], v62, s[0:1]
	global_load_dwordx4 v[6:9], v[16:17], off
	global_load_dwordx4 v[10:13], v[18:19], off
	global_load_dwordx4 v[52:55], v[20:21], off
	global_load_dwordx4 v[56:59], v[22:23], off
	global_load_dwordx4 v[64:67], v[24:25], off
	global_load_dwordx4 v[68:71], v[26:27], off
	v_lshl_add_u64 v[30:31], v[30:31], 4, s[0:1]
	global_load_dwordx4 v[72:75], v[28:29], off
	global_load_dwordx4 v[76:79], v[30:31], off
	v_lshl_add_u64 v[34:35], v[34:35], 4, s[0:1]
	global_load_dwordx4 v[80:83], v[32:33], off
	global_load_dwordx4 v[84:87], v[34:35], off
	;; [unrolled: 3-line block ×4, first 2 shown]
	v_add_u32_e32 v50, s9, v46
	v_lshl_add_u64 v[46:47], v[46:47], 4, s[0:1]
	global_load_dwordx4 v[104:107], v[44:45], off
	global_load_dwordx4 v[108:111], v[46:47], off
	v_ashrrev_i32_e32 v51, 31, v50
	v_lshl_add_u64 v[48:49], v[50:51], 4, s[0:1]
	global_load_dwordx4 v[112:115], v[48:49], off
	v_add_u32_e32 v60, s9, v50
	v_ashrrev_i32_e32 v61, 31, v60
	v_lshl_add_u64 v[50:51], v[60:61], 4, s[0:1]
	global_load_dwordx4 v[116:119], v[50:51], off
	v_add_u32_e32 v60, s9, v60
	v_ashrrev_i32_e32 v61, 31, v60
	s_cmpk_lg_i32 s5, 0x84
	s_cselect_b64 s[6:7], -1, 0
	s_cmpk_eq_i32 s5, 0x84
	s_waitcnt vmcnt(18)
	scratch_store_dwordx4 off, v[2:5], off
	s_waitcnt vmcnt(18)
	scratch_store_dwordx4 off, v[6:9], off offset:16
	s_waitcnt vmcnt(18)
	scratch_store_dwordx4 off, v[10:13], off offset:32
	;; [unrolled: 2-line block ×17, first 2 shown]
	v_add_u32_e32 v10, s9, v60
	v_ashrrev_i32_e32 v11, 31, v10
	v_lshl_add_u64 v[54:55], v[10:11], 4, s[0:1]
	v_add_u32_e32 v10, s9, v10
	v_lshl_add_u64 v[52:53], v[60:61], 4, s[0:1]
	v_add_u32_e32 v60, s9, v10
	v_add_u32_e32 v64, s9, v60
	;; [unrolled: 1-line block ×16, first 2 shown]
	v_ashrrev_i32_e32 v61, 31, v60
	v_ashrrev_i32_e32 v65, 31, v64
	;; [unrolled: 1-line block ×17, first 2 shown]
	v_lshl_add_u64 v[58:59], v[60:61], 4, s[0:1]
	v_lshl_add_u64 v[60:61], v[64:65], 4, s[0:1]
	;; [unrolled: 1-line block ×16, first 2 shown]
	v_add_u32_e32 v92, s9, v92
	global_load_dwordx4 v[2:5], v[52:53], off
	global_load_dwordx4 v[6:9], v[54:55], off
	v_lshl_add_u64 v[56:57], v[10:11], 4, s[0:1]
	s_waitcnt vmcnt(20)
	scratch_store_dwordx4 off, v[116:119], off offset:288
	v_ashrrev_i32_e32 v93, 31, v92
	global_load_dwordx4 v[10:13], v[56:57], off
	global_load_dwordx4 v[94:97], v[58:59], off
	;; [unrolled: 1-line block ×16, first 2 shown]
	v_lshl_add_u64 v[92:93], v[92:93], 4, s[0:1]
	global_load_dwordx4 v[154:157], v[90:91], off
	global_load_dwordx4 v[158:161], v[92:93], off
	s_waitcnt vmcnt(20)
	scratch_store_dwordx4 off, v[2:5], off offset:304
	s_waitcnt vmcnt(20)
	scratch_store_dwordx4 off, v[6:9], off offset:320
	;; [unrolled: 2-line block ×20, first 2 shown]
	s_cbranch_scc1 .LBB38_7
; %bb.2:
	scratch_load_dwordx4 v[6:9], v62, off
                                        ; implicit-def: $vgpr10_vgpr11
	s_waitcnt vmcnt(0)
	v_xor_b32_e32 v3, 0x80000000, v7
	v_cmp_gt_f64_e32 vcc, 0, v[6:7]
	v_xor_b32_e32 v4, 0x80000000, v9
	v_mov_b32_e32 v2, v6
	v_cndmask_b32_e32 v3, v7, v3, vcc
	v_cmp_gt_f64_e32 vcc, 0, v[8:9]
	s_nop 1
	v_cndmask_b32_e32 v5, v9, v4, vcc
	v_mov_b32_e32 v4, v8
	v_cmp_ngt_f64_e32 vcc, v[2:3], v[4:5]
                                        ; implicit-def: $vgpr2_vgpr3
	s_and_saveexec_b64 s[0:1], vcc
	s_xor_b64 s[0:1], exec, s[0:1]
	s_cbranch_execz .LBB38_4
; %bb.3:
	v_div_scale_f64 v[2:3], s[2:3], v[8:9], v[8:9], v[6:7]
	v_rcp_f64_e32 v[4:5], v[2:3]
	v_div_scale_f64 v[10:11], vcc, v[6:7], v[8:9], v[6:7]
	v_fma_f64 v[12:13], -v[2:3], v[4:5], 1.0
	v_fmac_f64_e32 v[4:5], v[4:5], v[12:13]
	v_fma_f64 v[12:13], -v[2:3], v[4:5], 1.0
	v_fmac_f64_e32 v[4:5], v[4:5], v[12:13]
	v_mul_f64 v[12:13], v[10:11], v[4:5]
	v_fma_f64 v[2:3], -v[2:3], v[12:13], v[10:11]
	v_div_fmas_f64 v[2:3], v[2:3], v[4:5], v[12:13]
	v_div_fixup_f64 v[2:3], v[2:3], v[8:9], v[6:7]
	v_fmac_f64_e32 v[8:9], v[6:7], v[2:3]
	v_div_scale_f64 v[4:5], s[2:3], v[8:9], v[8:9], 1.0
	v_rcp_f64_e32 v[6:7], v[4:5]
	s_nop 0
	v_fma_f64 v[10:11], -v[4:5], v[6:7], 1.0
	v_fmac_f64_e32 v[6:7], v[6:7], v[10:11]
	v_fma_f64 v[10:11], -v[4:5], v[6:7], 1.0
	v_fmac_f64_e32 v[6:7], v[6:7], v[10:11]
	v_div_scale_f64 v[10:11], vcc, 1.0, v[8:9], 1.0
	v_mul_f64 v[12:13], v[10:11], v[6:7]
	v_fma_f64 v[4:5], -v[4:5], v[12:13], v[10:11]
	s_nop 1
	v_div_fmas_f64 v[4:5], v[4:5], v[6:7], v[12:13]
	v_div_fixup_f64 v[4:5], v[4:5], v[8:9], 1.0
	v_mul_f64 v[2:3], v[2:3], v[4:5]
	v_xor_b32_e32 v5, 0x80000000, v5
	v_xor_b32_e32 v11, 0x80000000, v3
	v_mov_b32_e32 v10, v2
                                        ; implicit-def: $vgpr6_vgpr7
.LBB38_4:
	s_or_saveexec_b64 s[0:1], s[0:1]
	v_add_u32_e32 v12, 0, v62
	s_xor_b64 exec, exec, s[0:1]
	s_cbranch_execz .LBB38_6
; %bb.5:
	v_div_scale_f64 v[2:3], s[2:3], v[6:7], v[6:7], v[8:9]
	v_rcp_f64_e32 v[4:5], v[2:3]
	v_div_scale_f64 v[10:11], vcc, v[8:9], v[6:7], v[8:9]
	v_fma_f64 v[94:95], -v[2:3], v[4:5], 1.0
	v_fmac_f64_e32 v[4:5], v[4:5], v[94:95]
	v_fma_f64 v[94:95], -v[2:3], v[4:5], 1.0
	v_fmac_f64_e32 v[4:5], v[4:5], v[94:95]
	v_mul_f64 v[94:95], v[10:11], v[4:5]
	v_fma_f64 v[2:3], -v[2:3], v[94:95], v[10:11]
	v_div_fmas_f64 v[2:3], v[2:3], v[4:5], v[94:95]
	v_div_fixup_f64 v[4:5], v[2:3], v[6:7], v[8:9]
	v_fmac_f64_e32 v[6:7], v[8:9], v[4:5]
	v_div_scale_f64 v[2:3], s[2:3], v[6:7], v[6:7], 1.0
	v_rcp_f64_e32 v[8:9], v[2:3]
	s_nop 0
	v_fma_f64 v[10:11], -v[2:3], v[8:9], 1.0
	v_fmac_f64_e32 v[8:9], v[8:9], v[10:11]
	v_fma_f64 v[10:11], -v[2:3], v[8:9], 1.0
	v_fmac_f64_e32 v[8:9], v[8:9], v[10:11]
	v_div_scale_f64 v[10:11], vcc, 1.0, v[6:7], 1.0
	v_mul_f64 v[94:95], v[10:11], v[8:9]
	v_fma_f64 v[2:3], -v[2:3], v[94:95], v[10:11]
	s_nop 1
	v_div_fmas_f64 v[2:3], v[2:3], v[8:9], v[94:95]
	v_div_fixup_f64 v[2:3], v[2:3], v[6:7], 1.0
	v_xor_b32_e32 v11, 0x80000000, v3
	v_mov_b32_e32 v10, v2
	v_mul_f64 v[4:5], v[4:5], -v[2:3]
.LBB38_6:
	s_or_b64 exec, exec, s[0:1]
	scratch_store_dwordx4 v12, v[2:5], off
	s_nop 1
	v_xor_b32_e32 v5, 0x80000000, v5
	s_branch .LBB38_8
.LBB38_7:
	v_mov_b64_e32 v[4:5], 0
	v_mov_b64_e32 v[10:11], -1.0
.LBB38_8:
	v_mov_b32_e32 v12, v4
	v_mov_b32_e32 v13, v5
	v_add_u32_e32 v127, 16, v1
	v_add_u32_e32 v126, 32, v1
	;; [unrolled: 1-line block ×38, first 2 shown]
	ds_write_b128 v62, v[10:13]
	s_cmpk_eq_i32 s4, 0x79
	v_add_u32_e32 v11, 0x270, v62
	v_add_u32_e32 v10, 0, v62
	s_cbranch_scc1 .LBB38_308
; %bb.9:
	scratch_load_dwordx4 v[2:5], v8, off
	v_cmp_eq_u32_e64 s[0:1], 38, v0
	s_waitcnt vmcnt(0)
	ds_write_b128 v11, v[2:5]
	s_waitcnt lgkmcnt(0)
	; wave barrier
	s_waitcnt lgkmcnt(0)
	s_and_saveexec_b64 s[2:3], s[0:1]
	s_cbranch_execz .LBB38_13
; %bb.10:
	ds_read_b128 v[2:5], v11
	s_andn2_b64 vcc, exec, s[6:7]
	s_cbranch_vccnz .LBB38_12
; %bb.11:
	scratch_load_dwordx4 v[128:131], v10, off
	s_waitcnt vmcnt(0) lgkmcnt(0)
	v_mul_f64 v[12:13], v[2:3], v[130:131]
	v_mul_f64 v[6:7], v[4:5], v[130:131]
	v_fmac_f64_e32 v[12:13], v[4:5], v[128:129]
	v_fma_f64 v[2:3], v[2:3], v[128:129], -v[6:7]
	v_mov_b64_e32 v[4:5], v[12:13]
.LBB38_12:
	v_mov_b32_e32 v6, 0
	ds_read_b128 v[128:131], v6 offset:592
	s_waitcnt lgkmcnt(0)
	v_mul_f64 v[6:7], v[4:5], v[130:131]
	v_mul_f64 v[132:133], v[2:3], v[130:131]
	v_fma_f64 v[130:131], v[2:3], v[128:129], -v[6:7]
	v_fmac_f64_e32 v[132:133], v[4:5], v[128:129]
	scratch_store_dwordx4 off, v[130:133], off offset:592
.LBB38_13:
	s_or_b64 exec, exec, s[2:3]
	scratch_load_dwordx4 v[2:5], v9, off
	v_cmp_lt_u32_e64 s[2:3], 36, v0
	s_waitcnt vmcnt(0)
	ds_write_b128 v11, v[2:5]
	s_waitcnt lgkmcnt(0)
	; wave barrier
	s_waitcnt lgkmcnt(0)
	s_and_saveexec_b64 s[4:5], s[2:3]
	s_cbranch_execz .LBB38_19
; %bb.14:
	ds_read_b128 v[2:5], v11
	s_andn2_b64 vcc, exec, s[6:7]
	s_cbranch_vccnz .LBB38_16
; %bb.15:
	scratch_load_dwordx4 v[128:131], v10, off
	s_waitcnt vmcnt(0) lgkmcnt(0)
	v_mul_f64 v[12:13], v[2:3], v[130:131]
	v_mul_f64 v[6:7], v[4:5], v[130:131]
	v_fmac_f64_e32 v[12:13], v[4:5], v[128:129]
	v_fma_f64 v[2:3], v[2:3], v[128:129], -v[6:7]
	v_mov_b64_e32 v[4:5], v[12:13]
.LBB38_16:
	s_and_saveexec_b64 s[8:9], s[0:1]
	s_cbranch_execz .LBB38_18
; %bb.17:
	scratch_load_dwordx4 v[128:131], off, off offset:592
	v_mov_b32_e32 v6, 0
	ds_read_b128 v[132:135], v6 offset:1216
	s_waitcnt vmcnt(0) lgkmcnt(0)
	v_mul_f64 v[6:7], v[132:133], v[130:131]
	v_mul_f64 v[12:13], v[134:135], v[130:131]
	v_fmac_f64_e32 v[6:7], v[134:135], v[128:129]
	v_fma_f64 v[12:13], v[132:133], v[128:129], -v[12:13]
	v_add_f64 v[4:5], v[4:5], v[6:7]
	v_add_f64 v[2:3], v[2:3], v[12:13]
.LBB38_18:
	s_or_b64 exec, exec, s[8:9]
	v_mov_b32_e32 v6, 0
	ds_read_b128 v[128:131], v6 offset:576
	s_waitcnt lgkmcnt(0)
	v_mul_f64 v[6:7], v[4:5], v[130:131]
	v_mul_f64 v[132:133], v[2:3], v[130:131]
	v_fma_f64 v[130:131], v[2:3], v[128:129], -v[6:7]
	v_fmac_f64_e32 v[132:133], v[4:5], v[128:129]
	scratch_store_dwordx4 off, v[130:133], off offset:576
.LBB38_19:
	s_or_b64 exec, exec, s[4:5]
	scratch_load_dwordx4 v[2:5], v63, off
	v_cmp_lt_u32_e64 s[0:1], 35, v0
	s_waitcnt vmcnt(0)
	ds_write_b128 v11, v[2:5]
	s_waitcnt lgkmcnt(0)
	; wave barrier
	s_waitcnt lgkmcnt(0)
	s_and_saveexec_b64 s[4:5], s[0:1]
	s_cbranch_execz .LBB38_27
; %bb.20:
	ds_read_b128 v[2:5], v11
	s_andn2_b64 vcc, exec, s[6:7]
	s_cbranch_vccnz .LBB38_22
; %bb.21:
	scratch_load_dwordx4 v[128:131], v10, off
	s_waitcnt vmcnt(0) lgkmcnt(0)
	v_mul_f64 v[12:13], v[2:3], v[130:131]
	v_mul_f64 v[6:7], v[4:5], v[130:131]
	v_fmac_f64_e32 v[12:13], v[4:5], v[128:129]
	v_fma_f64 v[2:3], v[2:3], v[128:129], -v[6:7]
	v_mov_b64_e32 v[4:5], v[12:13]
.LBB38_22:
	s_and_saveexec_b64 s[8:9], s[2:3]
	s_cbranch_execz .LBB38_26
; %bb.23:
	v_mov_b32_e32 v7, 0
	v_subrev_u32_e32 v6, 36, v0
	v_add_u32_e32 v7, 0x248, v7
	s_movk_i32 s10, 0x4b0
	s_mov_b64 s[2:3], 0
.LBB38_24:                              ; =>This Inner Loop Header: Depth=1
	v_add_u32_e32 v12, -8, v7
	scratch_load_dwordx4 v[128:131], v12, off
	v_mov_b32_e32 v12, s10
	ds_read_b128 v[132:135], v12
	v_add_u32_e32 v6, -1, v6
	s_add_i32 s10, s10, 16
	v_cmp_eq_u32_e32 vcc, 0, v6
	v_add_u32_e32 v7, 16, v7
	s_or_b64 s[2:3], vcc, s[2:3]
	s_waitcnt vmcnt(0) lgkmcnt(0)
	v_mul_f64 v[12:13], v[134:135], v[130:131]
	v_mul_f64 v[130:131], v[132:133], v[130:131]
	v_fma_f64 v[12:13], v[132:133], v[128:129], -v[12:13]
	v_fmac_f64_e32 v[130:131], v[134:135], v[128:129]
	v_add_f64 v[2:3], v[2:3], v[12:13]
	v_add_f64 v[4:5], v[4:5], v[130:131]
	s_andn2_b64 exec, exec, s[2:3]
	s_cbranch_execnz .LBB38_24
; %bb.25:
	s_or_b64 exec, exec, s[2:3]
.LBB38_26:
	s_or_b64 exec, exec, s[8:9]
	v_mov_b32_e32 v6, 0
	ds_read_b128 v[128:131], v6 offset:560
	s_waitcnt lgkmcnt(0)
	v_mul_f64 v[6:7], v[4:5], v[130:131]
	v_mul_f64 v[132:133], v[2:3], v[130:131]
	v_fma_f64 v[130:131], v[2:3], v[128:129], -v[6:7]
	v_fmac_f64_e32 v[132:133], v[4:5], v[128:129]
	scratch_store_dwordx4 off, v[130:133], off offset:560
.LBB38_27:
	s_or_b64 exec, exec, s[4:5]
	scratch_load_dwordx4 v[2:5], v94, off
	v_cmp_lt_u32_e64 s[2:3], 34, v0
	s_waitcnt vmcnt(0)
	ds_write_b128 v11, v[2:5]
	s_waitcnt lgkmcnt(0)
	; wave barrier
	s_waitcnt lgkmcnt(0)
	s_and_saveexec_b64 s[4:5], s[2:3]
	s_cbranch_execz .LBB38_35
; %bb.28:
	ds_read_b128 v[2:5], v11
	s_andn2_b64 vcc, exec, s[6:7]
	s_cbranch_vccnz .LBB38_30
; %bb.29:
	scratch_load_dwordx4 v[128:131], v10, off
	s_waitcnt vmcnt(0) lgkmcnt(0)
	v_mul_f64 v[12:13], v[2:3], v[130:131]
	v_mul_f64 v[6:7], v[4:5], v[130:131]
	v_fmac_f64_e32 v[12:13], v[4:5], v[128:129]
	v_fma_f64 v[2:3], v[2:3], v[128:129], -v[6:7]
	v_mov_b64_e32 v[4:5], v[12:13]
.LBB38_30:
	s_and_saveexec_b64 s[8:9], s[0:1]
	s_cbranch_execz .LBB38_34
; %bb.31:
	v_mov_b32_e32 v7, 0
	v_subrev_u32_e32 v6, 35, v0
	v_add_u32_e32 v7, 0x238, v7
	s_movk_i32 s10, 0x4a0
	s_mov_b64 s[0:1], 0
.LBB38_32:                              ; =>This Inner Loop Header: Depth=1
	v_add_u32_e32 v12, -8, v7
	scratch_load_dwordx4 v[128:131], v12, off
	v_mov_b32_e32 v12, s10
	ds_read_b128 v[132:135], v12
	v_add_u32_e32 v6, -1, v6
	s_add_i32 s10, s10, 16
	v_cmp_eq_u32_e32 vcc, 0, v6
	v_add_u32_e32 v7, 16, v7
	s_or_b64 s[0:1], vcc, s[0:1]
	s_waitcnt vmcnt(0) lgkmcnt(0)
	v_mul_f64 v[12:13], v[134:135], v[130:131]
	v_mul_f64 v[130:131], v[132:133], v[130:131]
	v_fma_f64 v[12:13], v[132:133], v[128:129], -v[12:13]
	v_fmac_f64_e32 v[130:131], v[134:135], v[128:129]
	v_add_f64 v[2:3], v[2:3], v[12:13]
	v_add_f64 v[4:5], v[4:5], v[130:131]
	s_andn2_b64 exec, exec, s[0:1]
	s_cbranch_execnz .LBB38_32
; %bb.33:
	s_or_b64 exec, exec, s[0:1]
.LBB38_34:
	s_or_b64 exec, exec, s[8:9]
	v_mov_b32_e32 v6, 0
	ds_read_b128 v[128:131], v6 offset:544
	s_waitcnt lgkmcnt(0)
	v_mul_f64 v[6:7], v[4:5], v[130:131]
	v_mul_f64 v[132:133], v[2:3], v[130:131]
	v_fma_f64 v[130:131], v[2:3], v[128:129], -v[6:7]
	v_fmac_f64_e32 v[132:133], v[4:5], v[128:129]
	scratch_store_dwordx4 off, v[130:133], off offset:544
.LBB38_35:
	;; [unrolled: 63-line block ×10, first 2 shown]
	s_or_b64 exec, exec, s[4:5]
	scratch_load_dwordx4 v[2:5], v103, off
	v_cmp_lt_u32_e64 s[0:1], 25, v0
	s_waitcnt vmcnt(0)
	ds_write_b128 v11, v[2:5]
	s_waitcnt lgkmcnt(0)
	; wave barrier
	s_waitcnt lgkmcnt(0)
	s_and_saveexec_b64 s[4:5], s[0:1]
	s_cbranch_execz .LBB38_107
; %bb.100:
	ds_read_b128 v[2:5], v11
	s_andn2_b64 vcc, exec, s[6:7]
	s_cbranch_vccnz .LBB38_102
; %bb.101:
	scratch_load_dwordx4 v[128:131], v10, off
	s_waitcnt vmcnt(0) lgkmcnt(0)
	v_mul_f64 v[12:13], v[2:3], v[130:131]
	v_mul_f64 v[6:7], v[4:5], v[130:131]
	v_fmac_f64_e32 v[12:13], v[4:5], v[128:129]
	v_fma_f64 v[2:3], v[2:3], v[128:129], -v[6:7]
	v_mov_b64_e32 v[4:5], v[12:13]
.LBB38_102:
	s_and_saveexec_b64 s[8:9], s[2:3]
	s_cbranch_execz .LBB38_106
; %bb.103:
	v_mov_b32_e32 v7, 0
	v_subrev_u32_e32 v6, 26, v0
	v_add_u32_e32 v7, 0x1a8, v7
	s_movk_i32 s10, 0x410
	s_mov_b64 s[2:3], 0
.LBB38_104:                             ; =>This Inner Loop Header: Depth=1
	v_add_u32_e32 v12, -8, v7
	scratch_load_dwordx4 v[128:131], v12, off
	v_mov_b32_e32 v12, s10
	ds_read_b128 v[132:135], v12
	v_add_u32_e32 v6, -1, v6
	s_add_i32 s10, s10, 16
	v_cmp_eq_u32_e32 vcc, 0, v6
	v_add_u32_e32 v7, 16, v7
	s_or_b64 s[2:3], vcc, s[2:3]
	s_waitcnt vmcnt(0) lgkmcnt(0)
	v_mul_f64 v[12:13], v[134:135], v[130:131]
	v_mul_f64 v[130:131], v[132:133], v[130:131]
	v_fma_f64 v[12:13], v[132:133], v[128:129], -v[12:13]
	v_fmac_f64_e32 v[130:131], v[134:135], v[128:129]
	v_add_f64 v[2:3], v[2:3], v[12:13]
	v_add_f64 v[4:5], v[4:5], v[130:131]
	s_andn2_b64 exec, exec, s[2:3]
	s_cbranch_execnz .LBB38_104
; %bb.105:
	s_or_b64 exec, exec, s[2:3]
.LBB38_106:
	s_or_b64 exec, exec, s[8:9]
	v_mov_b32_e32 v6, 0
	ds_read_b128 v[128:131], v6 offset:400
	s_waitcnt lgkmcnt(0)
	v_mul_f64 v[6:7], v[4:5], v[130:131]
	v_mul_f64 v[132:133], v[2:3], v[130:131]
	v_fma_f64 v[130:131], v[2:3], v[128:129], -v[6:7]
	v_fmac_f64_e32 v[132:133], v[4:5], v[128:129]
	scratch_store_dwordx4 off, v[130:133], off offset:400
.LBB38_107:
	s_or_b64 exec, exec, s[4:5]
	scratch_load_dwordx4 v[2:5], v104, off
	v_cmp_lt_u32_e64 s[2:3], 24, v0
	s_waitcnt vmcnt(0)
	ds_write_b128 v11, v[2:5]
	s_waitcnt lgkmcnt(0)
	; wave barrier
	s_waitcnt lgkmcnt(0)
	s_and_saveexec_b64 s[4:5], s[2:3]
	s_cbranch_execz .LBB38_115
; %bb.108:
	ds_read_b128 v[2:5], v11
	s_andn2_b64 vcc, exec, s[6:7]
	s_cbranch_vccnz .LBB38_110
; %bb.109:
	scratch_load_dwordx4 v[128:131], v10, off
	s_waitcnt vmcnt(0) lgkmcnt(0)
	v_mul_f64 v[12:13], v[2:3], v[130:131]
	v_mul_f64 v[6:7], v[4:5], v[130:131]
	v_fmac_f64_e32 v[12:13], v[4:5], v[128:129]
	v_fma_f64 v[2:3], v[2:3], v[128:129], -v[6:7]
	v_mov_b64_e32 v[4:5], v[12:13]
.LBB38_110:
	s_and_saveexec_b64 s[8:9], s[0:1]
	s_cbranch_execz .LBB38_114
; %bb.111:
	v_mov_b32_e32 v7, 0
	v_subrev_u32_e32 v6, 25, v0
	v_add_u32_e32 v7, 0x198, v7
	s_movk_i32 s10, 0x400
	s_mov_b64 s[0:1], 0
.LBB38_112:                             ; =>This Inner Loop Header: Depth=1
	v_add_u32_e32 v12, -8, v7
	scratch_load_dwordx4 v[128:131], v12, off
	v_mov_b32_e32 v12, s10
	ds_read_b128 v[132:135], v12
	v_add_u32_e32 v6, -1, v6
	s_add_i32 s10, s10, 16
	v_cmp_eq_u32_e32 vcc, 0, v6
	v_add_u32_e32 v7, 16, v7
	s_or_b64 s[0:1], vcc, s[0:1]
	s_waitcnt vmcnt(0) lgkmcnt(0)
	v_mul_f64 v[12:13], v[134:135], v[130:131]
	v_mul_f64 v[130:131], v[132:133], v[130:131]
	v_fma_f64 v[12:13], v[132:133], v[128:129], -v[12:13]
	v_fmac_f64_e32 v[130:131], v[134:135], v[128:129]
	v_add_f64 v[2:3], v[2:3], v[12:13]
	v_add_f64 v[4:5], v[4:5], v[130:131]
	s_andn2_b64 exec, exec, s[0:1]
	s_cbranch_execnz .LBB38_112
; %bb.113:
	s_or_b64 exec, exec, s[0:1]
.LBB38_114:
	s_or_b64 exec, exec, s[8:9]
	v_mov_b32_e32 v6, 0
	ds_read_b128 v[128:131], v6 offset:384
	s_waitcnt lgkmcnt(0)
	v_mul_f64 v[6:7], v[4:5], v[130:131]
	v_mul_f64 v[132:133], v[2:3], v[130:131]
	v_fma_f64 v[130:131], v[2:3], v[128:129], -v[6:7]
	v_fmac_f64_e32 v[132:133], v[4:5], v[128:129]
	scratch_store_dwordx4 off, v[130:133], off offset:384
.LBB38_115:
	;; [unrolled: 63-line block ×10, first 2 shown]
	s_or_b64 exec, exec, s[4:5]
	scratch_load_dwordx4 v[2:5], v113, off
	v_cmp_lt_u32_e64 s[0:1], 15, v0
	s_waitcnt vmcnt(0)
	ds_write_b128 v11, v[2:5]
	s_waitcnt lgkmcnt(0)
	; wave barrier
	s_waitcnt lgkmcnt(0)
	s_and_saveexec_b64 s[4:5], s[0:1]
	s_cbranch_execz .LBB38_187
; %bb.180:
	ds_read_b128 v[2:5], v11
	s_andn2_b64 vcc, exec, s[6:7]
	s_cbranch_vccnz .LBB38_182
; %bb.181:
	scratch_load_dwordx4 v[128:131], v10, off
	s_waitcnt vmcnt(0) lgkmcnt(0)
	v_mul_f64 v[12:13], v[2:3], v[130:131]
	v_mul_f64 v[6:7], v[4:5], v[130:131]
	v_fmac_f64_e32 v[12:13], v[4:5], v[128:129]
	v_fma_f64 v[2:3], v[2:3], v[128:129], -v[6:7]
	v_mov_b64_e32 v[4:5], v[12:13]
.LBB38_182:
	s_and_saveexec_b64 s[8:9], s[2:3]
	s_cbranch_execz .LBB38_186
; %bb.183:
	v_mov_b32_e32 v7, 0
	v_add_u32_e32 v6, -16, v0
	v_add_u32_e32 v7, 0x108, v7
	s_movk_i32 s10, 0x370
	s_mov_b64 s[2:3], 0
.LBB38_184:                             ; =>This Inner Loop Header: Depth=1
	v_add_u32_e32 v12, -8, v7
	scratch_load_dwordx4 v[128:131], v12, off
	v_mov_b32_e32 v12, s10
	ds_read_b128 v[132:135], v12
	v_add_u32_e32 v6, -1, v6
	s_add_i32 s10, s10, 16
	v_cmp_eq_u32_e32 vcc, 0, v6
	v_add_u32_e32 v7, 16, v7
	s_or_b64 s[2:3], vcc, s[2:3]
	s_waitcnt vmcnt(0) lgkmcnt(0)
	v_mul_f64 v[12:13], v[134:135], v[130:131]
	v_mul_f64 v[130:131], v[132:133], v[130:131]
	v_fma_f64 v[12:13], v[132:133], v[128:129], -v[12:13]
	v_fmac_f64_e32 v[130:131], v[134:135], v[128:129]
	v_add_f64 v[2:3], v[2:3], v[12:13]
	v_add_f64 v[4:5], v[4:5], v[130:131]
	s_andn2_b64 exec, exec, s[2:3]
	s_cbranch_execnz .LBB38_184
; %bb.185:
	s_or_b64 exec, exec, s[2:3]
.LBB38_186:
	s_or_b64 exec, exec, s[8:9]
	v_mov_b32_e32 v6, 0
	ds_read_b128 v[128:131], v6 offset:240
	s_waitcnt lgkmcnt(0)
	v_mul_f64 v[6:7], v[4:5], v[130:131]
	v_mul_f64 v[132:133], v[2:3], v[130:131]
	v_fma_f64 v[130:131], v[2:3], v[128:129], -v[6:7]
	v_fmac_f64_e32 v[132:133], v[4:5], v[128:129]
	scratch_store_dwordx4 off, v[130:133], off offset:240
.LBB38_187:
	s_or_b64 exec, exec, s[4:5]
	scratch_load_dwordx4 v[2:5], v114, off
	v_cmp_lt_u32_e64 s[2:3], 14, v0
	s_waitcnt vmcnt(0)
	ds_write_b128 v11, v[2:5]
	s_waitcnt lgkmcnt(0)
	; wave barrier
	s_waitcnt lgkmcnt(0)
	s_and_saveexec_b64 s[4:5], s[2:3]
	s_cbranch_execz .LBB38_195
; %bb.188:
	ds_read_b128 v[2:5], v11
	s_andn2_b64 vcc, exec, s[6:7]
	s_cbranch_vccnz .LBB38_190
; %bb.189:
	scratch_load_dwordx4 v[128:131], v10, off
	s_waitcnt vmcnt(0) lgkmcnt(0)
	v_mul_f64 v[12:13], v[2:3], v[130:131]
	v_mul_f64 v[6:7], v[4:5], v[130:131]
	v_fmac_f64_e32 v[12:13], v[4:5], v[128:129]
	v_fma_f64 v[2:3], v[2:3], v[128:129], -v[6:7]
	v_mov_b64_e32 v[4:5], v[12:13]
.LBB38_190:
	s_and_saveexec_b64 s[8:9], s[0:1]
	s_cbranch_execz .LBB38_194
; %bb.191:
	v_mov_b32_e32 v7, 0
	v_add_u32_e32 v6, -15, v0
	v_add_u32_e32 v7, 0xf8, v7
	s_movk_i32 s10, 0x360
	s_mov_b64 s[0:1], 0
.LBB38_192:                             ; =>This Inner Loop Header: Depth=1
	v_add_u32_e32 v12, -8, v7
	scratch_load_dwordx4 v[128:131], v12, off
	v_mov_b32_e32 v12, s10
	ds_read_b128 v[132:135], v12
	v_add_u32_e32 v6, -1, v6
	s_add_i32 s10, s10, 16
	v_cmp_eq_u32_e32 vcc, 0, v6
	v_add_u32_e32 v7, 16, v7
	s_or_b64 s[0:1], vcc, s[0:1]
	s_waitcnt vmcnt(0) lgkmcnt(0)
	v_mul_f64 v[12:13], v[134:135], v[130:131]
	v_mul_f64 v[130:131], v[132:133], v[130:131]
	v_fma_f64 v[12:13], v[132:133], v[128:129], -v[12:13]
	v_fmac_f64_e32 v[130:131], v[134:135], v[128:129]
	v_add_f64 v[2:3], v[2:3], v[12:13]
	v_add_f64 v[4:5], v[4:5], v[130:131]
	s_andn2_b64 exec, exec, s[0:1]
	s_cbranch_execnz .LBB38_192
; %bb.193:
	s_or_b64 exec, exec, s[0:1]
.LBB38_194:
	s_or_b64 exec, exec, s[8:9]
	v_mov_b32_e32 v6, 0
	ds_read_b128 v[128:131], v6 offset:224
	s_waitcnt lgkmcnt(0)
	v_mul_f64 v[6:7], v[4:5], v[130:131]
	v_mul_f64 v[132:133], v[2:3], v[130:131]
	v_fma_f64 v[130:131], v[2:3], v[128:129], -v[6:7]
	v_fmac_f64_e32 v[132:133], v[4:5], v[128:129]
	scratch_store_dwordx4 off, v[130:133], off offset:224
.LBB38_195:
	;; [unrolled: 63-line block ×15, first 2 shown]
	s_or_b64 exec, exec, s[4:5]
	scratch_load_dwordx4 v[2:5], off, off
	v_cmp_ne_u32_e32 vcc, 0, v0
	s_mov_b64 s[2:3], 0
	s_mov_b64 s[4:5], 0
                                        ; implicit-def: $vgpr6_vgpr7
                                        ; implicit-def: $vgpr12
	s_waitcnt vmcnt(0)
	ds_write_b128 v11, v[2:5]
	s_waitcnt lgkmcnt(0)
	; wave barrier
	s_waitcnt lgkmcnt(0)
	s_and_saveexec_b64 s[8:9], vcc
	s_cbranch_execz .LBB38_307
; %bb.300:
	ds_read_b128 v[2:5], v11
	s_andn2_b64 vcc, exec, s[6:7]
	s_cbranch_vccnz .LBB38_302
; %bb.301:
	scratch_load_dwordx4 v[128:131], v10, off
	s_waitcnt vmcnt(0) lgkmcnt(0)
	v_mul_f64 v[12:13], v[2:3], v[130:131]
	v_mul_f64 v[6:7], v[4:5], v[130:131]
	v_fmac_f64_e32 v[12:13], v[4:5], v[128:129]
	v_fma_f64 v[2:3], v[2:3], v[128:129], -v[6:7]
	v_mov_b64_e32 v[4:5], v[12:13]
.LBB38_302:
	s_and_saveexec_b64 s[4:5], s[0:1]
	s_cbranch_execz .LBB38_306
; %bb.303:
	v_mov_b32_e32 v7, 0
	v_add_u32_e32 v6, -1, v0
	v_add_u32_e32 v7, 24, v7
	s_movk_i32 s10, 0x280
	s_mov_b64 s[0:1], 0
.LBB38_304:                             ; =>This Inner Loop Header: Depth=1
	v_add_u32_e32 v12, -8, v7
	scratch_load_dwordx4 v[128:131], v12, off
	v_mov_b32_e32 v12, s10
	ds_read_b128 v[132:135], v12
	v_add_u32_e32 v6, -1, v6
	s_add_i32 s10, s10, 16
	v_cmp_eq_u32_e32 vcc, 0, v6
	v_add_u32_e32 v7, 16, v7
	s_or_b64 s[0:1], vcc, s[0:1]
	s_waitcnt vmcnt(0) lgkmcnt(0)
	v_mul_f64 v[12:13], v[134:135], v[130:131]
	v_mul_f64 v[130:131], v[132:133], v[130:131]
	v_fma_f64 v[12:13], v[132:133], v[128:129], -v[12:13]
	v_fmac_f64_e32 v[130:131], v[134:135], v[128:129]
	v_add_f64 v[2:3], v[2:3], v[12:13]
	v_add_f64 v[4:5], v[4:5], v[130:131]
	s_andn2_b64 exec, exec, s[0:1]
	s_cbranch_execnz .LBB38_304
; %bb.305:
	s_or_b64 exec, exec, s[0:1]
.LBB38_306:
	s_or_b64 exec, exec, s[4:5]
	v_mov_b32_e32 v6, 0
	ds_read_b128 v[128:131], v6
	v_mov_b32_e32 v6, 0
	v_or_b32_e32 v12, 8, v6
	s_mov_b64 s[4:5], exec
	s_waitcnt lgkmcnt(0)
	v_mul_f64 v[132:133], v[4:5], v[130:131]
	v_mul_f64 v[6:7], v[2:3], v[130:131]
	v_fma_f64 v[2:3], v[2:3], v[128:129], -v[132:133]
	v_fmac_f64_e32 v[6:7], v[4:5], v[128:129]
	scratch_store_dwordx2 off, v[2:3], off
.LBB38_307:
	s_or_b64 exec, exec, s[8:9]
	s_and_b64 vcc, exec, s[2:3]
	s_cbranch_vccnz .LBB38_309
	s_branch .LBB38_608
.LBB38_308:
	s_mov_b64 s[4:5], 0
                                        ; implicit-def: $vgpr6_vgpr7
                                        ; implicit-def: $vgpr12
	s_cbranch_execz .LBB38_608
.LBB38_309:
	scratch_load_dwordx4 v[2:5], v127, off
	v_cndmask_b32_e64 v6, 0, 1, s[6:7]
	v_cmp_eq_u32_e64 s[2:3], 0, v0
	v_cmp_ne_u32_e64 s[0:1], 1, v6
	s_waitcnt vmcnt(0)
	ds_write_b128 v11, v[2:5]
	s_waitcnt lgkmcnt(0)
	; wave barrier
	s_waitcnt lgkmcnt(0)
	s_and_saveexec_b64 s[6:7], s[2:3]
	s_cbranch_execz .LBB38_313
; %bb.310:
	ds_read_b128 v[2:5], v11
	s_and_b64 vcc, exec, s[0:1]
	s_cbranch_vccnz .LBB38_312
; %bb.311:
	scratch_load_dwordx4 v[128:131], v10, off
	s_waitcnt vmcnt(0) lgkmcnt(0)
	v_mul_f64 v[12:13], v[2:3], v[130:131]
	v_mul_f64 v[6:7], v[4:5], v[130:131]
	v_fmac_f64_e32 v[12:13], v[4:5], v[128:129]
	v_fma_f64 v[2:3], v[2:3], v[128:129], -v[6:7]
	v_mov_b64_e32 v[4:5], v[12:13]
.LBB38_312:
	v_mov_b32_e32 v6, 0
	ds_read_b128 v[128:131], v6 offset:16
	s_waitcnt lgkmcnt(0)
	v_mul_f64 v[6:7], v[4:5], v[130:131]
	v_mul_f64 v[132:133], v[2:3], v[130:131]
	v_fma_f64 v[130:131], v[2:3], v[128:129], -v[6:7]
	v_fmac_f64_e32 v[132:133], v[4:5], v[128:129]
	scratch_store_dwordx4 off, v[130:133], off offset:16
.LBB38_313:
	s_or_b64 exec, exec, s[6:7]
	scratch_load_dwordx4 v[2:5], v126, off
	v_cmp_gt_u32_e32 vcc, 2, v0
	s_waitcnt vmcnt(0)
	ds_write_b128 v11, v[2:5]
	s_waitcnt lgkmcnt(0)
	; wave barrier
	s_waitcnt lgkmcnt(0)
	s_and_saveexec_b64 s[6:7], vcc
	s_cbranch_execz .LBB38_319
; %bb.314:
	ds_read_b128 v[2:5], v11
	s_and_b64 vcc, exec, s[0:1]
	s_cbranch_vccnz .LBB38_316
; %bb.315:
	scratch_load_dwordx4 v[128:131], v10, off
	s_waitcnt vmcnt(0) lgkmcnt(0)
	v_mul_f64 v[12:13], v[2:3], v[130:131]
	v_mul_f64 v[6:7], v[4:5], v[130:131]
	v_fmac_f64_e32 v[12:13], v[4:5], v[128:129]
	v_fma_f64 v[2:3], v[2:3], v[128:129], -v[6:7]
	v_mov_b64_e32 v[4:5], v[12:13]
.LBB38_316:
	s_and_saveexec_b64 s[8:9], s[2:3]
	s_cbranch_execz .LBB38_318
; %bb.317:
	scratch_load_dwordx4 v[128:131], v10, off offset:16
	ds_read_b128 v[132:135], v11 offset:16
	s_waitcnt vmcnt(0) lgkmcnt(0)
	v_mul_f64 v[6:7], v[134:135], v[130:131]
	v_mul_f64 v[12:13], v[132:133], v[130:131]
	v_fma_f64 v[6:7], v[132:133], v[128:129], -v[6:7]
	v_fmac_f64_e32 v[12:13], v[134:135], v[128:129]
	v_add_f64 v[2:3], v[2:3], v[6:7]
	v_add_f64 v[4:5], v[4:5], v[12:13]
.LBB38_318:
	s_or_b64 exec, exec, s[8:9]
	v_mov_b32_e32 v6, 0
	ds_read_b128 v[128:131], v6 offset:32
	s_waitcnt lgkmcnt(0)
	v_mul_f64 v[6:7], v[4:5], v[130:131]
	v_mul_f64 v[132:133], v[2:3], v[130:131]
	v_fma_f64 v[130:131], v[2:3], v[128:129], -v[6:7]
	v_fmac_f64_e32 v[132:133], v[4:5], v[128:129]
	scratch_store_dwordx4 off, v[130:133], off offset:32
.LBB38_319:
	s_or_b64 exec, exec, s[6:7]
	scratch_load_dwordx4 v[2:5], v125, off
	v_cmp_gt_u32_e32 vcc, 3, v0
	s_waitcnt vmcnt(0)
	ds_write_b128 v11, v[2:5]
	s_waitcnt lgkmcnt(0)
	; wave barrier
	s_waitcnt lgkmcnt(0)
	s_and_saveexec_b64 s[6:7], vcc
	s_cbranch_execz .LBB38_327
; %bb.320:
	ds_read_b128 v[2:5], v11
	s_and_b64 vcc, exec, s[0:1]
	s_cbranch_vccnz .LBB38_322
; %bb.321:
	scratch_load_dwordx4 v[128:131], v10, off
	s_waitcnt vmcnt(0) lgkmcnt(0)
	v_mul_f64 v[12:13], v[2:3], v[130:131]
	v_mul_f64 v[6:7], v[4:5], v[130:131]
	v_fmac_f64_e32 v[12:13], v[4:5], v[128:129]
	v_fma_f64 v[2:3], v[2:3], v[128:129], -v[6:7]
	v_mov_b64_e32 v[4:5], v[12:13]
.LBB38_322:
	v_cmp_ne_u32_e32 vcc, 2, v0
	s_and_saveexec_b64 s[8:9], vcc
	s_cbranch_execz .LBB38_326
; %bb.323:
	scratch_load_dwordx4 v[128:131], v10, off offset:16
	ds_read_b128 v[132:135], v11 offset:16
	s_waitcnt vmcnt(0) lgkmcnt(0)
	v_mul_f64 v[6:7], v[134:135], v[130:131]
	v_mul_f64 v[12:13], v[132:133], v[130:131]
	v_fma_f64 v[6:7], v[132:133], v[128:129], -v[6:7]
	v_fmac_f64_e32 v[12:13], v[134:135], v[128:129]
	v_add_f64 v[2:3], v[2:3], v[6:7]
	v_add_f64 v[4:5], v[4:5], v[12:13]
	s_and_saveexec_b64 s[10:11], s[2:3]
	s_cbranch_execz .LBB38_325
; %bb.324:
	scratch_load_dwordx4 v[128:131], off, off offset:32
	v_mov_b32_e32 v6, 0
	ds_read_b128 v[132:135], v6 offset:656
	s_waitcnt vmcnt(0) lgkmcnt(0)
	v_mul_f64 v[6:7], v[132:133], v[130:131]
	v_mul_f64 v[12:13], v[134:135], v[130:131]
	v_fmac_f64_e32 v[6:7], v[134:135], v[128:129]
	v_fma_f64 v[12:13], v[132:133], v[128:129], -v[12:13]
	v_add_f64 v[4:5], v[4:5], v[6:7]
	v_add_f64 v[2:3], v[2:3], v[12:13]
.LBB38_325:
	s_or_b64 exec, exec, s[10:11]
.LBB38_326:
	s_or_b64 exec, exec, s[8:9]
	v_mov_b32_e32 v6, 0
	ds_read_b128 v[128:131], v6 offset:48
	s_waitcnt lgkmcnt(0)
	v_mul_f64 v[6:7], v[4:5], v[130:131]
	v_mul_f64 v[132:133], v[2:3], v[130:131]
	v_fma_f64 v[130:131], v[2:3], v[128:129], -v[6:7]
	v_fmac_f64_e32 v[132:133], v[4:5], v[128:129]
	scratch_store_dwordx4 off, v[130:133], off offset:48
.LBB38_327:
	s_or_b64 exec, exec, s[6:7]
	scratch_load_dwordx4 v[2:5], v124, off
	v_cmp_gt_u32_e32 vcc, 4, v0
	s_waitcnt vmcnt(0)
	ds_write_b128 v11, v[2:5]
	s_waitcnt lgkmcnt(0)
	; wave barrier
	s_waitcnt lgkmcnt(0)
	s_and_saveexec_b64 s[2:3], vcc
	s_cbranch_execz .LBB38_335
; %bb.328:
	ds_read_b128 v[2:5], v11
	s_and_b64 vcc, exec, s[0:1]
	s_cbranch_vccnz .LBB38_330
; %bb.329:
	scratch_load_dwordx4 v[128:131], v10, off
	s_waitcnt vmcnt(0) lgkmcnt(0)
	v_mul_f64 v[12:13], v[2:3], v[130:131]
	v_mul_f64 v[6:7], v[4:5], v[130:131]
	v_fmac_f64_e32 v[12:13], v[4:5], v[128:129]
	v_fma_f64 v[2:3], v[2:3], v[128:129], -v[6:7]
	v_mov_b64_e32 v[4:5], v[12:13]
.LBB38_330:
	v_cmp_ne_u32_e32 vcc, 3, v0
	s_and_saveexec_b64 s[6:7], vcc
	s_cbranch_execz .LBB38_334
; %bb.331:
	v_mov_b32_e32 v7, 0
	v_add_u32_e32 v6, 0x280, v62
	v_add3_u32 v7, v62, v7, 24
	s_mov_b64 s[8:9], 0
	v_mov_b32_e32 v12, v0
.LBB38_332:                             ; =>This Inner Loop Header: Depth=1
	v_add_u32_e32 v13, -8, v7
	scratch_load_dwordx4 v[128:131], v13, off
	ds_read_b128 v[132:135], v6
	v_add_u32_e32 v12, 1, v12
	v_cmp_lt_u32_e32 vcc, 2, v12
	v_add_u32_e32 v6, 16, v6
	v_add_u32_e32 v7, 16, v7
	s_or_b64 s[8:9], vcc, s[8:9]
	s_waitcnt vmcnt(0) lgkmcnt(0)
	v_mul_f64 v[136:137], v[134:135], v[130:131]
	v_mul_f64 v[130:131], v[132:133], v[130:131]
	v_fma_f64 v[132:133], v[132:133], v[128:129], -v[136:137]
	v_fmac_f64_e32 v[130:131], v[134:135], v[128:129]
	v_add_f64 v[2:3], v[2:3], v[132:133]
	v_add_f64 v[4:5], v[4:5], v[130:131]
	s_andn2_b64 exec, exec, s[8:9]
	s_cbranch_execnz .LBB38_332
; %bb.333:
	s_or_b64 exec, exec, s[8:9]
.LBB38_334:
	s_or_b64 exec, exec, s[6:7]
	v_mov_b32_e32 v6, 0
	ds_read_b128 v[128:131], v6 offset:64
	s_waitcnt lgkmcnt(0)
	v_mul_f64 v[6:7], v[4:5], v[130:131]
	v_mul_f64 v[132:133], v[2:3], v[130:131]
	v_fma_f64 v[130:131], v[2:3], v[128:129], -v[6:7]
	v_fmac_f64_e32 v[132:133], v[4:5], v[128:129]
	scratch_store_dwordx4 off, v[130:133], off offset:64
.LBB38_335:
	s_or_b64 exec, exec, s[2:3]
	scratch_load_dwordx4 v[2:5], v123, off
	v_cmp_gt_u32_e32 vcc, 5, v0
	s_waitcnt vmcnt(0)
	ds_write_b128 v11, v[2:5]
	s_waitcnt lgkmcnt(0)
	; wave barrier
	s_waitcnt lgkmcnt(0)
	s_and_saveexec_b64 s[2:3], vcc
	s_cbranch_execz .LBB38_343
; %bb.336:
	ds_read_b128 v[2:5], v11
	s_and_b64 vcc, exec, s[0:1]
	s_cbranch_vccnz .LBB38_338
; %bb.337:
	scratch_load_dwordx4 v[128:131], v10, off
	s_waitcnt vmcnt(0) lgkmcnt(0)
	v_mul_f64 v[12:13], v[2:3], v[130:131]
	v_mul_f64 v[6:7], v[4:5], v[130:131]
	v_fmac_f64_e32 v[12:13], v[4:5], v[128:129]
	v_fma_f64 v[2:3], v[2:3], v[128:129], -v[6:7]
	v_mov_b64_e32 v[4:5], v[12:13]
.LBB38_338:
	v_cmp_ne_u32_e32 vcc, 4, v0
	s_and_saveexec_b64 s[6:7], vcc
	s_cbranch_execz .LBB38_342
; %bb.339:
	v_mov_b32_e32 v7, 0
	v_add_u32_e32 v6, 0x280, v62
	v_add3_u32 v7, v62, v7, 24
	s_mov_b64 s[8:9], 0
	v_mov_b32_e32 v12, v0
.LBB38_340:                             ; =>This Inner Loop Header: Depth=1
	v_add_u32_e32 v13, -8, v7
	scratch_load_dwordx4 v[128:131], v13, off
	ds_read_b128 v[132:135], v6
	v_add_u32_e32 v12, 1, v12
	v_cmp_lt_u32_e32 vcc, 3, v12
	v_add_u32_e32 v6, 16, v6
	v_add_u32_e32 v7, 16, v7
	s_or_b64 s[8:9], vcc, s[8:9]
	s_waitcnt vmcnt(0) lgkmcnt(0)
	v_mul_f64 v[136:137], v[134:135], v[130:131]
	v_mul_f64 v[130:131], v[132:133], v[130:131]
	v_fma_f64 v[132:133], v[132:133], v[128:129], -v[136:137]
	v_fmac_f64_e32 v[130:131], v[134:135], v[128:129]
	v_add_f64 v[2:3], v[2:3], v[132:133]
	v_add_f64 v[4:5], v[4:5], v[130:131]
	s_andn2_b64 exec, exec, s[8:9]
	s_cbranch_execnz .LBB38_340
; %bb.341:
	s_or_b64 exec, exec, s[8:9]
.LBB38_342:
	s_or_b64 exec, exec, s[6:7]
	v_mov_b32_e32 v6, 0
	ds_read_b128 v[128:131], v6 offset:80
	s_waitcnt lgkmcnt(0)
	v_mul_f64 v[6:7], v[4:5], v[130:131]
	v_mul_f64 v[132:133], v[2:3], v[130:131]
	v_fma_f64 v[130:131], v[2:3], v[128:129], -v[6:7]
	v_fmac_f64_e32 v[132:133], v[4:5], v[128:129]
	scratch_store_dwordx4 off, v[130:133], off offset:80
.LBB38_343:
	;; [unrolled: 63-line block ×33, first 2 shown]
	s_or_b64 exec, exec, s[2:3]
	scratch_load_dwordx4 v[2:5], v8, off
	v_cmp_gt_u32_e64 s[2:3], 37, v0
	s_waitcnt vmcnt(0)
	ds_write_b128 v11, v[2:5]
	s_waitcnt lgkmcnt(0)
	; wave barrier
	s_waitcnt lgkmcnt(0)
	s_and_saveexec_b64 s[6:7], s[2:3]
	s_cbranch_execz .LBB38_599
; %bb.592:
	ds_read_b128 v[2:5], v11
	s_and_b64 vcc, exec, s[0:1]
	s_cbranch_vccnz .LBB38_594
; %bb.593:
	scratch_load_dwordx4 v[128:131], v10, off
	s_waitcnt vmcnt(0) lgkmcnt(0)
	v_mul_f64 v[12:13], v[2:3], v[130:131]
	v_mul_f64 v[6:7], v[4:5], v[130:131]
	v_fmac_f64_e32 v[12:13], v[4:5], v[128:129]
	v_fma_f64 v[2:3], v[2:3], v[128:129], -v[6:7]
	v_mov_b64_e32 v[4:5], v[12:13]
.LBB38_594:
	v_cmp_ne_u32_e32 vcc, 36, v0
	s_and_saveexec_b64 s[8:9], vcc
	s_cbranch_execz .LBB38_598
; %bb.595:
	v_mov_b32_e32 v7, 0
	v_add_u32_e32 v6, 0x280, v62
	v_add3_u32 v7, v62, v7, 24
	s_mov_b64 s[10:11], 0
	v_mov_b32_e32 v12, v0
.LBB38_596:                             ; =>This Inner Loop Header: Depth=1
	v_add_u32_e32 v13, -8, v7
	scratch_load_dwordx4 v[128:131], v13, off
	ds_read_b128 v[132:135], v6
	v_add_u32_e32 v12, 1, v12
	v_cmp_lt_u32_e32 vcc, 35, v12
	v_add_u32_e32 v6, 16, v6
	v_add_u32_e32 v7, 16, v7
	s_or_b64 s[10:11], vcc, s[10:11]
	s_waitcnt vmcnt(0) lgkmcnt(0)
	v_mul_f64 v[136:137], v[134:135], v[130:131]
	v_mul_f64 v[130:131], v[132:133], v[130:131]
	v_fma_f64 v[132:133], v[132:133], v[128:129], -v[136:137]
	v_fmac_f64_e32 v[130:131], v[134:135], v[128:129]
	v_add_f64 v[2:3], v[2:3], v[132:133]
	v_add_f64 v[4:5], v[4:5], v[130:131]
	s_andn2_b64 exec, exec, s[10:11]
	s_cbranch_execnz .LBB38_596
; %bb.597:
	s_or_b64 exec, exec, s[10:11]
.LBB38_598:
	s_or_b64 exec, exec, s[8:9]
	v_mov_b32_e32 v6, 0
	ds_read_b128 v[128:131], v6 offset:592
	s_waitcnt lgkmcnt(0)
	v_mul_f64 v[6:7], v[4:5], v[130:131]
	v_mul_f64 v[132:133], v[2:3], v[130:131]
	v_fma_f64 v[130:131], v[2:3], v[128:129], -v[6:7]
	v_fmac_f64_e32 v[132:133], v[4:5], v[128:129]
	scratch_store_dwordx4 off, v[130:133], off offset:592
.LBB38_599:
	s_or_b64 exec, exec, s[6:7]
	scratch_load_dwordx4 v[2:5], v1, off
	v_cmp_ne_u32_e32 vcc, 38, v0
                                        ; implicit-def: $vgpr6_vgpr7
                                        ; implicit-def: $vgpr12
	s_waitcnt vmcnt(0)
	ds_write_b128 v11, v[2:5]
	s_waitcnt lgkmcnt(0)
	; wave barrier
	s_waitcnt lgkmcnt(0)
	s_and_saveexec_b64 s[6:7], vcc
	s_cbranch_execz .LBB38_607
; %bb.600:
	ds_read_b128 v[2:5], v11
	s_and_b64 vcc, exec, s[0:1]
	s_cbranch_vccnz .LBB38_602
; %bb.601:
	scratch_load_dwordx4 v[10:13], v10, off
	s_waitcnt vmcnt(0) lgkmcnt(0)
	v_mul_f64 v[6:7], v[4:5], v[12:13]
	v_mul_f64 v[12:13], v[2:3], v[12:13]
	v_fmac_f64_e32 v[12:13], v[4:5], v[10:11]
	v_fma_f64 v[2:3], v[2:3], v[10:11], -v[6:7]
	v_mov_b64_e32 v[4:5], v[12:13]
.LBB38_602:
	s_and_saveexec_b64 s[0:1], s[2:3]
	s_cbranch_execz .LBB38_606
; %bb.603:
	v_mov_b32_e32 v7, 0
	v_add_u32_e32 v6, 0x280, v62
	v_add3_u32 v7, v62, v7, 24
	s_mov_b64 s[2:3], 0
.LBB38_604:                             ; =>This Inner Loop Header: Depth=1
	v_add_u32_e32 v10, -8, v7
	scratch_load_dwordx4 v[10:13], v10, off
	ds_read_b128 v[128:131], v6
	v_add_u32_e32 v0, 1, v0
	v_cmp_lt_u32_e32 vcc, 36, v0
	v_add_u32_e32 v6, 16, v6
	v_add_u32_e32 v7, 16, v7
	s_or_b64 s[2:3], vcc, s[2:3]
	s_waitcnt vmcnt(0) lgkmcnt(0)
	v_mul_f64 v[132:133], v[130:131], v[12:13]
	v_mul_f64 v[12:13], v[128:129], v[12:13]
	v_fma_f64 v[128:129], v[128:129], v[10:11], -v[132:133]
	v_fmac_f64_e32 v[12:13], v[130:131], v[10:11]
	v_add_f64 v[2:3], v[2:3], v[128:129]
	v_add_f64 v[4:5], v[4:5], v[12:13]
	s_andn2_b64 exec, exec, s[2:3]
	s_cbranch_execnz .LBB38_604
; %bb.605:
	s_or_b64 exec, exec, s[2:3]
.LBB38_606:
	s_or_b64 exec, exec, s[0:1]
	v_mov_b32_e32 v0, 0
	ds_read_b128 v[128:131], v0 offset:608
	v_mov_b32_e32 v0, 0
	v_add_u32_e32 v12, 0x268, v0
	s_or_b64 s[4:5], s[4:5], exec
	s_waitcnt lgkmcnt(0)
	v_mul_f64 v[10:11], v[4:5], v[130:131]
	v_mul_f64 v[6:7], v[2:3], v[130:131]
	v_fma_f64 v[2:3], v[2:3], v[128:129], -v[10:11]
	v_fmac_f64_e32 v[6:7], v[4:5], v[128:129]
	scratch_store_dwordx2 off, v[2:3], off offset:608
.LBB38_607:
	s_or_b64 exec, exec, s[6:7]
.LBB38_608:
	s_and_saveexec_b64 s[0:1], s[4:5]
	s_cbranch_execz .LBB38_610
; %bb.609:
	scratch_store_dwordx2 v12, v[6:7], off
.LBB38_610:
	s_or_b64 exec, exec, s[0:1]
	scratch_load_dwordx4 v[2:5], off, off
	scratch_load_dwordx4 v[10:13], v127, off
	scratch_load_dwordx4 v[128:131], v126, off
                                        ; kill: killed $vgpr127
                                        ; kill: killed $vgpr126
	scratch_load_dwordx4 v[132:135], v125, off
	s_nop 0
	scratch_load_dwordx4 v[124:127], v124, off
	s_nop 0
	scratch_load_dwordx4 v[136:139], v123, off
	scratch_load_dwordx4 v[140:143], v122, off
	scratch_load_dwordx4 v[144:147], v121, off
	s_nop 0
	scratch_load_dwordx4 v[120:123], v120, off
	s_nop 0
	scratch_load_dwordx4 v[148:151], v119, off
	scratch_load_dwordx4 v[152:155], v118, off
	;; [unrolled: 6-line block ×3, first 2 shown]
	s_waitcnt vmcnt(14)
	global_store_dwordx4 v[14:15], v[2:5], off
	scratch_load_dwordx4 v[2:5], v113, off
	s_nop 0
	scratch_load_dwordx4 v[112:115], v112, off
	s_waitcnt vmcnt(16)
	global_store_dwordx4 v[16:17], v[10:13], off
	scratch_load_dwordx4 v[10:13], v111, off
	s_nop 0
	scratch_load_dwordx4 v[14:17], v110, off
	s_waitcnt vmcnt(18)
	global_store_dwordx4 v[18:19], v[128:131], off
	scratch_load_dwordx4 v[128:131], v109, off
	s_nop 0
	scratch_load_dwordx4 v[108:111], v108, off
	s_waitcnt vmcnt(20)
	global_store_dwordx4 v[20:21], v[132:135], off
	scratch_load_dwordx4 v[18:21], v107, off
	s_nop 0
	scratch_load_dwordx4 v[132:135], v106, off
	s_waitcnt vmcnt(22)
	global_store_dwordx4 v[22:23], v[124:127], off
	scratch_load_dwordx4 v[124:127], v105, off
	s_nop 0
	scratch_load_dwordx4 v[104:107], v104, off
	s_waitcnt vmcnt(24)
	global_store_dwordx4 v[24:25], v[136:139], off
	scratch_load_dwordx4 v[22:25], v103, off
	s_nop 0
	scratch_load_dwordx4 v[136:139], v102, off
	s_waitcnt vmcnt(26)
	global_store_dwordx4 v[26:27], v[140:143], off
	scratch_load_dwordx4 v[140:143], v101, off
	s_nop 0
	scratch_load_dwordx4 v[100:103], v100, off
	s_waitcnt vmcnt(28)
	global_store_dwordx4 v[28:29], v[144:147], off
	scratch_load_dwordx4 v[26:29], v99, off
	s_nop 0
	scratch_load_dwordx4 v[144:147], v98, off
	s_waitcnt vmcnt(30)
	global_store_dwordx4 v[30:31], v[120:123], off
	scratch_load_dwordx4 v[120:123], v97, off
	s_nop 0
	scratch_load_dwordx4 v[96:99], v96, off
	s_waitcnt vmcnt(32)
	global_store_dwordx4 v[32:33], v[148:151], off
	scratch_load_dwordx4 v[30:33], v95, off
	s_nop 0
	scratch_load_dwordx4 v[148:151], v94, off
	s_waitcnt vmcnt(34)
	global_store_dwordx4 v[34:35], v[152:155], off
	scratch_load_dwordx4 v[152:155], v63, off
	s_nop 0
	scratch_load_dwordx4 v[168:171], v9, off
	s_waitcnt vmcnt(36)
	global_store_dwordx4 v[36:37], v[156:159], off
	scratch_load_dwordx4 v[6:9], v8, off
	s_nop 0
	scratch_load_dwordx4 v[34:37], v1, off
	s_waitcnt vmcnt(38)
	global_store_dwordx4 v[38:39], v[116:119], off
	s_waitcnt vmcnt(38)
	global_store_dwordx4 v[40:41], v[160:163], off
	;; [unrolled: 2-line block ×27, first 2 shown]
.LBB38_611:
	s_endpgm
	.section	.rodata,"a",@progbits
	.p2align	6, 0x0
	.amdhsa_kernel _ZN9rocsolver6v33100L18trti2_kernel_smallILi39E19rocblas_complex_numIdEPS3_EEv13rocblas_fill_17rocblas_diagonal_T1_iil
		.amdhsa_group_segment_fixed_size 1248
		.amdhsa_private_segment_fixed_size 640
		.amdhsa_kernarg_size 32
		.amdhsa_user_sgpr_count 2
		.amdhsa_user_sgpr_dispatch_ptr 0
		.amdhsa_user_sgpr_queue_ptr 0
		.amdhsa_user_sgpr_kernarg_segment_ptr 1
		.amdhsa_user_sgpr_dispatch_id 0
		.amdhsa_user_sgpr_kernarg_preload_length 0
		.amdhsa_user_sgpr_kernarg_preload_offset 0
		.amdhsa_user_sgpr_private_segment_size 0
		.amdhsa_uses_dynamic_stack 0
		.amdhsa_enable_private_segment 1
		.amdhsa_system_sgpr_workgroup_id_x 1
		.amdhsa_system_sgpr_workgroup_id_y 0
		.amdhsa_system_sgpr_workgroup_id_z 0
		.amdhsa_system_sgpr_workgroup_info 0
		.amdhsa_system_vgpr_workitem_id 0
		.amdhsa_next_free_vgpr 172
		.amdhsa_next_free_sgpr 12
		.amdhsa_accum_offset 172
		.amdhsa_reserve_vcc 1
		.amdhsa_float_round_mode_32 0
		.amdhsa_float_round_mode_16_64 0
		.amdhsa_float_denorm_mode_32 3
		.amdhsa_float_denorm_mode_16_64 3
		.amdhsa_dx10_clamp 1
		.amdhsa_ieee_mode 1
		.amdhsa_fp16_overflow 0
		.amdhsa_tg_split 0
		.amdhsa_exception_fp_ieee_invalid_op 0
		.amdhsa_exception_fp_denorm_src 0
		.amdhsa_exception_fp_ieee_div_zero 0
		.amdhsa_exception_fp_ieee_overflow 0
		.amdhsa_exception_fp_ieee_underflow 0
		.amdhsa_exception_fp_ieee_inexact 0
		.amdhsa_exception_int_div_zero 0
	.end_amdhsa_kernel
	.section	.text._ZN9rocsolver6v33100L18trti2_kernel_smallILi39E19rocblas_complex_numIdEPS3_EEv13rocblas_fill_17rocblas_diagonal_T1_iil,"axG",@progbits,_ZN9rocsolver6v33100L18trti2_kernel_smallILi39E19rocblas_complex_numIdEPS3_EEv13rocblas_fill_17rocblas_diagonal_T1_iil,comdat
.Lfunc_end38:
	.size	_ZN9rocsolver6v33100L18trti2_kernel_smallILi39E19rocblas_complex_numIdEPS3_EEv13rocblas_fill_17rocblas_diagonal_T1_iil, .Lfunc_end38-_ZN9rocsolver6v33100L18trti2_kernel_smallILi39E19rocblas_complex_numIdEPS3_EEv13rocblas_fill_17rocblas_diagonal_T1_iil
                                        ; -- End function
	.section	.AMDGPU.csdata,"",@progbits
; Kernel info:
; codeLenInByte = 25672
; NumSgprs: 18
; NumVgprs: 172
; NumAgprs: 0
; TotalNumVgprs: 172
; ScratchSize: 640
; MemoryBound: 0
; FloatMode: 240
; IeeeMode: 1
; LDSByteSize: 1248 bytes/workgroup (compile time only)
; SGPRBlocks: 2
; VGPRBlocks: 21
; NumSGPRsForWavesPerEU: 18
; NumVGPRsForWavesPerEU: 172
; AccumOffset: 172
; Occupancy: 2
; WaveLimiterHint : 0
; COMPUTE_PGM_RSRC2:SCRATCH_EN: 1
; COMPUTE_PGM_RSRC2:USER_SGPR: 2
; COMPUTE_PGM_RSRC2:TRAP_HANDLER: 0
; COMPUTE_PGM_RSRC2:TGID_X_EN: 1
; COMPUTE_PGM_RSRC2:TGID_Y_EN: 0
; COMPUTE_PGM_RSRC2:TGID_Z_EN: 0
; COMPUTE_PGM_RSRC2:TIDIG_COMP_CNT: 0
; COMPUTE_PGM_RSRC3_GFX90A:ACCUM_OFFSET: 42
; COMPUTE_PGM_RSRC3_GFX90A:TG_SPLIT: 0
	.section	.text._ZN9rocsolver6v33100L18trti2_kernel_smallILi40E19rocblas_complex_numIdEPS3_EEv13rocblas_fill_17rocblas_diagonal_T1_iil,"axG",@progbits,_ZN9rocsolver6v33100L18trti2_kernel_smallILi40E19rocblas_complex_numIdEPS3_EEv13rocblas_fill_17rocblas_diagonal_T1_iil,comdat
	.globl	_ZN9rocsolver6v33100L18trti2_kernel_smallILi40E19rocblas_complex_numIdEPS3_EEv13rocblas_fill_17rocblas_diagonal_T1_iil ; -- Begin function _ZN9rocsolver6v33100L18trti2_kernel_smallILi40E19rocblas_complex_numIdEPS3_EEv13rocblas_fill_17rocblas_diagonal_T1_iil
	.p2align	8
	.type	_ZN9rocsolver6v33100L18trti2_kernel_smallILi40E19rocblas_complex_numIdEPS3_EEv13rocblas_fill_17rocblas_diagonal_T1_iil,@function
_ZN9rocsolver6v33100L18trti2_kernel_smallILi40E19rocblas_complex_numIdEPS3_EEv13rocblas_fill_17rocblas_diagonal_T1_iil: ; @_ZN9rocsolver6v33100L18trti2_kernel_smallILi40E19rocblas_complex_numIdEPS3_EEv13rocblas_fill_17rocblas_diagonal_T1_iil
; %bb.0:
	v_cmp_gt_u32_e32 vcc, 40, v0
	s_and_saveexec_b64 s[4:5], vcc
	s_cbranch_execz .LBB39_627
; %bb.1:
	s_load_dwordx8 s[4:11], s[0:1], 0x0
	s_ashr_i32 s3, s2, 31
	v_lshlrev_b32_e32 v94, 4, v0
	v_mov_b32_e32 v95, 0
	v_mov_b32_e32 v1, 0
	s_waitcnt lgkmcnt(0)
	s_ashr_i32 s1, s8, 31
	s_mov_b32 s0, s8
	s_mul_i32 s8, s2, s11
	s_mul_hi_u32 s11, s2, s10
	s_add_i32 s8, s11, s8
	s_mul_i32 s3, s3, s10
	s_add_i32 s3, s8, s3
	s_mul_i32 s2, s2, s10
	s_lshl_b64 s[2:3], s[2:3], 4
	s_add_u32 s2, s6, s2
	s_addc_u32 s3, s7, s3
	s_lshl_b64 s[0:1], s[0:1], 4
	s_add_u32 s0, s2, s0
	s_addc_u32 s1, s3, s1
	global_load_dwordx4 v[58:61], v94, s[0:1]
	s_add_i32 s2, s9, s9
	v_add_u32_e32 v4, s2, v0
	v_add_u32_e32 v2, s9, v4
	;; [unrolled: 1-line block ×38, first 2 shown]
	v_ashrrev_i32_e32 v15, 31, v14
	s_mov_b32 s2, s9
	s_ashr_i32 s3, s9, 31
	v_lshl_add_u64 v[52:53], s[0:1], 0, v[94:95]
	v_ashrrev_i32_e32 v3, 31, v2
	v_ashrrev_i32_e32 v9, 31, v8
	;; [unrolled: 1-line block ×13, first 2 shown]
	v_lshl_add_u64 v[14:15], v[14:15], 4, s[0:1]
	global_load_dwordx4 v[96:99], v[14:15], off
	v_ashrrev_i32_e32 v5, 31, v4
	v_lshl_add_u64 v[50:51], s[2:3], 4, v[52:53]
	v_lshl_add_u64 v[44:45], v[2:3], 4, s[0:1]
	v_ashrrev_i32_e32 v7, 31, v6
	v_lshl_add_u64 v[42:43], v[8:9], 4, s[0:1]
	v_ashrrev_i32_e32 v11, 31, v10
	v_lshl_add_u64 v[32:33], v[12:13], 4, s[0:1]
	v_lshl_add_u64 v[26:27], v[16:17], 4, s[0:1]
	;; [unrolled: 1-line block ×3, first 2 shown]
	v_ashrrev_i32_e32 v21, 31, v20
	v_lshl_add_u64 v[24:25], v[22:23], 4, s[0:1]
	v_lshl_add_u64 v[16:17], v[34:35], 4, s[0:1]
	;; [unrolled: 1-line block ×7, first 2 shown]
	v_ashrrev_i32_e32 v123, 31, v122
	v_lshl_add_u64 v[54:55], v[128:129], 4, s[0:1]
	v_lshl_add_u64 v[36:37], v[4:5], 4, s[0:1]
	global_load_dwordx4 v[62:65], v[50:51], off
	global_load_dwordx4 v[66:69], v[36:37], off
	v_lshl_add_u64 v[38:39], v[6:7], 4, s[0:1]
	global_load_dwordx4 v[2:5], v[44:45], off
	global_load_dwordx4 v[70:73], v[38:39], off
	;; [unrolled: 3-line block ×3, first 2 shown]
	global_load_dwordx4 v[10:13], v[32:33], off
	global_load_dwordx4 v[78:81], v[26:27], off
	v_lshl_add_u64 v[20:21], v[20:21], 4, s[0:1]
	global_load_dwordx4 v[82:85], v[28:29], off
	global_load_dwordx4 v[86:89], v[20:21], off
	;; [unrolled: 1-line block ×8, first 2 shown]
	v_lshl_add_u64 v[48:49], v[122:123], 4, s[0:1]
	global_load_dwordx4 v[120:123], v[46:47], off
	global_load_dwordx4 v[124:127], v[48:49], off
	v_ashrrev_i32_e32 v57, 31, v56
	s_waitcnt vmcnt(19)
	scratch_store_dwordx4 off, v[58:61], off
	global_load_dwordx4 v[58:61], v[54:55], off
	v_ashrrev_i32_e32 v131, 31, v130
	v_ashrrev_i32_e32 v135, 31, v134
	;; [unrolled: 1-line block ×9, first 2 shown]
	v_lshl_add_u64 v[56:57], v[56:57], 4, s[0:1]
	v_ashrrev_i32_e32 v133, 31, v132
	v_ashrrev_i32_e32 v137, 31, v136
	;; [unrolled: 1-line block ×9, first 2 shown]
	s_waitcnt vmcnt(19)
	scratch_store_dwordx4 off, v[62:65], off offset:16
	s_waitcnt vmcnt(19)
	scratch_store_dwordx4 off, v[66:69], off offset:32
	;; [unrolled: 2-line block ×18, first 2 shown]
	v_lshl_add_u64 v[62:63], v[134:135], 4, s[0:1]
	v_lshl_add_u64 v[66:67], v[138:139], 4, s[0:1]
	s_waitcnt vmcnt(18)
	scratch_store_dwordx4 off, v[58:61], off offset:304
	v_lshl_add_u64 v[70:71], v[142:143], 4, s[0:1]
	v_lshl_add_u64 v[74:75], v[146:147], 4, s[0:1]
	;; [unrolled: 1-line block ×7, first 2 shown]
	global_load_dwordx4 v[2:5], v[56:57], off
	v_lshl_add_u64 v[60:61], v[132:133], 4, s[0:1]
	global_load_dwordx4 v[6:9], v[58:59], off
	global_load_dwordx4 v[10:13], v[60:61], off
	v_lshl_add_u64 v[64:65], v[136:137], 4, s[0:1]
	global_load_dwordx4 v[100:103], v[62:63], off
	;; [unrolled: 3-line block ×9, first 2 shown]
	global_load_dwordx4 v[160:163], v[92:93], off
	s_cmpk_lg_i32 s5, 0x84
	s_cselect_b64 s[6:7], -1, 0
	s_cmpk_eq_i32 s5, 0x84
	s_waitcnt vmcnt(18)
	scratch_store_dwordx4 off, v[2:5], off offset:320
	s_waitcnt vmcnt(18)
	scratch_store_dwordx4 off, v[6:9], off offset:336
	;; [unrolled: 2-line block ×19, first 2 shown]
	scratch_store_dwordx4 off, v[96:99], off offset:624
	s_cbranch_scc1 .LBB39_7
; %bb.2:
	scratch_load_dwordx4 v[6:9], v94, off
                                        ; implicit-def: $vgpr10_vgpr11
	s_waitcnt vmcnt(0)
	v_xor_b32_e32 v3, 0x80000000, v7
	v_cmp_gt_f64_e32 vcc, 0, v[6:7]
	v_xor_b32_e32 v4, 0x80000000, v9
	v_mov_b32_e32 v2, v6
	v_cndmask_b32_e32 v3, v7, v3, vcc
	v_cmp_gt_f64_e32 vcc, 0, v[8:9]
	s_nop 1
	v_cndmask_b32_e32 v5, v9, v4, vcc
	v_mov_b32_e32 v4, v8
	v_cmp_ngt_f64_e32 vcc, v[2:3], v[4:5]
                                        ; implicit-def: $vgpr2_vgpr3
	s_and_saveexec_b64 s[0:1], vcc
	s_xor_b64 s[0:1], exec, s[0:1]
	s_cbranch_execz .LBB39_4
; %bb.3:
	v_div_scale_f64 v[2:3], s[2:3], v[8:9], v[8:9], v[6:7]
	v_rcp_f64_e32 v[4:5], v[2:3]
	v_div_scale_f64 v[10:11], vcc, v[6:7], v[8:9], v[6:7]
	v_fma_f64 v[12:13], -v[2:3], v[4:5], 1.0
	v_fmac_f64_e32 v[4:5], v[4:5], v[12:13]
	v_fma_f64 v[12:13], -v[2:3], v[4:5], 1.0
	v_fmac_f64_e32 v[4:5], v[4:5], v[12:13]
	v_mul_f64 v[12:13], v[10:11], v[4:5]
	v_fma_f64 v[2:3], -v[2:3], v[12:13], v[10:11]
	v_div_fmas_f64 v[2:3], v[2:3], v[4:5], v[12:13]
	v_div_fixup_f64 v[2:3], v[2:3], v[8:9], v[6:7]
	v_fmac_f64_e32 v[8:9], v[6:7], v[2:3]
	v_div_scale_f64 v[4:5], s[2:3], v[8:9], v[8:9], 1.0
	v_rcp_f64_e32 v[6:7], v[4:5]
	s_nop 0
	v_fma_f64 v[10:11], -v[4:5], v[6:7], 1.0
	v_fmac_f64_e32 v[6:7], v[6:7], v[10:11]
	v_fma_f64 v[10:11], -v[4:5], v[6:7], 1.0
	v_fmac_f64_e32 v[6:7], v[6:7], v[10:11]
	v_div_scale_f64 v[10:11], vcc, 1.0, v[8:9], 1.0
	v_mul_f64 v[12:13], v[10:11], v[6:7]
	v_fma_f64 v[4:5], -v[4:5], v[12:13], v[10:11]
	s_nop 1
	v_div_fmas_f64 v[4:5], v[4:5], v[6:7], v[12:13]
	v_div_fixup_f64 v[4:5], v[4:5], v[8:9], 1.0
	v_mul_f64 v[2:3], v[2:3], v[4:5]
	v_xor_b32_e32 v5, 0x80000000, v5
	v_xor_b32_e32 v11, 0x80000000, v3
	v_mov_b32_e32 v10, v2
                                        ; implicit-def: $vgpr6_vgpr7
.LBB39_4:
	s_or_saveexec_b64 s[0:1], s[0:1]
	v_add_u32_e32 v12, 0, v94
	s_xor_b64 exec, exec, s[0:1]
	s_cbranch_execz .LBB39_6
; %bb.5:
	v_div_scale_f64 v[2:3], s[2:3], v[6:7], v[6:7], v[8:9]
	v_rcp_f64_e32 v[4:5], v[2:3]
	v_div_scale_f64 v[10:11], vcc, v[8:9], v[6:7], v[8:9]
	v_fma_f64 v[96:97], -v[2:3], v[4:5], 1.0
	v_fmac_f64_e32 v[4:5], v[4:5], v[96:97]
	v_fma_f64 v[96:97], -v[2:3], v[4:5], 1.0
	v_fmac_f64_e32 v[4:5], v[4:5], v[96:97]
	v_mul_f64 v[96:97], v[10:11], v[4:5]
	v_fma_f64 v[2:3], -v[2:3], v[96:97], v[10:11]
	v_div_fmas_f64 v[2:3], v[2:3], v[4:5], v[96:97]
	v_div_fixup_f64 v[4:5], v[2:3], v[6:7], v[8:9]
	v_fmac_f64_e32 v[6:7], v[8:9], v[4:5]
	v_div_scale_f64 v[2:3], s[2:3], v[6:7], v[6:7], 1.0
	v_rcp_f64_e32 v[8:9], v[2:3]
	s_nop 0
	v_fma_f64 v[10:11], -v[2:3], v[8:9], 1.0
	v_fmac_f64_e32 v[8:9], v[8:9], v[10:11]
	v_fma_f64 v[10:11], -v[2:3], v[8:9], 1.0
	v_fmac_f64_e32 v[8:9], v[8:9], v[10:11]
	v_div_scale_f64 v[10:11], vcc, 1.0, v[6:7], 1.0
	v_mul_f64 v[96:97], v[10:11], v[8:9]
	v_fma_f64 v[2:3], -v[2:3], v[96:97], v[10:11]
	s_nop 1
	v_div_fmas_f64 v[2:3], v[2:3], v[8:9], v[96:97]
	v_div_fixup_f64 v[2:3], v[2:3], v[6:7], 1.0
	v_xor_b32_e32 v11, 0x80000000, v3
	v_mov_b32_e32 v10, v2
	v_mul_f64 v[4:5], v[4:5], -v[2:3]
.LBB39_6:
	s_or_b64 exec, exec, s[0:1]
	scratch_store_dwordx4 v12, v[2:5], off
	s_nop 1
	v_xor_b32_e32 v5, 0x80000000, v5
	s_branch .LBB39_8
.LBB39_7:
	v_mov_b64_e32 v[4:5], 0
	v_mov_b64_e32 v[10:11], -1.0
.LBB39_8:
	v_mov_b32_e32 v12, v4
	v_mov_b32_e32 v13, v5
	v_add_u32_e32 v130, 16, v1
	v_add_u32_e32 v129, 32, v1
	;; [unrolled: 1-line block ×39, first 2 shown]
	ds_write_b128 v94, v[10:13]
	s_cmpk_eq_i32 s4, 0x79
	v_add_u32_e32 v11, 0x280, v94
	v_add_u32_e32 v10, 0, v94
	s_cbranch_scc1 .LBB39_316
; %bb.9:
	scratch_load_dwordx4 v[2:5], v8, off
	v_cmp_eq_u32_e64 s[0:1], 39, v0
	s_waitcnt vmcnt(0)
	ds_write_b128 v11, v[2:5]
	s_waitcnt lgkmcnt(0)
	; wave barrier
	s_waitcnt lgkmcnt(0)
	s_and_saveexec_b64 s[2:3], s[0:1]
	s_cbranch_execz .LBB39_13
; %bb.10:
	ds_read_b128 v[2:5], v11
	s_andn2_b64 vcc, exec, s[6:7]
	s_cbranch_vccnz .LBB39_12
; %bb.11:
	scratch_load_dwordx4 v[132:135], v10, off
	s_waitcnt vmcnt(0) lgkmcnt(0)
	v_mul_f64 v[12:13], v[2:3], v[134:135]
	v_mul_f64 v[6:7], v[4:5], v[134:135]
	v_fmac_f64_e32 v[12:13], v[4:5], v[132:133]
	v_fma_f64 v[2:3], v[2:3], v[132:133], -v[6:7]
	v_mov_b64_e32 v[4:5], v[12:13]
.LBB39_12:
	v_mov_b32_e32 v6, 0
	ds_read_b128 v[132:135], v6 offset:608
	s_waitcnt lgkmcnt(0)
	v_mul_f64 v[6:7], v[4:5], v[134:135]
	v_mul_f64 v[136:137], v[2:3], v[134:135]
	v_fma_f64 v[134:135], v[2:3], v[132:133], -v[6:7]
	v_fmac_f64_e32 v[136:137], v[4:5], v[132:133]
	scratch_store_dwordx4 off, v[134:137], off offset:608
.LBB39_13:
	s_or_b64 exec, exec, s[2:3]
	scratch_load_dwordx4 v[2:5], v9, off
	v_cmp_lt_u32_e64 s[2:3], 37, v0
	s_waitcnt vmcnt(0)
	ds_write_b128 v11, v[2:5]
	s_waitcnt lgkmcnt(0)
	; wave barrier
	s_waitcnt lgkmcnt(0)
	s_and_saveexec_b64 s[4:5], s[2:3]
	s_cbranch_execz .LBB39_19
; %bb.14:
	ds_read_b128 v[2:5], v11
	s_andn2_b64 vcc, exec, s[6:7]
	s_cbranch_vccnz .LBB39_16
; %bb.15:
	scratch_load_dwordx4 v[132:135], v10, off
	s_waitcnt vmcnt(0) lgkmcnt(0)
	v_mul_f64 v[12:13], v[2:3], v[134:135]
	v_mul_f64 v[6:7], v[4:5], v[134:135]
	v_fmac_f64_e32 v[12:13], v[4:5], v[132:133]
	v_fma_f64 v[2:3], v[2:3], v[132:133], -v[6:7]
	v_mov_b64_e32 v[4:5], v[12:13]
.LBB39_16:
	s_and_saveexec_b64 s[8:9], s[0:1]
	s_cbranch_execz .LBB39_18
; %bb.17:
	scratch_load_dwordx4 v[132:135], off, off offset:608
	v_mov_b32_e32 v6, 0
	ds_read_b128 v[136:139], v6 offset:1248
	s_waitcnt vmcnt(0) lgkmcnt(0)
	v_mul_f64 v[6:7], v[136:137], v[134:135]
	v_mul_f64 v[12:13], v[138:139], v[134:135]
	v_fmac_f64_e32 v[6:7], v[138:139], v[132:133]
	v_fma_f64 v[12:13], v[136:137], v[132:133], -v[12:13]
	v_add_f64 v[4:5], v[4:5], v[6:7]
	v_add_f64 v[2:3], v[2:3], v[12:13]
.LBB39_18:
	s_or_b64 exec, exec, s[8:9]
	v_mov_b32_e32 v6, 0
	ds_read_b128 v[132:135], v6 offset:592
	s_waitcnt lgkmcnt(0)
	v_mul_f64 v[6:7], v[4:5], v[134:135]
	v_mul_f64 v[136:137], v[2:3], v[134:135]
	v_fma_f64 v[134:135], v[2:3], v[132:133], -v[6:7]
	v_fmac_f64_e32 v[136:137], v[4:5], v[132:133]
	scratch_store_dwordx4 off, v[134:137], off offset:592
.LBB39_19:
	s_or_b64 exec, exec, s[4:5]
	scratch_load_dwordx4 v[2:5], v95, off
	v_cmp_lt_u32_e64 s[0:1], 36, v0
	s_waitcnt vmcnt(0)
	ds_write_b128 v11, v[2:5]
	s_waitcnt lgkmcnt(0)
	; wave barrier
	s_waitcnt lgkmcnt(0)
	s_and_saveexec_b64 s[4:5], s[0:1]
	s_cbranch_execz .LBB39_27
; %bb.20:
	ds_read_b128 v[2:5], v11
	s_andn2_b64 vcc, exec, s[6:7]
	s_cbranch_vccnz .LBB39_22
; %bb.21:
	scratch_load_dwordx4 v[132:135], v10, off
	s_waitcnt vmcnt(0) lgkmcnt(0)
	v_mul_f64 v[12:13], v[2:3], v[134:135]
	v_mul_f64 v[6:7], v[4:5], v[134:135]
	v_fmac_f64_e32 v[12:13], v[4:5], v[132:133]
	v_fma_f64 v[2:3], v[2:3], v[132:133], -v[6:7]
	v_mov_b64_e32 v[4:5], v[12:13]
.LBB39_22:
	s_and_saveexec_b64 s[8:9], s[2:3]
	s_cbranch_execz .LBB39_26
; %bb.23:
	v_mov_b32_e32 v7, 0
	v_subrev_u32_e32 v6, 37, v0
	v_add_u32_e32 v7, 0x258, v7
	s_movk_i32 s10, 0x4d0
	s_mov_b64 s[2:3], 0
.LBB39_24:                              ; =>This Inner Loop Header: Depth=1
	v_add_u32_e32 v12, -8, v7
	scratch_load_dwordx4 v[132:135], v12, off
	v_mov_b32_e32 v12, s10
	ds_read_b128 v[136:139], v12
	v_add_u32_e32 v6, -1, v6
	s_add_i32 s10, s10, 16
	v_cmp_eq_u32_e32 vcc, 0, v6
	v_add_u32_e32 v7, 16, v7
	s_or_b64 s[2:3], vcc, s[2:3]
	s_waitcnt vmcnt(0) lgkmcnt(0)
	v_mul_f64 v[12:13], v[138:139], v[134:135]
	v_mul_f64 v[134:135], v[136:137], v[134:135]
	v_fma_f64 v[12:13], v[136:137], v[132:133], -v[12:13]
	v_fmac_f64_e32 v[134:135], v[138:139], v[132:133]
	v_add_f64 v[2:3], v[2:3], v[12:13]
	v_add_f64 v[4:5], v[4:5], v[134:135]
	s_andn2_b64 exec, exec, s[2:3]
	s_cbranch_execnz .LBB39_24
; %bb.25:
	s_or_b64 exec, exec, s[2:3]
.LBB39_26:
	s_or_b64 exec, exec, s[8:9]
	v_mov_b32_e32 v6, 0
	ds_read_b128 v[132:135], v6 offset:576
	s_waitcnt lgkmcnt(0)
	v_mul_f64 v[6:7], v[4:5], v[134:135]
	v_mul_f64 v[136:137], v[2:3], v[134:135]
	v_fma_f64 v[134:135], v[2:3], v[132:133], -v[6:7]
	v_fmac_f64_e32 v[136:137], v[4:5], v[132:133]
	scratch_store_dwordx4 off, v[134:137], off offset:576
.LBB39_27:
	s_or_b64 exec, exec, s[4:5]
	scratch_load_dwordx4 v[2:5], v96, off
	v_cmp_lt_u32_e64 s[2:3], 35, v0
	s_waitcnt vmcnt(0)
	ds_write_b128 v11, v[2:5]
	s_waitcnt lgkmcnt(0)
	; wave barrier
	s_waitcnt lgkmcnt(0)
	s_and_saveexec_b64 s[4:5], s[2:3]
	s_cbranch_execz .LBB39_35
; %bb.28:
	ds_read_b128 v[2:5], v11
	s_andn2_b64 vcc, exec, s[6:7]
	s_cbranch_vccnz .LBB39_30
; %bb.29:
	scratch_load_dwordx4 v[132:135], v10, off
	s_waitcnt vmcnt(0) lgkmcnt(0)
	v_mul_f64 v[12:13], v[2:3], v[134:135]
	v_mul_f64 v[6:7], v[4:5], v[134:135]
	v_fmac_f64_e32 v[12:13], v[4:5], v[132:133]
	v_fma_f64 v[2:3], v[2:3], v[132:133], -v[6:7]
	v_mov_b64_e32 v[4:5], v[12:13]
.LBB39_30:
	s_and_saveexec_b64 s[8:9], s[0:1]
	s_cbranch_execz .LBB39_34
; %bb.31:
	v_mov_b32_e32 v7, 0
	v_subrev_u32_e32 v6, 36, v0
	v_add_u32_e32 v7, 0x248, v7
	s_movk_i32 s10, 0x4c0
	s_mov_b64 s[0:1], 0
.LBB39_32:                              ; =>This Inner Loop Header: Depth=1
	v_add_u32_e32 v12, -8, v7
	scratch_load_dwordx4 v[132:135], v12, off
	v_mov_b32_e32 v12, s10
	ds_read_b128 v[136:139], v12
	v_add_u32_e32 v6, -1, v6
	s_add_i32 s10, s10, 16
	v_cmp_eq_u32_e32 vcc, 0, v6
	v_add_u32_e32 v7, 16, v7
	s_or_b64 s[0:1], vcc, s[0:1]
	s_waitcnt vmcnt(0) lgkmcnt(0)
	v_mul_f64 v[12:13], v[138:139], v[134:135]
	v_mul_f64 v[134:135], v[136:137], v[134:135]
	v_fma_f64 v[12:13], v[136:137], v[132:133], -v[12:13]
	v_fmac_f64_e32 v[134:135], v[138:139], v[132:133]
	v_add_f64 v[2:3], v[2:3], v[12:13]
	v_add_f64 v[4:5], v[4:5], v[134:135]
	s_andn2_b64 exec, exec, s[0:1]
	s_cbranch_execnz .LBB39_32
; %bb.33:
	s_or_b64 exec, exec, s[0:1]
.LBB39_34:
	s_or_b64 exec, exec, s[8:9]
	v_mov_b32_e32 v6, 0
	ds_read_b128 v[132:135], v6 offset:560
	s_waitcnt lgkmcnt(0)
	v_mul_f64 v[6:7], v[4:5], v[134:135]
	v_mul_f64 v[136:137], v[2:3], v[134:135]
	v_fma_f64 v[134:135], v[2:3], v[132:133], -v[6:7]
	v_fmac_f64_e32 v[136:137], v[4:5], v[132:133]
	scratch_store_dwordx4 off, v[134:137], off offset:560
.LBB39_35:
	;; [unrolled: 63-line block ×10, first 2 shown]
	s_or_b64 exec, exec, s[4:5]
	scratch_load_dwordx4 v[2:5], v105, off
	v_cmp_lt_u32_e64 s[0:1], 26, v0
	s_waitcnt vmcnt(0)
	ds_write_b128 v11, v[2:5]
	s_waitcnt lgkmcnt(0)
	; wave barrier
	s_waitcnt lgkmcnt(0)
	s_and_saveexec_b64 s[4:5], s[0:1]
	s_cbranch_execz .LBB39_107
; %bb.100:
	ds_read_b128 v[2:5], v11
	s_andn2_b64 vcc, exec, s[6:7]
	s_cbranch_vccnz .LBB39_102
; %bb.101:
	scratch_load_dwordx4 v[132:135], v10, off
	s_waitcnt vmcnt(0) lgkmcnt(0)
	v_mul_f64 v[12:13], v[2:3], v[134:135]
	v_mul_f64 v[6:7], v[4:5], v[134:135]
	v_fmac_f64_e32 v[12:13], v[4:5], v[132:133]
	v_fma_f64 v[2:3], v[2:3], v[132:133], -v[6:7]
	v_mov_b64_e32 v[4:5], v[12:13]
.LBB39_102:
	s_and_saveexec_b64 s[8:9], s[2:3]
	s_cbranch_execz .LBB39_106
; %bb.103:
	v_mov_b32_e32 v7, 0
	v_subrev_u32_e32 v6, 27, v0
	v_add_u32_e32 v7, 0x1b8, v7
	s_movk_i32 s10, 0x430
	s_mov_b64 s[2:3], 0
.LBB39_104:                             ; =>This Inner Loop Header: Depth=1
	v_add_u32_e32 v12, -8, v7
	scratch_load_dwordx4 v[132:135], v12, off
	v_mov_b32_e32 v12, s10
	ds_read_b128 v[136:139], v12
	v_add_u32_e32 v6, -1, v6
	s_add_i32 s10, s10, 16
	v_cmp_eq_u32_e32 vcc, 0, v6
	v_add_u32_e32 v7, 16, v7
	s_or_b64 s[2:3], vcc, s[2:3]
	s_waitcnt vmcnt(0) lgkmcnt(0)
	v_mul_f64 v[12:13], v[138:139], v[134:135]
	v_mul_f64 v[134:135], v[136:137], v[134:135]
	v_fma_f64 v[12:13], v[136:137], v[132:133], -v[12:13]
	v_fmac_f64_e32 v[134:135], v[138:139], v[132:133]
	v_add_f64 v[2:3], v[2:3], v[12:13]
	v_add_f64 v[4:5], v[4:5], v[134:135]
	s_andn2_b64 exec, exec, s[2:3]
	s_cbranch_execnz .LBB39_104
; %bb.105:
	s_or_b64 exec, exec, s[2:3]
.LBB39_106:
	s_or_b64 exec, exec, s[8:9]
	v_mov_b32_e32 v6, 0
	ds_read_b128 v[132:135], v6 offset:416
	s_waitcnt lgkmcnt(0)
	v_mul_f64 v[6:7], v[4:5], v[134:135]
	v_mul_f64 v[136:137], v[2:3], v[134:135]
	v_fma_f64 v[134:135], v[2:3], v[132:133], -v[6:7]
	v_fmac_f64_e32 v[136:137], v[4:5], v[132:133]
	scratch_store_dwordx4 off, v[134:137], off offset:416
.LBB39_107:
	s_or_b64 exec, exec, s[4:5]
	scratch_load_dwordx4 v[2:5], v106, off
	v_cmp_lt_u32_e64 s[2:3], 25, v0
	s_waitcnt vmcnt(0)
	ds_write_b128 v11, v[2:5]
	s_waitcnt lgkmcnt(0)
	; wave barrier
	s_waitcnt lgkmcnt(0)
	s_and_saveexec_b64 s[4:5], s[2:3]
	s_cbranch_execz .LBB39_115
; %bb.108:
	ds_read_b128 v[2:5], v11
	s_andn2_b64 vcc, exec, s[6:7]
	s_cbranch_vccnz .LBB39_110
; %bb.109:
	scratch_load_dwordx4 v[132:135], v10, off
	s_waitcnt vmcnt(0) lgkmcnt(0)
	v_mul_f64 v[12:13], v[2:3], v[134:135]
	v_mul_f64 v[6:7], v[4:5], v[134:135]
	v_fmac_f64_e32 v[12:13], v[4:5], v[132:133]
	v_fma_f64 v[2:3], v[2:3], v[132:133], -v[6:7]
	v_mov_b64_e32 v[4:5], v[12:13]
.LBB39_110:
	s_and_saveexec_b64 s[8:9], s[0:1]
	s_cbranch_execz .LBB39_114
; %bb.111:
	v_mov_b32_e32 v7, 0
	v_subrev_u32_e32 v6, 26, v0
	v_add_u32_e32 v7, 0x1a8, v7
	s_movk_i32 s10, 0x420
	s_mov_b64 s[0:1], 0
.LBB39_112:                             ; =>This Inner Loop Header: Depth=1
	v_add_u32_e32 v12, -8, v7
	scratch_load_dwordx4 v[132:135], v12, off
	v_mov_b32_e32 v12, s10
	ds_read_b128 v[136:139], v12
	v_add_u32_e32 v6, -1, v6
	s_add_i32 s10, s10, 16
	v_cmp_eq_u32_e32 vcc, 0, v6
	v_add_u32_e32 v7, 16, v7
	s_or_b64 s[0:1], vcc, s[0:1]
	s_waitcnt vmcnt(0) lgkmcnt(0)
	v_mul_f64 v[12:13], v[138:139], v[134:135]
	v_mul_f64 v[134:135], v[136:137], v[134:135]
	v_fma_f64 v[12:13], v[136:137], v[132:133], -v[12:13]
	v_fmac_f64_e32 v[134:135], v[138:139], v[132:133]
	v_add_f64 v[2:3], v[2:3], v[12:13]
	v_add_f64 v[4:5], v[4:5], v[134:135]
	s_andn2_b64 exec, exec, s[0:1]
	s_cbranch_execnz .LBB39_112
; %bb.113:
	s_or_b64 exec, exec, s[0:1]
.LBB39_114:
	s_or_b64 exec, exec, s[8:9]
	v_mov_b32_e32 v6, 0
	ds_read_b128 v[132:135], v6 offset:400
	s_waitcnt lgkmcnt(0)
	v_mul_f64 v[6:7], v[4:5], v[134:135]
	v_mul_f64 v[136:137], v[2:3], v[134:135]
	v_fma_f64 v[134:135], v[2:3], v[132:133], -v[6:7]
	v_fmac_f64_e32 v[136:137], v[4:5], v[132:133]
	scratch_store_dwordx4 off, v[134:137], off offset:400
.LBB39_115:
	;; [unrolled: 63-line block ×11, first 2 shown]
	s_or_b64 exec, exec, s[4:5]
	scratch_load_dwordx4 v[2:5], v116, off
	v_cmp_lt_u32_e64 s[2:3], 15, v0
	s_waitcnt vmcnt(0)
	ds_write_b128 v11, v[2:5]
	s_waitcnt lgkmcnt(0)
	; wave barrier
	s_waitcnt lgkmcnt(0)
	s_and_saveexec_b64 s[4:5], s[2:3]
	s_cbranch_execz .LBB39_195
; %bb.188:
	ds_read_b128 v[2:5], v11
	s_andn2_b64 vcc, exec, s[6:7]
	s_cbranch_vccnz .LBB39_190
; %bb.189:
	scratch_load_dwordx4 v[132:135], v10, off
	s_waitcnt vmcnt(0) lgkmcnt(0)
	v_mul_f64 v[12:13], v[2:3], v[134:135]
	v_mul_f64 v[6:7], v[4:5], v[134:135]
	v_fmac_f64_e32 v[12:13], v[4:5], v[132:133]
	v_fma_f64 v[2:3], v[2:3], v[132:133], -v[6:7]
	v_mov_b64_e32 v[4:5], v[12:13]
.LBB39_190:
	s_and_saveexec_b64 s[8:9], s[0:1]
	s_cbranch_execz .LBB39_194
; %bb.191:
	v_mov_b32_e32 v7, 0
	v_add_u32_e32 v6, -16, v0
	v_add_u32_e32 v7, 0x108, v7
	s_movk_i32 s10, 0x380
	s_mov_b64 s[0:1], 0
.LBB39_192:                             ; =>This Inner Loop Header: Depth=1
	v_add_u32_e32 v12, -8, v7
	scratch_load_dwordx4 v[132:135], v12, off
	v_mov_b32_e32 v12, s10
	ds_read_b128 v[136:139], v12
	v_add_u32_e32 v6, -1, v6
	s_add_i32 s10, s10, 16
	v_cmp_eq_u32_e32 vcc, 0, v6
	v_add_u32_e32 v7, 16, v7
	s_or_b64 s[0:1], vcc, s[0:1]
	s_waitcnt vmcnt(0) lgkmcnt(0)
	v_mul_f64 v[12:13], v[138:139], v[134:135]
	v_mul_f64 v[134:135], v[136:137], v[134:135]
	v_fma_f64 v[12:13], v[136:137], v[132:133], -v[12:13]
	v_fmac_f64_e32 v[134:135], v[138:139], v[132:133]
	v_add_f64 v[2:3], v[2:3], v[12:13]
	v_add_f64 v[4:5], v[4:5], v[134:135]
	s_andn2_b64 exec, exec, s[0:1]
	s_cbranch_execnz .LBB39_192
; %bb.193:
	s_or_b64 exec, exec, s[0:1]
.LBB39_194:
	s_or_b64 exec, exec, s[8:9]
	v_mov_b32_e32 v6, 0
	ds_read_b128 v[132:135], v6 offset:240
	s_waitcnt lgkmcnt(0)
	v_mul_f64 v[6:7], v[4:5], v[134:135]
	v_mul_f64 v[136:137], v[2:3], v[134:135]
	v_fma_f64 v[134:135], v[2:3], v[132:133], -v[6:7]
	v_fmac_f64_e32 v[136:137], v[4:5], v[132:133]
	scratch_store_dwordx4 off, v[134:137], off offset:240
.LBB39_195:
	s_or_b64 exec, exec, s[4:5]
	scratch_load_dwordx4 v[2:5], v117, off
	v_cmp_lt_u32_e64 s[0:1], 14, v0
	s_waitcnt vmcnt(0)
	ds_write_b128 v11, v[2:5]
	s_waitcnt lgkmcnt(0)
	; wave barrier
	s_waitcnt lgkmcnt(0)
	s_and_saveexec_b64 s[4:5], s[0:1]
	s_cbranch_execz .LBB39_203
; %bb.196:
	ds_read_b128 v[2:5], v11
	s_andn2_b64 vcc, exec, s[6:7]
	s_cbranch_vccnz .LBB39_198
; %bb.197:
	scratch_load_dwordx4 v[132:135], v10, off
	s_waitcnt vmcnt(0) lgkmcnt(0)
	v_mul_f64 v[12:13], v[2:3], v[134:135]
	v_mul_f64 v[6:7], v[4:5], v[134:135]
	v_fmac_f64_e32 v[12:13], v[4:5], v[132:133]
	v_fma_f64 v[2:3], v[2:3], v[132:133], -v[6:7]
	v_mov_b64_e32 v[4:5], v[12:13]
.LBB39_198:
	s_and_saveexec_b64 s[8:9], s[2:3]
	s_cbranch_execz .LBB39_202
; %bb.199:
	v_mov_b32_e32 v7, 0
	v_add_u32_e32 v6, -15, v0
	v_add_u32_e32 v7, 0xf8, v7
	s_movk_i32 s10, 0x370
	s_mov_b64 s[2:3], 0
.LBB39_200:                             ; =>This Inner Loop Header: Depth=1
	v_add_u32_e32 v12, -8, v7
	scratch_load_dwordx4 v[132:135], v12, off
	v_mov_b32_e32 v12, s10
	ds_read_b128 v[136:139], v12
	v_add_u32_e32 v6, -1, v6
	s_add_i32 s10, s10, 16
	v_cmp_eq_u32_e32 vcc, 0, v6
	v_add_u32_e32 v7, 16, v7
	s_or_b64 s[2:3], vcc, s[2:3]
	s_waitcnt vmcnt(0) lgkmcnt(0)
	v_mul_f64 v[12:13], v[138:139], v[134:135]
	v_mul_f64 v[134:135], v[136:137], v[134:135]
	v_fma_f64 v[12:13], v[136:137], v[132:133], -v[12:13]
	v_fmac_f64_e32 v[134:135], v[138:139], v[132:133]
	v_add_f64 v[2:3], v[2:3], v[12:13]
	v_add_f64 v[4:5], v[4:5], v[134:135]
	s_andn2_b64 exec, exec, s[2:3]
	s_cbranch_execnz .LBB39_200
; %bb.201:
	s_or_b64 exec, exec, s[2:3]
.LBB39_202:
	s_or_b64 exec, exec, s[8:9]
	v_mov_b32_e32 v6, 0
	ds_read_b128 v[132:135], v6 offset:224
	s_waitcnt lgkmcnt(0)
	v_mul_f64 v[6:7], v[4:5], v[134:135]
	v_mul_f64 v[136:137], v[2:3], v[134:135]
	v_fma_f64 v[134:135], v[2:3], v[132:133], -v[6:7]
	v_fmac_f64_e32 v[136:137], v[4:5], v[132:133]
	scratch_store_dwordx4 off, v[134:137], off offset:224
.LBB39_203:
	;; [unrolled: 63-line block ×15, first 2 shown]
	s_or_b64 exec, exec, s[2:3]
	scratch_load_dwordx4 v[2:5], off, off
	v_cmp_ne_u32_e32 vcc, 0, v0
	s_mov_b64 s[2:3], 0
	s_mov_b64 s[4:5], 0
                                        ; implicit-def: $vgpr6_vgpr7
                                        ; implicit-def: $vgpr12
	s_waitcnt vmcnt(0)
	ds_write_b128 v11, v[2:5]
	s_waitcnt lgkmcnt(0)
	; wave barrier
	s_waitcnt lgkmcnt(0)
	s_and_saveexec_b64 s[8:9], vcc
	s_cbranch_execz .LBB39_315
; %bb.308:
	ds_read_b128 v[2:5], v11
	s_andn2_b64 vcc, exec, s[6:7]
	s_cbranch_vccnz .LBB39_310
; %bb.309:
	scratch_load_dwordx4 v[132:135], v10, off
	s_waitcnt vmcnt(0) lgkmcnt(0)
	v_mul_f64 v[12:13], v[2:3], v[134:135]
	v_mul_f64 v[6:7], v[4:5], v[134:135]
	v_fmac_f64_e32 v[12:13], v[4:5], v[132:133]
	v_fma_f64 v[2:3], v[2:3], v[132:133], -v[6:7]
	v_mov_b64_e32 v[4:5], v[12:13]
.LBB39_310:
	s_and_saveexec_b64 s[4:5], s[0:1]
	s_cbranch_execz .LBB39_314
; %bb.311:
	v_mov_b32_e32 v7, 0
	v_add_u32_e32 v6, -1, v0
	v_add_u32_e32 v7, 24, v7
	s_movk_i32 s10, 0x290
	s_mov_b64 s[0:1], 0
.LBB39_312:                             ; =>This Inner Loop Header: Depth=1
	v_add_u32_e32 v12, -8, v7
	scratch_load_dwordx4 v[132:135], v12, off
	v_mov_b32_e32 v12, s10
	ds_read_b128 v[136:139], v12
	v_add_u32_e32 v6, -1, v6
	s_add_i32 s10, s10, 16
	v_cmp_eq_u32_e32 vcc, 0, v6
	v_add_u32_e32 v7, 16, v7
	s_or_b64 s[0:1], vcc, s[0:1]
	s_waitcnt vmcnt(0) lgkmcnt(0)
	v_mul_f64 v[12:13], v[138:139], v[134:135]
	v_mul_f64 v[134:135], v[136:137], v[134:135]
	v_fma_f64 v[12:13], v[136:137], v[132:133], -v[12:13]
	v_fmac_f64_e32 v[134:135], v[138:139], v[132:133]
	v_add_f64 v[2:3], v[2:3], v[12:13]
	v_add_f64 v[4:5], v[4:5], v[134:135]
	s_andn2_b64 exec, exec, s[0:1]
	s_cbranch_execnz .LBB39_312
; %bb.313:
	s_or_b64 exec, exec, s[0:1]
.LBB39_314:
	s_or_b64 exec, exec, s[4:5]
	v_mov_b32_e32 v6, 0
	ds_read_b128 v[132:135], v6
	v_mov_b32_e32 v6, 0
	v_or_b32_e32 v12, 8, v6
	s_mov_b64 s[4:5], exec
	s_waitcnt lgkmcnt(0)
	v_mul_f64 v[136:137], v[4:5], v[134:135]
	v_mul_f64 v[6:7], v[2:3], v[134:135]
	v_fma_f64 v[2:3], v[2:3], v[132:133], -v[136:137]
	v_fmac_f64_e32 v[6:7], v[4:5], v[132:133]
	scratch_store_dwordx2 off, v[2:3], off
.LBB39_315:
	s_or_b64 exec, exec, s[8:9]
	s_and_b64 vcc, exec, s[2:3]
	s_cbranch_vccnz .LBB39_317
	s_branch .LBB39_624
.LBB39_316:
	s_mov_b64 s[4:5], 0
                                        ; implicit-def: $vgpr6_vgpr7
                                        ; implicit-def: $vgpr12
	s_cbranch_execz .LBB39_624
.LBB39_317:
	scratch_load_dwordx4 v[2:5], v130, off
	v_cndmask_b32_e64 v6, 0, 1, s[6:7]
	v_cmp_eq_u32_e64 s[2:3], 0, v0
	v_cmp_ne_u32_e64 s[0:1], 1, v6
	s_waitcnt vmcnt(0)
	ds_write_b128 v11, v[2:5]
	s_waitcnt lgkmcnt(0)
	; wave barrier
	s_waitcnt lgkmcnt(0)
	s_and_saveexec_b64 s[6:7], s[2:3]
	s_cbranch_execz .LBB39_321
; %bb.318:
	ds_read_b128 v[2:5], v11
	s_and_b64 vcc, exec, s[0:1]
	s_cbranch_vccnz .LBB39_320
; %bb.319:
	scratch_load_dwordx4 v[132:135], v10, off
	s_waitcnt vmcnt(0) lgkmcnt(0)
	v_mul_f64 v[12:13], v[2:3], v[134:135]
	v_mul_f64 v[6:7], v[4:5], v[134:135]
	v_fmac_f64_e32 v[12:13], v[4:5], v[132:133]
	v_fma_f64 v[2:3], v[2:3], v[132:133], -v[6:7]
	v_mov_b64_e32 v[4:5], v[12:13]
.LBB39_320:
	v_mov_b32_e32 v6, 0
	ds_read_b128 v[132:135], v6 offset:16
	s_waitcnt lgkmcnt(0)
	v_mul_f64 v[6:7], v[4:5], v[134:135]
	v_mul_f64 v[136:137], v[2:3], v[134:135]
	v_fma_f64 v[134:135], v[2:3], v[132:133], -v[6:7]
	v_fmac_f64_e32 v[136:137], v[4:5], v[132:133]
	scratch_store_dwordx4 off, v[134:137], off offset:16
.LBB39_321:
	s_or_b64 exec, exec, s[6:7]
	scratch_load_dwordx4 v[2:5], v129, off
	v_cmp_gt_u32_e32 vcc, 2, v0
	s_waitcnt vmcnt(0)
	ds_write_b128 v11, v[2:5]
	s_waitcnt lgkmcnt(0)
	; wave barrier
	s_waitcnt lgkmcnt(0)
	s_and_saveexec_b64 s[6:7], vcc
	s_cbranch_execz .LBB39_327
; %bb.322:
	ds_read_b128 v[2:5], v11
	s_and_b64 vcc, exec, s[0:1]
	s_cbranch_vccnz .LBB39_324
; %bb.323:
	scratch_load_dwordx4 v[132:135], v10, off
	s_waitcnt vmcnt(0) lgkmcnt(0)
	v_mul_f64 v[12:13], v[2:3], v[134:135]
	v_mul_f64 v[6:7], v[4:5], v[134:135]
	v_fmac_f64_e32 v[12:13], v[4:5], v[132:133]
	v_fma_f64 v[2:3], v[2:3], v[132:133], -v[6:7]
	v_mov_b64_e32 v[4:5], v[12:13]
.LBB39_324:
	s_and_saveexec_b64 s[8:9], s[2:3]
	s_cbranch_execz .LBB39_326
; %bb.325:
	scratch_load_dwordx4 v[132:135], v10, off offset:16
	ds_read_b128 v[136:139], v11 offset:16
	s_waitcnt vmcnt(0) lgkmcnt(0)
	v_mul_f64 v[6:7], v[138:139], v[134:135]
	v_mul_f64 v[12:13], v[136:137], v[134:135]
	v_fma_f64 v[6:7], v[136:137], v[132:133], -v[6:7]
	v_fmac_f64_e32 v[12:13], v[138:139], v[132:133]
	v_add_f64 v[2:3], v[2:3], v[6:7]
	v_add_f64 v[4:5], v[4:5], v[12:13]
.LBB39_326:
	s_or_b64 exec, exec, s[8:9]
	v_mov_b32_e32 v6, 0
	ds_read_b128 v[132:135], v6 offset:32
	s_waitcnt lgkmcnt(0)
	v_mul_f64 v[6:7], v[4:5], v[134:135]
	v_mul_f64 v[136:137], v[2:3], v[134:135]
	v_fma_f64 v[134:135], v[2:3], v[132:133], -v[6:7]
	v_fmac_f64_e32 v[136:137], v[4:5], v[132:133]
	scratch_store_dwordx4 off, v[134:137], off offset:32
.LBB39_327:
	s_or_b64 exec, exec, s[6:7]
	scratch_load_dwordx4 v[2:5], v128, off
	v_cmp_gt_u32_e32 vcc, 3, v0
	s_waitcnt vmcnt(0)
	ds_write_b128 v11, v[2:5]
	s_waitcnt lgkmcnt(0)
	; wave barrier
	s_waitcnt lgkmcnt(0)
	s_and_saveexec_b64 s[6:7], vcc
	s_cbranch_execz .LBB39_335
; %bb.328:
	ds_read_b128 v[2:5], v11
	s_and_b64 vcc, exec, s[0:1]
	s_cbranch_vccnz .LBB39_330
; %bb.329:
	scratch_load_dwordx4 v[132:135], v10, off
	s_waitcnt vmcnt(0) lgkmcnt(0)
	v_mul_f64 v[12:13], v[2:3], v[134:135]
	v_mul_f64 v[6:7], v[4:5], v[134:135]
	v_fmac_f64_e32 v[12:13], v[4:5], v[132:133]
	v_fma_f64 v[2:3], v[2:3], v[132:133], -v[6:7]
	v_mov_b64_e32 v[4:5], v[12:13]
.LBB39_330:
	v_cmp_ne_u32_e32 vcc, 2, v0
	s_and_saveexec_b64 s[8:9], vcc
	s_cbranch_execz .LBB39_334
; %bb.331:
	scratch_load_dwordx4 v[132:135], v10, off offset:16
	ds_read_b128 v[136:139], v11 offset:16
	s_waitcnt vmcnt(0) lgkmcnt(0)
	v_mul_f64 v[6:7], v[138:139], v[134:135]
	v_mul_f64 v[12:13], v[136:137], v[134:135]
	v_fma_f64 v[6:7], v[136:137], v[132:133], -v[6:7]
	v_fmac_f64_e32 v[12:13], v[138:139], v[132:133]
	v_add_f64 v[2:3], v[2:3], v[6:7]
	v_add_f64 v[4:5], v[4:5], v[12:13]
	s_and_saveexec_b64 s[10:11], s[2:3]
	s_cbranch_execz .LBB39_333
; %bb.332:
	scratch_load_dwordx4 v[132:135], off, off offset:32
	v_mov_b32_e32 v6, 0
	ds_read_b128 v[136:139], v6 offset:672
	s_waitcnt vmcnt(0) lgkmcnt(0)
	v_mul_f64 v[6:7], v[136:137], v[134:135]
	v_mul_f64 v[12:13], v[138:139], v[134:135]
	v_fmac_f64_e32 v[6:7], v[138:139], v[132:133]
	v_fma_f64 v[12:13], v[136:137], v[132:133], -v[12:13]
	v_add_f64 v[4:5], v[4:5], v[6:7]
	v_add_f64 v[2:3], v[2:3], v[12:13]
.LBB39_333:
	s_or_b64 exec, exec, s[10:11]
.LBB39_334:
	s_or_b64 exec, exec, s[8:9]
	v_mov_b32_e32 v6, 0
	ds_read_b128 v[132:135], v6 offset:48
	s_waitcnt lgkmcnt(0)
	v_mul_f64 v[6:7], v[4:5], v[134:135]
	v_mul_f64 v[136:137], v[2:3], v[134:135]
	v_fma_f64 v[134:135], v[2:3], v[132:133], -v[6:7]
	v_fmac_f64_e32 v[136:137], v[4:5], v[132:133]
	scratch_store_dwordx4 off, v[134:137], off offset:48
.LBB39_335:
	s_or_b64 exec, exec, s[6:7]
	scratch_load_dwordx4 v[2:5], v127, off
	v_cmp_gt_u32_e32 vcc, 4, v0
	s_waitcnt vmcnt(0)
	ds_write_b128 v11, v[2:5]
	s_waitcnt lgkmcnt(0)
	; wave barrier
	s_waitcnt lgkmcnt(0)
	s_and_saveexec_b64 s[2:3], vcc
	s_cbranch_execz .LBB39_343
; %bb.336:
	ds_read_b128 v[2:5], v11
	s_and_b64 vcc, exec, s[0:1]
	s_cbranch_vccnz .LBB39_338
; %bb.337:
	scratch_load_dwordx4 v[132:135], v10, off
	s_waitcnt vmcnt(0) lgkmcnt(0)
	v_mul_f64 v[12:13], v[2:3], v[134:135]
	v_mul_f64 v[6:7], v[4:5], v[134:135]
	v_fmac_f64_e32 v[12:13], v[4:5], v[132:133]
	v_fma_f64 v[2:3], v[2:3], v[132:133], -v[6:7]
	v_mov_b64_e32 v[4:5], v[12:13]
.LBB39_338:
	v_cmp_ne_u32_e32 vcc, 3, v0
	s_and_saveexec_b64 s[6:7], vcc
	s_cbranch_execz .LBB39_342
; %bb.339:
	v_mov_b32_e32 v7, 0
	v_add_u32_e32 v6, 0x290, v94
	v_add3_u32 v7, v94, v7, 24
	s_mov_b64 s[8:9], 0
	v_mov_b32_e32 v12, v0
.LBB39_340:                             ; =>This Inner Loop Header: Depth=1
	v_add_u32_e32 v13, -8, v7
	scratch_load_dwordx4 v[132:135], v13, off
	ds_read_b128 v[136:139], v6
	v_add_u32_e32 v12, 1, v12
	v_cmp_lt_u32_e32 vcc, 2, v12
	v_add_u32_e32 v6, 16, v6
	v_add_u32_e32 v7, 16, v7
	s_or_b64 s[8:9], vcc, s[8:9]
	s_waitcnt vmcnt(0) lgkmcnt(0)
	v_mul_f64 v[140:141], v[138:139], v[134:135]
	v_mul_f64 v[134:135], v[136:137], v[134:135]
	v_fma_f64 v[136:137], v[136:137], v[132:133], -v[140:141]
	v_fmac_f64_e32 v[134:135], v[138:139], v[132:133]
	v_add_f64 v[2:3], v[2:3], v[136:137]
	v_add_f64 v[4:5], v[4:5], v[134:135]
	s_andn2_b64 exec, exec, s[8:9]
	s_cbranch_execnz .LBB39_340
; %bb.341:
	s_or_b64 exec, exec, s[8:9]
.LBB39_342:
	s_or_b64 exec, exec, s[6:7]
	v_mov_b32_e32 v6, 0
	ds_read_b128 v[132:135], v6 offset:64
	s_waitcnt lgkmcnt(0)
	v_mul_f64 v[6:7], v[4:5], v[134:135]
	v_mul_f64 v[136:137], v[2:3], v[134:135]
	v_fma_f64 v[134:135], v[2:3], v[132:133], -v[6:7]
	v_fmac_f64_e32 v[136:137], v[4:5], v[132:133]
	scratch_store_dwordx4 off, v[134:137], off offset:64
.LBB39_343:
	s_or_b64 exec, exec, s[2:3]
	scratch_load_dwordx4 v[2:5], v126, off
	v_cmp_gt_u32_e32 vcc, 5, v0
	s_waitcnt vmcnt(0)
	ds_write_b128 v11, v[2:5]
	s_waitcnt lgkmcnt(0)
	; wave barrier
	s_waitcnt lgkmcnt(0)
	s_and_saveexec_b64 s[2:3], vcc
	s_cbranch_execz .LBB39_351
; %bb.344:
	ds_read_b128 v[2:5], v11
	s_and_b64 vcc, exec, s[0:1]
	s_cbranch_vccnz .LBB39_346
; %bb.345:
	scratch_load_dwordx4 v[132:135], v10, off
	s_waitcnt vmcnt(0) lgkmcnt(0)
	v_mul_f64 v[12:13], v[2:3], v[134:135]
	v_mul_f64 v[6:7], v[4:5], v[134:135]
	v_fmac_f64_e32 v[12:13], v[4:5], v[132:133]
	v_fma_f64 v[2:3], v[2:3], v[132:133], -v[6:7]
	v_mov_b64_e32 v[4:5], v[12:13]
.LBB39_346:
	v_cmp_ne_u32_e32 vcc, 4, v0
	s_and_saveexec_b64 s[6:7], vcc
	s_cbranch_execz .LBB39_350
; %bb.347:
	v_mov_b32_e32 v7, 0
	v_add_u32_e32 v6, 0x290, v94
	v_add3_u32 v7, v94, v7, 24
	s_mov_b64 s[8:9], 0
	v_mov_b32_e32 v12, v0
.LBB39_348:                             ; =>This Inner Loop Header: Depth=1
	v_add_u32_e32 v13, -8, v7
	scratch_load_dwordx4 v[132:135], v13, off
	ds_read_b128 v[136:139], v6
	v_add_u32_e32 v12, 1, v12
	v_cmp_lt_u32_e32 vcc, 3, v12
	v_add_u32_e32 v6, 16, v6
	v_add_u32_e32 v7, 16, v7
	s_or_b64 s[8:9], vcc, s[8:9]
	s_waitcnt vmcnt(0) lgkmcnt(0)
	v_mul_f64 v[140:141], v[138:139], v[134:135]
	v_mul_f64 v[134:135], v[136:137], v[134:135]
	v_fma_f64 v[136:137], v[136:137], v[132:133], -v[140:141]
	v_fmac_f64_e32 v[134:135], v[138:139], v[132:133]
	v_add_f64 v[2:3], v[2:3], v[136:137]
	v_add_f64 v[4:5], v[4:5], v[134:135]
	s_andn2_b64 exec, exec, s[8:9]
	s_cbranch_execnz .LBB39_348
; %bb.349:
	s_or_b64 exec, exec, s[8:9]
.LBB39_350:
	s_or_b64 exec, exec, s[6:7]
	v_mov_b32_e32 v6, 0
	ds_read_b128 v[132:135], v6 offset:80
	s_waitcnt lgkmcnt(0)
	v_mul_f64 v[6:7], v[4:5], v[134:135]
	v_mul_f64 v[136:137], v[2:3], v[134:135]
	v_fma_f64 v[134:135], v[2:3], v[132:133], -v[6:7]
	v_fmac_f64_e32 v[136:137], v[4:5], v[132:133]
	scratch_store_dwordx4 off, v[134:137], off offset:80
.LBB39_351:
	;; [unrolled: 63-line block ×34, first 2 shown]
	s_or_b64 exec, exec, s[2:3]
	scratch_load_dwordx4 v[2:5], v8, off
	v_cmp_gt_u32_e64 s[2:3], 38, v0
	s_waitcnt vmcnt(0)
	ds_write_b128 v11, v[2:5]
	s_waitcnt lgkmcnt(0)
	; wave barrier
	s_waitcnt lgkmcnt(0)
	s_and_saveexec_b64 s[6:7], s[2:3]
	s_cbranch_execz .LBB39_615
; %bb.608:
	ds_read_b128 v[2:5], v11
	s_and_b64 vcc, exec, s[0:1]
	s_cbranch_vccnz .LBB39_610
; %bb.609:
	scratch_load_dwordx4 v[132:135], v10, off
	s_waitcnt vmcnt(0) lgkmcnt(0)
	v_mul_f64 v[12:13], v[2:3], v[134:135]
	v_mul_f64 v[6:7], v[4:5], v[134:135]
	v_fmac_f64_e32 v[12:13], v[4:5], v[132:133]
	v_fma_f64 v[2:3], v[2:3], v[132:133], -v[6:7]
	v_mov_b64_e32 v[4:5], v[12:13]
.LBB39_610:
	v_cmp_ne_u32_e32 vcc, 37, v0
	s_and_saveexec_b64 s[8:9], vcc
	s_cbranch_execz .LBB39_614
; %bb.611:
	v_mov_b32_e32 v7, 0
	v_add_u32_e32 v6, 0x290, v94
	v_add3_u32 v7, v94, v7, 24
	s_mov_b64 s[10:11], 0
	v_mov_b32_e32 v12, v0
.LBB39_612:                             ; =>This Inner Loop Header: Depth=1
	v_add_u32_e32 v13, -8, v7
	scratch_load_dwordx4 v[132:135], v13, off
	ds_read_b128 v[136:139], v6
	v_add_u32_e32 v12, 1, v12
	v_cmp_lt_u32_e32 vcc, 36, v12
	v_add_u32_e32 v6, 16, v6
	v_add_u32_e32 v7, 16, v7
	s_or_b64 s[10:11], vcc, s[10:11]
	s_waitcnt vmcnt(0) lgkmcnt(0)
	v_mul_f64 v[140:141], v[138:139], v[134:135]
	v_mul_f64 v[134:135], v[136:137], v[134:135]
	v_fma_f64 v[136:137], v[136:137], v[132:133], -v[140:141]
	v_fmac_f64_e32 v[134:135], v[138:139], v[132:133]
	v_add_f64 v[2:3], v[2:3], v[136:137]
	v_add_f64 v[4:5], v[4:5], v[134:135]
	s_andn2_b64 exec, exec, s[10:11]
	s_cbranch_execnz .LBB39_612
; %bb.613:
	s_or_b64 exec, exec, s[10:11]
.LBB39_614:
	s_or_b64 exec, exec, s[8:9]
	v_mov_b32_e32 v6, 0
	ds_read_b128 v[132:135], v6 offset:608
	s_waitcnt lgkmcnt(0)
	v_mul_f64 v[6:7], v[4:5], v[134:135]
	v_mul_f64 v[136:137], v[2:3], v[134:135]
	v_fma_f64 v[134:135], v[2:3], v[132:133], -v[6:7]
	v_fmac_f64_e32 v[136:137], v[4:5], v[132:133]
	scratch_store_dwordx4 off, v[134:137], off offset:608
.LBB39_615:
	s_or_b64 exec, exec, s[6:7]
	scratch_load_dwordx4 v[2:5], v1, off
	v_cmp_ne_u32_e32 vcc, 39, v0
                                        ; implicit-def: $vgpr6_vgpr7
                                        ; implicit-def: $vgpr12
	s_waitcnt vmcnt(0)
	ds_write_b128 v11, v[2:5]
	s_waitcnt lgkmcnt(0)
	; wave barrier
	s_waitcnt lgkmcnt(0)
	s_and_saveexec_b64 s[6:7], vcc
	s_cbranch_execz .LBB39_623
; %bb.616:
	ds_read_b128 v[2:5], v11
	s_and_b64 vcc, exec, s[0:1]
	s_cbranch_vccnz .LBB39_618
; %bb.617:
	scratch_load_dwordx4 v[10:13], v10, off
	s_waitcnt vmcnt(0) lgkmcnt(0)
	v_mul_f64 v[6:7], v[4:5], v[12:13]
	v_mul_f64 v[12:13], v[2:3], v[12:13]
	v_fmac_f64_e32 v[12:13], v[4:5], v[10:11]
	v_fma_f64 v[2:3], v[2:3], v[10:11], -v[6:7]
	v_mov_b64_e32 v[4:5], v[12:13]
.LBB39_618:
	s_and_saveexec_b64 s[0:1], s[2:3]
	s_cbranch_execz .LBB39_622
; %bb.619:
	v_mov_b32_e32 v7, 0
	v_add_u32_e32 v6, 0x290, v94
	v_add3_u32 v7, v94, v7, 24
	s_mov_b64 s[2:3], 0
.LBB39_620:                             ; =>This Inner Loop Header: Depth=1
	v_add_u32_e32 v10, -8, v7
	scratch_load_dwordx4 v[10:13], v10, off
	ds_read_b128 v[132:135], v6
	v_add_u32_e32 v0, 1, v0
	v_cmp_lt_u32_e32 vcc, 37, v0
	v_add_u32_e32 v6, 16, v6
	v_add_u32_e32 v7, 16, v7
	s_or_b64 s[2:3], vcc, s[2:3]
	s_waitcnt vmcnt(0) lgkmcnt(0)
	v_mul_f64 v[136:137], v[134:135], v[12:13]
	v_mul_f64 v[12:13], v[132:133], v[12:13]
	v_fma_f64 v[132:133], v[132:133], v[10:11], -v[136:137]
	v_fmac_f64_e32 v[12:13], v[134:135], v[10:11]
	v_add_f64 v[2:3], v[2:3], v[132:133]
	v_add_f64 v[4:5], v[4:5], v[12:13]
	s_andn2_b64 exec, exec, s[2:3]
	s_cbranch_execnz .LBB39_620
; %bb.621:
	s_or_b64 exec, exec, s[2:3]
.LBB39_622:
	s_or_b64 exec, exec, s[0:1]
	v_mov_b32_e32 v0, 0
	ds_read_b128 v[132:135], v0 offset:624
	v_mov_b32_e32 v0, 0
	v_add_u32_e32 v12, 0x278, v0
	s_or_b64 s[4:5], s[4:5], exec
	s_waitcnt lgkmcnt(0)
	v_mul_f64 v[10:11], v[4:5], v[134:135]
	v_mul_f64 v[6:7], v[2:3], v[134:135]
	v_fma_f64 v[2:3], v[2:3], v[132:133], -v[10:11]
	v_fmac_f64_e32 v[6:7], v[4:5], v[132:133]
	scratch_store_dwordx2 off, v[2:3], off offset:624
.LBB39_623:
	s_or_b64 exec, exec, s[6:7]
.LBB39_624:
	s_and_saveexec_b64 s[0:1], s[4:5]
	s_cbranch_execz .LBB39_626
; %bb.625:
	scratch_store_dwordx2 v12, v[6:7], off
.LBB39_626:
	s_or_b64 exec, exec, s[0:1]
	scratch_load_dwordx4 v[2:5], off, off
	scratch_load_dwordx4 v[10:13], v130, off
	s_nop 0
	scratch_load_dwordx4 v[130:133], v129, off
	scratch_load_dwordx4 v[134:137], v128, off
	scratch_load_dwordx4 v[138:141], v127, off
	s_nop 0
	scratch_load_dwordx4 v[126:129], v126, off
	s_nop 0
	scratch_load_dwordx4 v[142:145], v125, off
	scratch_load_dwordx4 v[146:149], v124, off
	scratch_load_dwordx4 v[150:153], v123, off
	s_nop 0
	scratch_load_dwordx4 v[122:125], v122, off
	s_nop 0
	scratch_load_dwordx4 v[154:157], v121, off
	scratch_load_dwordx4 v[158:161], v120, off
	scratch_load_dwordx4 v[162:165], v119, off
	s_nop 0
	scratch_load_dwordx4 v[118:121], v118, off
	s_waitcnt vmcnt(13)
	global_store_dwordx4 v[52:53], v[2:5], off
	scratch_load_dwordx4 v[2:5], v117, off
	s_nop 0
	scratch_load_dwordx4 v[166:169], v116, off
	s_waitcnt vmcnt(15)
	global_store_dwordx4 v[50:51], v[10:13], off
	scratch_load_dwordx4 v[10:13], v115, off
	s_nop 0
	;; [unrolled: 5-line block ×13, first 2 shown]
	scratch_load_dwordx4 v[162:165], v1, off
	s_waitcnt vmcnt(39)
	global_store_dwordx4 v[18:19], v[118:121], off
	s_waitcnt vmcnt(38)
	global_store_dwordx4 v[22:23], v[2:5], off
	;; [unrolled: 2-line block ×27, first 2 shown]
.LBB39_627:
	s_endpgm
	.section	.rodata,"a",@progbits
	.p2align	6, 0x0
	.amdhsa_kernel _ZN9rocsolver6v33100L18trti2_kernel_smallILi40E19rocblas_complex_numIdEPS3_EEv13rocblas_fill_17rocblas_diagonal_T1_iil
		.amdhsa_group_segment_fixed_size 1280
		.amdhsa_private_segment_fixed_size 656
		.amdhsa_kernarg_size 32
		.amdhsa_user_sgpr_count 2
		.amdhsa_user_sgpr_dispatch_ptr 0
		.amdhsa_user_sgpr_queue_ptr 0
		.amdhsa_user_sgpr_kernarg_segment_ptr 1
		.amdhsa_user_sgpr_dispatch_id 0
		.amdhsa_user_sgpr_kernarg_preload_length 0
		.amdhsa_user_sgpr_kernarg_preload_offset 0
		.amdhsa_user_sgpr_private_segment_size 0
		.amdhsa_uses_dynamic_stack 0
		.amdhsa_enable_private_segment 1
		.amdhsa_system_sgpr_workgroup_id_x 1
		.amdhsa_system_sgpr_workgroup_id_y 0
		.amdhsa_system_sgpr_workgroup_id_z 0
		.amdhsa_system_sgpr_workgroup_info 0
		.amdhsa_system_vgpr_workitem_id 0
		.amdhsa_next_free_vgpr 170
		.amdhsa_next_free_sgpr 12
		.amdhsa_accum_offset 172
		.amdhsa_reserve_vcc 1
		.amdhsa_float_round_mode_32 0
		.amdhsa_float_round_mode_16_64 0
		.amdhsa_float_denorm_mode_32 3
		.amdhsa_float_denorm_mode_16_64 3
		.amdhsa_dx10_clamp 1
		.amdhsa_ieee_mode 1
		.amdhsa_fp16_overflow 0
		.amdhsa_tg_split 0
		.amdhsa_exception_fp_ieee_invalid_op 0
		.amdhsa_exception_fp_denorm_src 0
		.amdhsa_exception_fp_ieee_div_zero 0
		.amdhsa_exception_fp_ieee_overflow 0
		.amdhsa_exception_fp_ieee_underflow 0
		.amdhsa_exception_fp_ieee_inexact 0
		.amdhsa_exception_int_div_zero 0
	.end_amdhsa_kernel
	.section	.text._ZN9rocsolver6v33100L18trti2_kernel_smallILi40E19rocblas_complex_numIdEPS3_EEv13rocblas_fill_17rocblas_diagonal_T1_iil,"axG",@progbits,_ZN9rocsolver6v33100L18trti2_kernel_smallILi40E19rocblas_complex_numIdEPS3_EEv13rocblas_fill_17rocblas_diagonal_T1_iil,comdat
.Lfunc_end39:
	.size	_ZN9rocsolver6v33100L18trti2_kernel_smallILi40E19rocblas_complex_numIdEPS3_EEv13rocblas_fill_17rocblas_diagonal_T1_iil, .Lfunc_end39-_ZN9rocsolver6v33100L18trti2_kernel_smallILi40E19rocblas_complex_numIdEPS3_EEv13rocblas_fill_17rocblas_diagonal_T1_iil
                                        ; -- End function
	.section	.AMDGPU.csdata,"",@progbits
; Kernel info:
; codeLenInByte = 26336
; NumSgprs: 18
; NumVgprs: 170
; NumAgprs: 0
; TotalNumVgprs: 170
; ScratchSize: 656
; MemoryBound: 0
; FloatMode: 240
; IeeeMode: 1
; LDSByteSize: 1280 bytes/workgroup (compile time only)
; SGPRBlocks: 2
; VGPRBlocks: 21
; NumSGPRsForWavesPerEU: 18
; NumVGPRsForWavesPerEU: 170
; AccumOffset: 172
; Occupancy: 2
; WaveLimiterHint : 0
; COMPUTE_PGM_RSRC2:SCRATCH_EN: 1
; COMPUTE_PGM_RSRC2:USER_SGPR: 2
; COMPUTE_PGM_RSRC2:TRAP_HANDLER: 0
; COMPUTE_PGM_RSRC2:TGID_X_EN: 1
; COMPUTE_PGM_RSRC2:TGID_Y_EN: 0
; COMPUTE_PGM_RSRC2:TGID_Z_EN: 0
; COMPUTE_PGM_RSRC2:TIDIG_COMP_CNT: 0
; COMPUTE_PGM_RSRC3_GFX90A:ACCUM_OFFSET: 42
; COMPUTE_PGM_RSRC3_GFX90A:TG_SPLIT: 0
	.section	.text._ZN9rocsolver6v33100L18trti2_kernel_smallILi41E19rocblas_complex_numIdEPS3_EEv13rocblas_fill_17rocblas_diagonal_T1_iil,"axG",@progbits,_ZN9rocsolver6v33100L18trti2_kernel_smallILi41E19rocblas_complex_numIdEPS3_EEv13rocblas_fill_17rocblas_diagonal_T1_iil,comdat
	.globl	_ZN9rocsolver6v33100L18trti2_kernel_smallILi41E19rocblas_complex_numIdEPS3_EEv13rocblas_fill_17rocblas_diagonal_T1_iil ; -- Begin function _ZN9rocsolver6v33100L18trti2_kernel_smallILi41E19rocblas_complex_numIdEPS3_EEv13rocblas_fill_17rocblas_diagonal_T1_iil
	.p2align	8
	.type	_ZN9rocsolver6v33100L18trti2_kernel_smallILi41E19rocblas_complex_numIdEPS3_EEv13rocblas_fill_17rocblas_diagonal_T1_iil,@function
_ZN9rocsolver6v33100L18trti2_kernel_smallILi41E19rocblas_complex_numIdEPS3_EEv13rocblas_fill_17rocblas_diagonal_T1_iil: ; @_ZN9rocsolver6v33100L18trti2_kernel_smallILi41E19rocblas_complex_numIdEPS3_EEv13rocblas_fill_17rocblas_diagonal_T1_iil
; %bb.0:
	v_cmp_gt_u32_e32 vcc, 41, v0
	s_and_saveexec_b64 s[4:5], vcc
	s_cbranch_execz .LBB40_643
; %bb.1:
	s_load_dwordx8 s[4:11], s[0:1], 0x0
	s_ashr_i32 s3, s2, 31
	v_lshlrev_b32_e32 v60, 4, v0
	v_mov_b32_e32 v61, 0
	v_mov_b32_e32 v1, 0
	s_waitcnt lgkmcnt(0)
	s_ashr_i32 s1, s8, 31
	s_mov_b32 s0, s8
	s_mul_i32 s8, s2, s11
	s_mul_hi_u32 s11, s2, s10
	s_add_i32 s8, s11, s8
	s_mul_i32 s3, s3, s10
	s_add_i32 s3, s8, s3
	s_mul_i32 s2, s2, s10
	s_lshl_b64 s[2:3], s[2:3], 4
	s_add_u32 s2, s6, s2
	s_addc_u32 s3, s7, s3
	s_lshl_b64 s[0:1], s[0:1], 4
	s_add_u32 s0, s2, s0
	s_addc_u32 s1, s3, s1
	v_lshl_add_u64 v[14:15], s[0:1], 0, v[60:61]
	s_ashr_i32 s3, s9, 31
	s_mov_b32 s2, s9
	v_lshl_add_u64 v[16:17], s[2:3], 4, v[14:15]
	s_add_i32 s2, s9, s9
	v_add_u32_e32 v20, s2, v0
	v_add_u32_e32 v22, s9, v20
	;; [unrolled: 1-line block ×6, first 2 shown]
	v_ashrrev_i32_e32 v21, 31, v20
	v_ashrrev_i32_e32 v23, 31, v22
	;; [unrolled: 1-line block ×6, first 2 shown]
	v_lshl_add_u64 v[18:19], v[20:21], 4, s[0:1]
	v_lshl_add_u64 v[20:21], v[22:23], 4, s[0:1]
	;; [unrolled: 1-line block ×6, first 2 shown]
	v_add_u32_e32 v30, s9, v30
	v_add_u32_e32 v32, s9, v30
	v_add_u32_e32 v34, s9, v32
	v_add_u32_e32 v36, s9, v34
	v_add_u32_e32 v38, s9, v36
	v_add_u32_e32 v42, s9, v38
	v_ashrrev_i32_e32 v43, 31, v42
	v_lshl_add_u64 v[40:41], v[42:43], 4, s[0:1]
	v_add_u32_e32 v42, s9, v42
	v_add_u32_e32 v44, s9, v42
	;; [unrolled: 1-line block ×4, first 2 shown]
	v_ashrrev_i32_e32 v51, 31, v50
	v_lshl_add_u64 v[48:49], v[50:51], 4, s[0:1]
	v_add_u32_e32 v50, s9, v50
	v_add_u32_e32 v54, s9, v50
	v_ashrrev_i32_e32 v33, 31, v32
	v_ashrrev_i32_e32 v37, 31, v36
	;; [unrolled: 1-line block ×4, first 2 shown]
	v_add_u32_e32 v56, s9, v54
	v_ashrrev_i32_e32 v31, 31, v30
	v_lshl_add_u64 v[32:33], v[32:33], 4, s[0:1]
	v_ashrrev_i32_e32 v35, 31, v34
	v_lshl_add_u64 v[36:37], v[36:37], 4, s[0:1]
	v_ashrrev_i32_e32 v39, 31, v38
	v_ashrrev_i32_e32 v43, 31, v42
	v_lshl_add_u64 v[44:45], v[44:45], 4, s[0:1]
	v_ashrrev_i32_e32 v47, 31, v46
	;; [unrolled: 3-line block ×3, first 2 shown]
	global_load_dwordx4 v[2:5], v60, s[0:1]
	global_load_dwordx4 v[6:9], v[16:17], off
	global_load_dwordx4 v[10:13], v[18:19], off
	;; [unrolled: 1-line block ×6, first 2 shown]
	v_lshl_add_u64 v[30:31], v[30:31], 4, s[0:1]
	global_load_dwordx4 v[78:81], v[28:29], off
	global_load_dwordx4 v[82:85], v[30:31], off
	v_lshl_add_u64 v[34:35], v[34:35], 4, s[0:1]
	global_load_dwordx4 v[86:89], v[32:33], off
	global_load_dwordx4 v[90:93], v[34:35], off
	;; [unrolled: 3-line block ×7, first 2 shown]
	v_add_u32_e32 v58, s9, v56
	v_ashrrev_i32_e32 v59, 31, v58
	v_lshl_add_u64 v[56:57], v[58:59], 4, s[0:1]
	global_load_dwordx4 v[134:137], v[56:57], off
	s_cmpk_lg_i32 s5, 0x84
	s_cselect_b64 s[6:7], -1, 0
	s_cmpk_eq_i32 s5, 0x84
	s_waitcnt vmcnt(21)
	scratch_store_dwordx4 off, v[2:5], off
	s_waitcnt vmcnt(21)
	scratch_store_dwordx4 off, v[6:9], off offset:16
	s_waitcnt vmcnt(21)
	scratch_store_dwordx4 off, v[10:13], off offset:32
	;; [unrolled: 2-line block ×20, first 2 shown]
	v_add_u32_e32 v6, s9, v58
	v_ashrrev_i32_e32 v7, 31, v6
	v_lshl_add_u64 v[58:59], v[6:7], 4, s[0:1]
	v_add_u32_e32 v6, s9, v6
	v_add_u32_e32 v66, s9, v6
	;; [unrolled: 1-line block ×17, first 2 shown]
	v_ashrrev_i32_e32 v67, 31, v66
	v_ashrrev_i32_e32 v69, 31, v68
	;; [unrolled: 1-line block ×17, first 2 shown]
	v_lshl_add_u64 v[64:65], v[66:67], 4, s[0:1]
	v_lshl_add_u64 v[66:67], v[68:69], 4, s[0:1]
	;; [unrolled: 1-line block ×16, first 2 shown]
	v_add_u32_e32 v96, s9, v96
	s_waitcnt vmcnt(21)
	scratch_store_dwordx4 off, v[134:137], off offset:336
	v_lshl_add_u64 v[62:63], v[6:7], 4, s[0:1]
	v_ashrrev_i32_e32 v97, 31, v96
	global_load_dwordx4 v[2:5], v[58:59], off
	global_load_dwordx4 v[6:9], v[62:63], off
	;; [unrolled: 1-line block ×17, first 2 shown]
	v_lshl_add_u64 v[96:97], v[96:97], 4, s[0:1]
	global_load_dwordx4 v[154:157], v[94:95], off
	global_load_dwordx4 v[158:161], v[96:97], off
	s_waitcnt vmcnt(18)
	scratch_store_dwordx4 off, v[2:5], off offset:352
	s_waitcnt vmcnt(18)
	scratch_store_dwordx4 off, v[6:9], off offset:368
	s_waitcnt vmcnt(18)
	scratch_store_dwordx4 off, v[10:13], off offset:384
	s_waitcnt vmcnt(18)
	scratch_store_dwordx4 off, v[98:101], off offset:400
	s_waitcnt vmcnt(18)
	scratch_store_dwordx4 off, v[102:105], off offset:416
	s_waitcnt vmcnt(18)
	scratch_store_dwordx4 off, v[106:109], off offset:432
	s_waitcnt vmcnt(18)
	scratch_store_dwordx4 off, v[110:113], off offset:448
	s_waitcnt vmcnt(18)
	scratch_store_dwordx4 off, v[114:117], off offset:464
	s_waitcnt vmcnt(18)
	scratch_store_dwordx4 off, v[118:121], off offset:480
	s_waitcnt vmcnt(18)
	scratch_store_dwordx4 off, v[122:125], off offset:496
	s_waitcnt vmcnt(18)
	scratch_store_dwordx4 off, v[126:129], off offset:512
	s_waitcnt vmcnt(18)
	scratch_store_dwordx4 off, v[130:133], off offset:528
	s_waitcnt vmcnt(18)
	scratch_store_dwordx4 off, v[134:137], off offset:544
	s_waitcnt vmcnt(18)
	scratch_store_dwordx4 off, v[138:141], off offset:560
	s_waitcnt vmcnt(18)
	scratch_store_dwordx4 off, v[142:145], off offset:576
	s_waitcnt vmcnt(18)
	scratch_store_dwordx4 off, v[146:149], off offset:592
	s_waitcnt vmcnt(18)
	scratch_store_dwordx4 off, v[150:153], off offset:608
	s_waitcnt vmcnt(18)
	scratch_store_dwordx4 off, v[154:157], off offset:624
	s_waitcnt vmcnt(18)
	scratch_store_dwordx4 off, v[158:161], off offset:640
	s_cbranch_scc1 .LBB40_7
; %bb.2:
	scratch_load_dwordx4 v[6:9], v60, off
                                        ; implicit-def: $vgpr10_vgpr11
	s_waitcnt vmcnt(0)
	v_xor_b32_e32 v3, 0x80000000, v7
	v_cmp_gt_f64_e32 vcc, 0, v[6:7]
	v_xor_b32_e32 v4, 0x80000000, v9
	v_mov_b32_e32 v2, v6
	v_cndmask_b32_e32 v3, v7, v3, vcc
	v_cmp_gt_f64_e32 vcc, 0, v[8:9]
	s_nop 1
	v_cndmask_b32_e32 v5, v9, v4, vcc
	v_mov_b32_e32 v4, v8
	v_cmp_ngt_f64_e32 vcc, v[2:3], v[4:5]
                                        ; implicit-def: $vgpr2_vgpr3
	s_and_saveexec_b64 s[0:1], vcc
	s_xor_b64 s[0:1], exec, s[0:1]
	s_cbranch_execz .LBB40_4
; %bb.3:
	v_div_scale_f64 v[2:3], s[2:3], v[8:9], v[8:9], v[6:7]
	v_rcp_f64_e32 v[4:5], v[2:3]
	v_div_scale_f64 v[10:11], vcc, v[6:7], v[8:9], v[6:7]
	v_fma_f64 v[12:13], -v[2:3], v[4:5], 1.0
	v_fmac_f64_e32 v[4:5], v[4:5], v[12:13]
	v_fma_f64 v[12:13], -v[2:3], v[4:5], 1.0
	v_fmac_f64_e32 v[4:5], v[4:5], v[12:13]
	v_mul_f64 v[12:13], v[10:11], v[4:5]
	v_fma_f64 v[2:3], -v[2:3], v[12:13], v[10:11]
	v_div_fmas_f64 v[2:3], v[2:3], v[4:5], v[12:13]
	v_div_fixup_f64 v[2:3], v[2:3], v[8:9], v[6:7]
	v_fmac_f64_e32 v[8:9], v[6:7], v[2:3]
	v_div_scale_f64 v[4:5], s[2:3], v[8:9], v[8:9], 1.0
	v_rcp_f64_e32 v[6:7], v[4:5]
	s_nop 0
	v_fma_f64 v[10:11], -v[4:5], v[6:7], 1.0
	v_fmac_f64_e32 v[6:7], v[6:7], v[10:11]
	v_fma_f64 v[10:11], -v[4:5], v[6:7], 1.0
	v_fmac_f64_e32 v[6:7], v[6:7], v[10:11]
	v_div_scale_f64 v[10:11], vcc, 1.0, v[8:9], 1.0
	v_mul_f64 v[12:13], v[10:11], v[6:7]
	v_fma_f64 v[4:5], -v[4:5], v[12:13], v[10:11]
	s_nop 1
	v_div_fmas_f64 v[4:5], v[4:5], v[6:7], v[12:13]
	v_div_fixup_f64 v[4:5], v[4:5], v[8:9], 1.0
	v_mul_f64 v[2:3], v[2:3], v[4:5]
	v_xor_b32_e32 v5, 0x80000000, v5
	v_xor_b32_e32 v11, 0x80000000, v3
	v_mov_b32_e32 v10, v2
                                        ; implicit-def: $vgpr6_vgpr7
.LBB40_4:
	s_or_saveexec_b64 s[0:1], s[0:1]
	v_add_u32_e32 v12, 0, v60
	s_xor_b64 exec, exec, s[0:1]
	s_cbranch_execz .LBB40_6
; %bb.5:
	v_div_scale_f64 v[2:3], s[2:3], v[6:7], v[6:7], v[8:9]
	v_rcp_f64_e32 v[4:5], v[2:3]
	v_div_scale_f64 v[10:11], vcc, v[8:9], v[6:7], v[8:9]
	v_fma_f64 v[98:99], -v[2:3], v[4:5], 1.0
	v_fmac_f64_e32 v[4:5], v[4:5], v[98:99]
	v_fma_f64 v[98:99], -v[2:3], v[4:5], 1.0
	v_fmac_f64_e32 v[4:5], v[4:5], v[98:99]
	v_mul_f64 v[98:99], v[10:11], v[4:5]
	v_fma_f64 v[2:3], -v[2:3], v[98:99], v[10:11]
	v_div_fmas_f64 v[2:3], v[2:3], v[4:5], v[98:99]
	v_div_fixup_f64 v[4:5], v[2:3], v[6:7], v[8:9]
	v_fmac_f64_e32 v[6:7], v[8:9], v[4:5]
	v_div_scale_f64 v[2:3], s[2:3], v[6:7], v[6:7], 1.0
	v_rcp_f64_e32 v[8:9], v[2:3]
	s_nop 0
	v_fma_f64 v[10:11], -v[2:3], v[8:9], 1.0
	v_fmac_f64_e32 v[8:9], v[8:9], v[10:11]
	v_fma_f64 v[10:11], -v[2:3], v[8:9], 1.0
	v_fmac_f64_e32 v[8:9], v[8:9], v[10:11]
	v_div_scale_f64 v[10:11], vcc, 1.0, v[6:7], 1.0
	v_mul_f64 v[98:99], v[10:11], v[8:9]
	v_fma_f64 v[2:3], -v[2:3], v[98:99], v[10:11]
	s_nop 1
	v_div_fmas_f64 v[2:3], v[2:3], v[8:9], v[98:99]
	v_div_fixup_f64 v[2:3], v[2:3], v[6:7], 1.0
	v_xor_b32_e32 v11, 0x80000000, v3
	v_mov_b32_e32 v10, v2
	v_mul_f64 v[4:5], v[4:5], -v[2:3]
.LBB40_6:
	s_or_b64 exec, exec, s[0:1]
	scratch_store_dwordx4 v12, v[2:5], off
	s_nop 1
	v_xor_b32_e32 v5, 0x80000000, v5
	s_branch .LBB40_8
.LBB40_7:
	v_mov_b64_e32 v[4:5], 0
	v_mov_b64_e32 v[10:11], -1.0
.LBB40_8:
	v_mov_b32_e32 v12, v4
	v_mov_b32_e32 v13, v5
	v_add_u32_e32 v133, 16, v1
	v_add_u32_e32 v132, 32, v1
	;; [unrolled: 1-line block ×40, first 2 shown]
	ds_write_b128 v60, v[10:13]
	s_cmpk_eq_i32 s4, 0x79
	v_add_u32_e32 v11, 0x290, v60
	v_add_u32_e32 v10, 0, v60
	s_cbranch_scc1 .LBB40_324
; %bb.9:
	scratch_load_dwordx4 v[2:5], v8, off
	v_cmp_eq_u32_e64 s[0:1], 40, v0
	s_waitcnt vmcnt(0)
	ds_write_b128 v11, v[2:5]
	s_waitcnt lgkmcnt(0)
	; wave barrier
	s_waitcnt lgkmcnt(0)
	s_and_saveexec_b64 s[2:3], s[0:1]
	s_cbranch_execz .LBB40_13
; %bb.10:
	ds_read_b128 v[2:5], v11
	s_andn2_b64 vcc, exec, s[6:7]
	s_cbranch_vccnz .LBB40_12
; %bb.11:
	scratch_load_dwordx4 v[134:137], v10, off
	s_waitcnt vmcnt(0) lgkmcnt(0)
	v_mul_f64 v[12:13], v[2:3], v[136:137]
	v_mul_f64 v[6:7], v[4:5], v[136:137]
	v_fmac_f64_e32 v[12:13], v[4:5], v[134:135]
	v_fma_f64 v[2:3], v[2:3], v[134:135], -v[6:7]
	v_mov_b64_e32 v[4:5], v[12:13]
.LBB40_12:
	v_mov_b32_e32 v6, 0
	ds_read_b128 v[134:137], v6 offset:624
	s_waitcnt lgkmcnt(0)
	v_mul_f64 v[6:7], v[4:5], v[136:137]
	v_mul_f64 v[138:139], v[2:3], v[136:137]
	v_fma_f64 v[136:137], v[2:3], v[134:135], -v[6:7]
	v_fmac_f64_e32 v[138:139], v[4:5], v[134:135]
	scratch_store_dwordx4 off, v[136:139], off offset:624
.LBB40_13:
	s_or_b64 exec, exec, s[2:3]
	scratch_load_dwordx4 v[2:5], v9, off
	v_cmp_lt_u32_e64 s[2:3], 38, v0
	s_waitcnt vmcnt(0)
	ds_write_b128 v11, v[2:5]
	s_waitcnt lgkmcnt(0)
	; wave barrier
	s_waitcnt lgkmcnt(0)
	s_and_saveexec_b64 s[4:5], s[2:3]
	s_cbranch_execz .LBB40_19
; %bb.14:
	ds_read_b128 v[2:5], v11
	s_andn2_b64 vcc, exec, s[6:7]
	s_cbranch_vccnz .LBB40_16
; %bb.15:
	scratch_load_dwordx4 v[134:137], v10, off
	s_waitcnt vmcnt(0) lgkmcnt(0)
	v_mul_f64 v[12:13], v[2:3], v[136:137]
	v_mul_f64 v[6:7], v[4:5], v[136:137]
	v_fmac_f64_e32 v[12:13], v[4:5], v[134:135]
	v_fma_f64 v[2:3], v[2:3], v[134:135], -v[6:7]
	v_mov_b64_e32 v[4:5], v[12:13]
.LBB40_16:
	s_and_saveexec_b64 s[8:9], s[0:1]
	s_cbranch_execz .LBB40_18
; %bb.17:
	scratch_load_dwordx4 v[134:137], off, off offset:624
	v_mov_b32_e32 v6, 0
	ds_read_b128 v[138:141], v6 offset:1280
	s_waitcnt vmcnt(0) lgkmcnt(0)
	v_mul_f64 v[6:7], v[138:139], v[136:137]
	v_mul_f64 v[12:13], v[140:141], v[136:137]
	v_fmac_f64_e32 v[6:7], v[140:141], v[134:135]
	v_fma_f64 v[12:13], v[138:139], v[134:135], -v[12:13]
	v_add_f64 v[4:5], v[4:5], v[6:7]
	v_add_f64 v[2:3], v[2:3], v[12:13]
.LBB40_18:
	s_or_b64 exec, exec, s[8:9]
	v_mov_b32_e32 v6, 0
	ds_read_b128 v[134:137], v6 offset:608
	s_waitcnt lgkmcnt(0)
	v_mul_f64 v[6:7], v[4:5], v[136:137]
	v_mul_f64 v[138:139], v[2:3], v[136:137]
	v_fma_f64 v[136:137], v[2:3], v[134:135], -v[6:7]
	v_fmac_f64_e32 v[138:139], v[4:5], v[134:135]
	scratch_store_dwordx4 off, v[136:139], off offset:608
.LBB40_19:
	s_or_b64 exec, exec, s[4:5]
	scratch_load_dwordx4 v[2:5], v61, off
	v_cmp_lt_u32_e64 s[0:1], 37, v0
	s_waitcnt vmcnt(0)
	ds_write_b128 v11, v[2:5]
	s_waitcnt lgkmcnt(0)
	; wave barrier
	s_waitcnt lgkmcnt(0)
	s_and_saveexec_b64 s[4:5], s[0:1]
	s_cbranch_execz .LBB40_27
; %bb.20:
	ds_read_b128 v[2:5], v11
	s_andn2_b64 vcc, exec, s[6:7]
	s_cbranch_vccnz .LBB40_22
; %bb.21:
	scratch_load_dwordx4 v[134:137], v10, off
	s_waitcnt vmcnt(0) lgkmcnt(0)
	v_mul_f64 v[12:13], v[2:3], v[136:137]
	v_mul_f64 v[6:7], v[4:5], v[136:137]
	v_fmac_f64_e32 v[12:13], v[4:5], v[134:135]
	v_fma_f64 v[2:3], v[2:3], v[134:135], -v[6:7]
	v_mov_b64_e32 v[4:5], v[12:13]
.LBB40_22:
	s_and_saveexec_b64 s[8:9], s[2:3]
	s_cbranch_execz .LBB40_26
; %bb.23:
	v_mov_b32_e32 v7, 0
	v_subrev_u32_e32 v6, 38, v0
	v_add_u32_e32 v7, 0x268, v7
	s_movk_i32 s10, 0x4f0
	s_mov_b64 s[2:3], 0
.LBB40_24:                              ; =>This Inner Loop Header: Depth=1
	v_add_u32_e32 v12, -8, v7
	scratch_load_dwordx4 v[134:137], v12, off
	v_mov_b32_e32 v12, s10
	ds_read_b128 v[138:141], v12
	v_add_u32_e32 v6, -1, v6
	s_add_i32 s10, s10, 16
	v_cmp_eq_u32_e32 vcc, 0, v6
	v_add_u32_e32 v7, 16, v7
	s_or_b64 s[2:3], vcc, s[2:3]
	s_waitcnt vmcnt(0) lgkmcnt(0)
	v_mul_f64 v[12:13], v[140:141], v[136:137]
	v_mul_f64 v[136:137], v[138:139], v[136:137]
	v_fma_f64 v[12:13], v[138:139], v[134:135], -v[12:13]
	v_fmac_f64_e32 v[136:137], v[140:141], v[134:135]
	v_add_f64 v[2:3], v[2:3], v[12:13]
	v_add_f64 v[4:5], v[4:5], v[136:137]
	s_andn2_b64 exec, exec, s[2:3]
	s_cbranch_execnz .LBB40_24
; %bb.25:
	s_or_b64 exec, exec, s[2:3]
.LBB40_26:
	s_or_b64 exec, exec, s[8:9]
	v_mov_b32_e32 v6, 0
	ds_read_b128 v[134:137], v6 offset:592
	s_waitcnt lgkmcnt(0)
	v_mul_f64 v[6:7], v[4:5], v[136:137]
	v_mul_f64 v[138:139], v[2:3], v[136:137]
	v_fma_f64 v[136:137], v[2:3], v[134:135], -v[6:7]
	v_fmac_f64_e32 v[138:139], v[4:5], v[134:135]
	scratch_store_dwordx4 off, v[136:139], off offset:592
.LBB40_27:
	s_or_b64 exec, exec, s[4:5]
	scratch_load_dwordx4 v[2:5], v98, off
	v_cmp_lt_u32_e64 s[2:3], 36, v0
	s_waitcnt vmcnt(0)
	ds_write_b128 v11, v[2:5]
	s_waitcnt lgkmcnt(0)
	; wave barrier
	s_waitcnt lgkmcnt(0)
	s_and_saveexec_b64 s[4:5], s[2:3]
	s_cbranch_execz .LBB40_35
; %bb.28:
	ds_read_b128 v[2:5], v11
	s_andn2_b64 vcc, exec, s[6:7]
	s_cbranch_vccnz .LBB40_30
; %bb.29:
	scratch_load_dwordx4 v[134:137], v10, off
	s_waitcnt vmcnt(0) lgkmcnt(0)
	v_mul_f64 v[12:13], v[2:3], v[136:137]
	v_mul_f64 v[6:7], v[4:5], v[136:137]
	v_fmac_f64_e32 v[12:13], v[4:5], v[134:135]
	v_fma_f64 v[2:3], v[2:3], v[134:135], -v[6:7]
	v_mov_b64_e32 v[4:5], v[12:13]
.LBB40_30:
	s_and_saveexec_b64 s[8:9], s[0:1]
	s_cbranch_execz .LBB40_34
; %bb.31:
	v_mov_b32_e32 v7, 0
	v_subrev_u32_e32 v6, 37, v0
	v_add_u32_e32 v7, 0x258, v7
	s_movk_i32 s10, 0x4e0
	s_mov_b64 s[0:1], 0
.LBB40_32:                              ; =>This Inner Loop Header: Depth=1
	v_add_u32_e32 v12, -8, v7
	scratch_load_dwordx4 v[134:137], v12, off
	v_mov_b32_e32 v12, s10
	ds_read_b128 v[138:141], v12
	v_add_u32_e32 v6, -1, v6
	s_add_i32 s10, s10, 16
	v_cmp_eq_u32_e32 vcc, 0, v6
	v_add_u32_e32 v7, 16, v7
	s_or_b64 s[0:1], vcc, s[0:1]
	s_waitcnt vmcnt(0) lgkmcnt(0)
	v_mul_f64 v[12:13], v[140:141], v[136:137]
	v_mul_f64 v[136:137], v[138:139], v[136:137]
	v_fma_f64 v[12:13], v[138:139], v[134:135], -v[12:13]
	v_fmac_f64_e32 v[136:137], v[140:141], v[134:135]
	v_add_f64 v[2:3], v[2:3], v[12:13]
	v_add_f64 v[4:5], v[4:5], v[136:137]
	s_andn2_b64 exec, exec, s[0:1]
	s_cbranch_execnz .LBB40_32
; %bb.33:
	s_or_b64 exec, exec, s[0:1]
.LBB40_34:
	s_or_b64 exec, exec, s[8:9]
	v_mov_b32_e32 v6, 0
	ds_read_b128 v[134:137], v6 offset:576
	s_waitcnt lgkmcnt(0)
	v_mul_f64 v[6:7], v[4:5], v[136:137]
	v_mul_f64 v[138:139], v[2:3], v[136:137]
	v_fma_f64 v[136:137], v[2:3], v[134:135], -v[6:7]
	v_fmac_f64_e32 v[138:139], v[4:5], v[134:135]
	scratch_store_dwordx4 off, v[136:139], off offset:576
.LBB40_35:
	;; [unrolled: 63-line block ×10, first 2 shown]
	s_or_b64 exec, exec, s[4:5]
	scratch_load_dwordx4 v[2:5], v107, off
	v_cmp_lt_u32_e64 s[0:1], 27, v0
	s_waitcnt vmcnt(0)
	ds_write_b128 v11, v[2:5]
	s_waitcnt lgkmcnt(0)
	; wave barrier
	s_waitcnt lgkmcnt(0)
	s_and_saveexec_b64 s[4:5], s[0:1]
	s_cbranch_execz .LBB40_107
; %bb.100:
	ds_read_b128 v[2:5], v11
	s_andn2_b64 vcc, exec, s[6:7]
	s_cbranch_vccnz .LBB40_102
; %bb.101:
	scratch_load_dwordx4 v[134:137], v10, off
	s_waitcnt vmcnt(0) lgkmcnt(0)
	v_mul_f64 v[12:13], v[2:3], v[136:137]
	v_mul_f64 v[6:7], v[4:5], v[136:137]
	v_fmac_f64_e32 v[12:13], v[4:5], v[134:135]
	v_fma_f64 v[2:3], v[2:3], v[134:135], -v[6:7]
	v_mov_b64_e32 v[4:5], v[12:13]
.LBB40_102:
	s_and_saveexec_b64 s[8:9], s[2:3]
	s_cbranch_execz .LBB40_106
; %bb.103:
	v_mov_b32_e32 v7, 0
	v_subrev_u32_e32 v6, 28, v0
	v_add_u32_e32 v7, 0x1c8, v7
	s_movk_i32 s10, 0x450
	s_mov_b64 s[2:3], 0
.LBB40_104:                             ; =>This Inner Loop Header: Depth=1
	v_add_u32_e32 v12, -8, v7
	scratch_load_dwordx4 v[134:137], v12, off
	v_mov_b32_e32 v12, s10
	ds_read_b128 v[138:141], v12
	v_add_u32_e32 v6, -1, v6
	s_add_i32 s10, s10, 16
	v_cmp_eq_u32_e32 vcc, 0, v6
	v_add_u32_e32 v7, 16, v7
	s_or_b64 s[2:3], vcc, s[2:3]
	s_waitcnt vmcnt(0) lgkmcnt(0)
	v_mul_f64 v[12:13], v[140:141], v[136:137]
	v_mul_f64 v[136:137], v[138:139], v[136:137]
	v_fma_f64 v[12:13], v[138:139], v[134:135], -v[12:13]
	v_fmac_f64_e32 v[136:137], v[140:141], v[134:135]
	v_add_f64 v[2:3], v[2:3], v[12:13]
	v_add_f64 v[4:5], v[4:5], v[136:137]
	s_andn2_b64 exec, exec, s[2:3]
	s_cbranch_execnz .LBB40_104
; %bb.105:
	s_or_b64 exec, exec, s[2:3]
.LBB40_106:
	s_or_b64 exec, exec, s[8:9]
	v_mov_b32_e32 v6, 0
	ds_read_b128 v[134:137], v6 offset:432
	s_waitcnt lgkmcnt(0)
	v_mul_f64 v[6:7], v[4:5], v[136:137]
	v_mul_f64 v[138:139], v[2:3], v[136:137]
	v_fma_f64 v[136:137], v[2:3], v[134:135], -v[6:7]
	v_fmac_f64_e32 v[138:139], v[4:5], v[134:135]
	scratch_store_dwordx4 off, v[136:139], off offset:432
.LBB40_107:
	s_or_b64 exec, exec, s[4:5]
	scratch_load_dwordx4 v[2:5], v108, off
	v_cmp_lt_u32_e64 s[2:3], 26, v0
	s_waitcnt vmcnt(0)
	ds_write_b128 v11, v[2:5]
	s_waitcnt lgkmcnt(0)
	; wave barrier
	s_waitcnt lgkmcnt(0)
	s_and_saveexec_b64 s[4:5], s[2:3]
	s_cbranch_execz .LBB40_115
; %bb.108:
	ds_read_b128 v[2:5], v11
	s_andn2_b64 vcc, exec, s[6:7]
	s_cbranch_vccnz .LBB40_110
; %bb.109:
	scratch_load_dwordx4 v[134:137], v10, off
	s_waitcnt vmcnt(0) lgkmcnt(0)
	v_mul_f64 v[12:13], v[2:3], v[136:137]
	v_mul_f64 v[6:7], v[4:5], v[136:137]
	v_fmac_f64_e32 v[12:13], v[4:5], v[134:135]
	v_fma_f64 v[2:3], v[2:3], v[134:135], -v[6:7]
	v_mov_b64_e32 v[4:5], v[12:13]
.LBB40_110:
	s_and_saveexec_b64 s[8:9], s[0:1]
	s_cbranch_execz .LBB40_114
; %bb.111:
	v_mov_b32_e32 v7, 0
	v_subrev_u32_e32 v6, 27, v0
	v_add_u32_e32 v7, 0x1b8, v7
	s_movk_i32 s10, 0x440
	s_mov_b64 s[0:1], 0
.LBB40_112:                             ; =>This Inner Loop Header: Depth=1
	v_add_u32_e32 v12, -8, v7
	scratch_load_dwordx4 v[134:137], v12, off
	v_mov_b32_e32 v12, s10
	ds_read_b128 v[138:141], v12
	v_add_u32_e32 v6, -1, v6
	s_add_i32 s10, s10, 16
	v_cmp_eq_u32_e32 vcc, 0, v6
	v_add_u32_e32 v7, 16, v7
	s_or_b64 s[0:1], vcc, s[0:1]
	s_waitcnt vmcnt(0) lgkmcnt(0)
	v_mul_f64 v[12:13], v[140:141], v[136:137]
	v_mul_f64 v[136:137], v[138:139], v[136:137]
	v_fma_f64 v[12:13], v[138:139], v[134:135], -v[12:13]
	v_fmac_f64_e32 v[136:137], v[140:141], v[134:135]
	v_add_f64 v[2:3], v[2:3], v[12:13]
	v_add_f64 v[4:5], v[4:5], v[136:137]
	s_andn2_b64 exec, exec, s[0:1]
	s_cbranch_execnz .LBB40_112
; %bb.113:
	s_or_b64 exec, exec, s[0:1]
.LBB40_114:
	s_or_b64 exec, exec, s[8:9]
	v_mov_b32_e32 v6, 0
	ds_read_b128 v[134:137], v6 offset:416
	s_waitcnt lgkmcnt(0)
	v_mul_f64 v[6:7], v[4:5], v[136:137]
	v_mul_f64 v[138:139], v[2:3], v[136:137]
	v_fma_f64 v[136:137], v[2:3], v[134:135], -v[6:7]
	v_fmac_f64_e32 v[138:139], v[4:5], v[134:135]
	scratch_store_dwordx4 off, v[136:139], off offset:416
.LBB40_115:
	;; [unrolled: 63-line block ×12, first 2 shown]
	s_or_b64 exec, exec, s[4:5]
	scratch_load_dwordx4 v[2:5], v119, off
	v_cmp_lt_u32_e64 s[0:1], 15, v0
	s_waitcnt vmcnt(0)
	ds_write_b128 v11, v[2:5]
	s_waitcnt lgkmcnt(0)
	; wave barrier
	s_waitcnt lgkmcnt(0)
	s_and_saveexec_b64 s[4:5], s[0:1]
	s_cbranch_execz .LBB40_203
; %bb.196:
	ds_read_b128 v[2:5], v11
	s_andn2_b64 vcc, exec, s[6:7]
	s_cbranch_vccnz .LBB40_198
; %bb.197:
	scratch_load_dwordx4 v[134:137], v10, off
	s_waitcnt vmcnt(0) lgkmcnt(0)
	v_mul_f64 v[12:13], v[2:3], v[136:137]
	v_mul_f64 v[6:7], v[4:5], v[136:137]
	v_fmac_f64_e32 v[12:13], v[4:5], v[134:135]
	v_fma_f64 v[2:3], v[2:3], v[134:135], -v[6:7]
	v_mov_b64_e32 v[4:5], v[12:13]
.LBB40_198:
	s_and_saveexec_b64 s[8:9], s[2:3]
	s_cbranch_execz .LBB40_202
; %bb.199:
	v_mov_b32_e32 v7, 0
	v_add_u32_e32 v6, -16, v0
	v_add_u32_e32 v7, 0x108, v7
	s_movk_i32 s10, 0x390
	s_mov_b64 s[2:3], 0
.LBB40_200:                             ; =>This Inner Loop Header: Depth=1
	v_add_u32_e32 v12, -8, v7
	scratch_load_dwordx4 v[134:137], v12, off
	v_mov_b32_e32 v12, s10
	ds_read_b128 v[138:141], v12
	v_add_u32_e32 v6, -1, v6
	s_add_i32 s10, s10, 16
	v_cmp_eq_u32_e32 vcc, 0, v6
	v_add_u32_e32 v7, 16, v7
	s_or_b64 s[2:3], vcc, s[2:3]
	s_waitcnt vmcnt(0) lgkmcnt(0)
	v_mul_f64 v[12:13], v[140:141], v[136:137]
	v_mul_f64 v[136:137], v[138:139], v[136:137]
	v_fma_f64 v[12:13], v[138:139], v[134:135], -v[12:13]
	v_fmac_f64_e32 v[136:137], v[140:141], v[134:135]
	v_add_f64 v[2:3], v[2:3], v[12:13]
	v_add_f64 v[4:5], v[4:5], v[136:137]
	s_andn2_b64 exec, exec, s[2:3]
	s_cbranch_execnz .LBB40_200
; %bb.201:
	s_or_b64 exec, exec, s[2:3]
.LBB40_202:
	s_or_b64 exec, exec, s[8:9]
	v_mov_b32_e32 v6, 0
	ds_read_b128 v[134:137], v6 offset:240
	s_waitcnt lgkmcnt(0)
	v_mul_f64 v[6:7], v[4:5], v[136:137]
	v_mul_f64 v[138:139], v[2:3], v[136:137]
	v_fma_f64 v[136:137], v[2:3], v[134:135], -v[6:7]
	v_fmac_f64_e32 v[138:139], v[4:5], v[134:135]
	scratch_store_dwordx4 off, v[136:139], off offset:240
.LBB40_203:
	s_or_b64 exec, exec, s[4:5]
	scratch_load_dwordx4 v[2:5], v120, off
	v_cmp_lt_u32_e64 s[2:3], 14, v0
	s_waitcnt vmcnt(0)
	ds_write_b128 v11, v[2:5]
	s_waitcnt lgkmcnt(0)
	; wave barrier
	s_waitcnt lgkmcnt(0)
	s_and_saveexec_b64 s[4:5], s[2:3]
	s_cbranch_execz .LBB40_211
; %bb.204:
	ds_read_b128 v[2:5], v11
	s_andn2_b64 vcc, exec, s[6:7]
	s_cbranch_vccnz .LBB40_206
; %bb.205:
	scratch_load_dwordx4 v[134:137], v10, off
	s_waitcnt vmcnt(0) lgkmcnt(0)
	v_mul_f64 v[12:13], v[2:3], v[136:137]
	v_mul_f64 v[6:7], v[4:5], v[136:137]
	v_fmac_f64_e32 v[12:13], v[4:5], v[134:135]
	v_fma_f64 v[2:3], v[2:3], v[134:135], -v[6:7]
	v_mov_b64_e32 v[4:5], v[12:13]
.LBB40_206:
	s_and_saveexec_b64 s[8:9], s[0:1]
	s_cbranch_execz .LBB40_210
; %bb.207:
	v_mov_b32_e32 v7, 0
	v_add_u32_e32 v6, -15, v0
	v_add_u32_e32 v7, 0xf8, v7
	s_movk_i32 s10, 0x380
	s_mov_b64 s[0:1], 0
.LBB40_208:                             ; =>This Inner Loop Header: Depth=1
	v_add_u32_e32 v12, -8, v7
	scratch_load_dwordx4 v[134:137], v12, off
	v_mov_b32_e32 v12, s10
	ds_read_b128 v[138:141], v12
	v_add_u32_e32 v6, -1, v6
	s_add_i32 s10, s10, 16
	v_cmp_eq_u32_e32 vcc, 0, v6
	v_add_u32_e32 v7, 16, v7
	s_or_b64 s[0:1], vcc, s[0:1]
	s_waitcnt vmcnt(0) lgkmcnt(0)
	v_mul_f64 v[12:13], v[140:141], v[136:137]
	v_mul_f64 v[136:137], v[138:139], v[136:137]
	v_fma_f64 v[12:13], v[138:139], v[134:135], -v[12:13]
	v_fmac_f64_e32 v[136:137], v[140:141], v[134:135]
	v_add_f64 v[2:3], v[2:3], v[12:13]
	v_add_f64 v[4:5], v[4:5], v[136:137]
	s_andn2_b64 exec, exec, s[0:1]
	s_cbranch_execnz .LBB40_208
; %bb.209:
	s_or_b64 exec, exec, s[0:1]
.LBB40_210:
	s_or_b64 exec, exec, s[8:9]
	v_mov_b32_e32 v6, 0
	ds_read_b128 v[134:137], v6 offset:224
	s_waitcnt lgkmcnt(0)
	v_mul_f64 v[6:7], v[4:5], v[136:137]
	v_mul_f64 v[138:139], v[2:3], v[136:137]
	v_fma_f64 v[136:137], v[2:3], v[134:135], -v[6:7]
	v_fmac_f64_e32 v[138:139], v[4:5], v[134:135]
	scratch_store_dwordx4 off, v[136:139], off offset:224
.LBB40_211:
	;; [unrolled: 63-line block ×15, first 2 shown]
	s_or_b64 exec, exec, s[4:5]
	scratch_load_dwordx4 v[2:5], off, off
	v_cmp_ne_u32_e32 vcc, 0, v0
	s_mov_b64 s[2:3], 0
	s_mov_b64 s[4:5], 0
                                        ; implicit-def: $vgpr6_vgpr7
                                        ; implicit-def: $vgpr12
	s_waitcnt vmcnt(0)
	ds_write_b128 v11, v[2:5]
	s_waitcnt lgkmcnt(0)
	; wave barrier
	s_waitcnt lgkmcnt(0)
	s_and_saveexec_b64 s[8:9], vcc
	s_cbranch_execz .LBB40_323
; %bb.316:
	ds_read_b128 v[2:5], v11
	s_andn2_b64 vcc, exec, s[6:7]
	s_cbranch_vccnz .LBB40_318
; %bb.317:
	scratch_load_dwordx4 v[134:137], v10, off
	s_waitcnt vmcnt(0) lgkmcnt(0)
	v_mul_f64 v[12:13], v[2:3], v[136:137]
	v_mul_f64 v[6:7], v[4:5], v[136:137]
	v_fmac_f64_e32 v[12:13], v[4:5], v[134:135]
	v_fma_f64 v[2:3], v[2:3], v[134:135], -v[6:7]
	v_mov_b64_e32 v[4:5], v[12:13]
.LBB40_318:
	s_and_saveexec_b64 s[4:5], s[0:1]
	s_cbranch_execz .LBB40_322
; %bb.319:
	v_mov_b32_e32 v7, 0
	v_add_u32_e32 v6, -1, v0
	v_add_u32_e32 v7, 24, v7
	s_movk_i32 s10, 0x2a0
	s_mov_b64 s[0:1], 0
.LBB40_320:                             ; =>This Inner Loop Header: Depth=1
	v_add_u32_e32 v12, -8, v7
	scratch_load_dwordx4 v[134:137], v12, off
	v_mov_b32_e32 v12, s10
	ds_read_b128 v[138:141], v12
	v_add_u32_e32 v6, -1, v6
	s_add_i32 s10, s10, 16
	v_cmp_eq_u32_e32 vcc, 0, v6
	v_add_u32_e32 v7, 16, v7
	s_or_b64 s[0:1], vcc, s[0:1]
	s_waitcnt vmcnt(0) lgkmcnt(0)
	v_mul_f64 v[12:13], v[140:141], v[136:137]
	v_mul_f64 v[136:137], v[138:139], v[136:137]
	v_fma_f64 v[12:13], v[138:139], v[134:135], -v[12:13]
	v_fmac_f64_e32 v[136:137], v[140:141], v[134:135]
	v_add_f64 v[2:3], v[2:3], v[12:13]
	v_add_f64 v[4:5], v[4:5], v[136:137]
	s_andn2_b64 exec, exec, s[0:1]
	s_cbranch_execnz .LBB40_320
; %bb.321:
	s_or_b64 exec, exec, s[0:1]
.LBB40_322:
	s_or_b64 exec, exec, s[4:5]
	v_mov_b32_e32 v6, 0
	ds_read_b128 v[134:137], v6
	v_mov_b32_e32 v6, 0
	v_or_b32_e32 v12, 8, v6
	s_mov_b64 s[4:5], exec
	s_waitcnt lgkmcnt(0)
	v_mul_f64 v[138:139], v[4:5], v[136:137]
	v_mul_f64 v[6:7], v[2:3], v[136:137]
	v_fma_f64 v[2:3], v[2:3], v[134:135], -v[138:139]
	v_fmac_f64_e32 v[6:7], v[4:5], v[134:135]
	scratch_store_dwordx2 off, v[2:3], off
.LBB40_323:
	s_or_b64 exec, exec, s[8:9]
	s_and_b64 vcc, exec, s[2:3]
	s_cbranch_vccnz .LBB40_325
	s_branch .LBB40_640
.LBB40_324:
	s_mov_b64 s[4:5], 0
                                        ; implicit-def: $vgpr6_vgpr7
                                        ; implicit-def: $vgpr12
	s_cbranch_execz .LBB40_640
.LBB40_325:
	scratch_load_dwordx4 v[2:5], v133, off
	v_cndmask_b32_e64 v6, 0, 1, s[6:7]
	v_cmp_eq_u32_e64 s[2:3], 0, v0
	v_cmp_ne_u32_e64 s[0:1], 1, v6
	s_waitcnt vmcnt(0)
	ds_write_b128 v11, v[2:5]
	s_waitcnt lgkmcnt(0)
	; wave barrier
	s_waitcnt lgkmcnt(0)
	s_and_saveexec_b64 s[6:7], s[2:3]
	s_cbranch_execz .LBB40_329
; %bb.326:
	ds_read_b128 v[2:5], v11
	s_and_b64 vcc, exec, s[0:1]
	s_cbranch_vccnz .LBB40_328
; %bb.327:
	scratch_load_dwordx4 v[134:137], v10, off
	s_waitcnt vmcnt(0) lgkmcnt(0)
	v_mul_f64 v[12:13], v[2:3], v[136:137]
	v_mul_f64 v[6:7], v[4:5], v[136:137]
	v_fmac_f64_e32 v[12:13], v[4:5], v[134:135]
	v_fma_f64 v[2:3], v[2:3], v[134:135], -v[6:7]
	v_mov_b64_e32 v[4:5], v[12:13]
.LBB40_328:
	v_mov_b32_e32 v6, 0
	ds_read_b128 v[134:137], v6 offset:16
	s_waitcnt lgkmcnt(0)
	v_mul_f64 v[6:7], v[4:5], v[136:137]
	v_mul_f64 v[138:139], v[2:3], v[136:137]
	v_fma_f64 v[136:137], v[2:3], v[134:135], -v[6:7]
	v_fmac_f64_e32 v[138:139], v[4:5], v[134:135]
	scratch_store_dwordx4 off, v[136:139], off offset:16
.LBB40_329:
	s_or_b64 exec, exec, s[6:7]
	scratch_load_dwordx4 v[2:5], v132, off
	v_cmp_gt_u32_e32 vcc, 2, v0
	s_waitcnt vmcnt(0)
	ds_write_b128 v11, v[2:5]
	s_waitcnt lgkmcnt(0)
	; wave barrier
	s_waitcnt lgkmcnt(0)
	s_and_saveexec_b64 s[6:7], vcc
	s_cbranch_execz .LBB40_335
; %bb.330:
	ds_read_b128 v[2:5], v11
	s_and_b64 vcc, exec, s[0:1]
	s_cbranch_vccnz .LBB40_332
; %bb.331:
	scratch_load_dwordx4 v[134:137], v10, off
	s_waitcnt vmcnt(0) lgkmcnt(0)
	v_mul_f64 v[12:13], v[2:3], v[136:137]
	v_mul_f64 v[6:7], v[4:5], v[136:137]
	v_fmac_f64_e32 v[12:13], v[4:5], v[134:135]
	v_fma_f64 v[2:3], v[2:3], v[134:135], -v[6:7]
	v_mov_b64_e32 v[4:5], v[12:13]
.LBB40_332:
	s_and_saveexec_b64 s[8:9], s[2:3]
	s_cbranch_execz .LBB40_334
; %bb.333:
	scratch_load_dwordx4 v[134:137], v10, off offset:16
	ds_read_b128 v[138:141], v11 offset:16
	s_waitcnt vmcnt(0) lgkmcnt(0)
	v_mul_f64 v[6:7], v[140:141], v[136:137]
	v_mul_f64 v[12:13], v[138:139], v[136:137]
	v_fma_f64 v[6:7], v[138:139], v[134:135], -v[6:7]
	v_fmac_f64_e32 v[12:13], v[140:141], v[134:135]
	v_add_f64 v[2:3], v[2:3], v[6:7]
	v_add_f64 v[4:5], v[4:5], v[12:13]
.LBB40_334:
	s_or_b64 exec, exec, s[8:9]
	v_mov_b32_e32 v6, 0
	ds_read_b128 v[134:137], v6 offset:32
	s_waitcnt lgkmcnt(0)
	v_mul_f64 v[6:7], v[4:5], v[136:137]
	v_mul_f64 v[138:139], v[2:3], v[136:137]
	v_fma_f64 v[136:137], v[2:3], v[134:135], -v[6:7]
	v_fmac_f64_e32 v[138:139], v[4:5], v[134:135]
	scratch_store_dwordx4 off, v[136:139], off offset:32
.LBB40_335:
	s_or_b64 exec, exec, s[6:7]
	scratch_load_dwordx4 v[2:5], v131, off
	v_cmp_gt_u32_e32 vcc, 3, v0
	s_waitcnt vmcnt(0)
	ds_write_b128 v11, v[2:5]
	s_waitcnt lgkmcnt(0)
	; wave barrier
	s_waitcnt lgkmcnt(0)
	s_and_saveexec_b64 s[6:7], vcc
	s_cbranch_execz .LBB40_343
; %bb.336:
	ds_read_b128 v[2:5], v11
	s_and_b64 vcc, exec, s[0:1]
	s_cbranch_vccnz .LBB40_338
; %bb.337:
	scratch_load_dwordx4 v[134:137], v10, off
	s_waitcnt vmcnt(0) lgkmcnt(0)
	v_mul_f64 v[12:13], v[2:3], v[136:137]
	v_mul_f64 v[6:7], v[4:5], v[136:137]
	v_fmac_f64_e32 v[12:13], v[4:5], v[134:135]
	v_fma_f64 v[2:3], v[2:3], v[134:135], -v[6:7]
	v_mov_b64_e32 v[4:5], v[12:13]
.LBB40_338:
	v_cmp_ne_u32_e32 vcc, 2, v0
	s_and_saveexec_b64 s[8:9], vcc
	s_cbranch_execz .LBB40_342
; %bb.339:
	scratch_load_dwordx4 v[134:137], v10, off offset:16
	ds_read_b128 v[138:141], v11 offset:16
	s_waitcnt vmcnt(0) lgkmcnt(0)
	v_mul_f64 v[6:7], v[140:141], v[136:137]
	v_mul_f64 v[12:13], v[138:139], v[136:137]
	v_fma_f64 v[6:7], v[138:139], v[134:135], -v[6:7]
	v_fmac_f64_e32 v[12:13], v[140:141], v[134:135]
	v_add_f64 v[2:3], v[2:3], v[6:7]
	v_add_f64 v[4:5], v[4:5], v[12:13]
	s_and_saveexec_b64 s[10:11], s[2:3]
	s_cbranch_execz .LBB40_341
; %bb.340:
	scratch_load_dwordx4 v[134:137], off, off offset:32
	v_mov_b32_e32 v6, 0
	ds_read_b128 v[138:141], v6 offset:688
	s_waitcnt vmcnt(0) lgkmcnt(0)
	v_mul_f64 v[6:7], v[138:139], v[136:137]
	v_mul_f64 v[12:13], v[140:141], v[136:137]
	v_fmac_f64_e32 v[6:7], v[140:141], v[134:135]
	v_fma_f64 v[12:13], v[138:139], v[134:135], -v[12:13]
	v_add_f64 v[4:5], v[4:5], v[6:7]
	v_add_f64 v[2:3], v[2:3], v[12:13]
.LBB40_341:
	s_or_b64 exec, exec, s[10:11]
.LBB40_342:
	s_or_b64 exec, exec, s[8:9]
	v_mov_b32_e32 v6, 0
	ds_read_b128 v[134:137], v6 offset:48
	s_waitcnt lgkmcnt(0)
	v_mul_f64 v[6:7], v[4:5], v[136:137]
	v_mul_f64 v[138:139], v[2:3], v[136:137]
	v_fma_f64 v[136:137], v[2:3], v[134:135], -v[6:7]
	v_fmac_f64_e32 v[138:139], v[4:5], v[134:135]
	scratch_store_dwordx4 off, v[136:139], off offset:48
.LBB40_343:
	s_or_b64 exec, exec, s[6:7]
	scratch_load_dwordx4 v[2:5], v130, off
	v_cmp_gt_u32_e32 vcc, 4, v0
	s_waitcnt vmcnt(0)
	ds_write_b128 v11, v[2:5]
	s_waitcnt lgkmcnt(0)
	; wave barrier
	s_waitcnt lgkmcnt(0)
	s_and_saveexec_b64 s[2:3], vcc
	s_cbranch_execz .LBB40_351
; %bb.344:
	ds_read_b128 v[2:5], v11
	s_and_b64 vcc, exec, s[0:1]
	s_cbranch_vccnz .LBB40_346
; %bb.345:
	scratch_load_dwordx4 v[134:137], v10, off
	s_waitcnt vmcnt(0) lgkmcnt(0)
	v_mul_f64 v[12:13], v[2:3], v[136:137]
	v_mul_f64 v[6:7], v[4:5], v[136:137]
	v_fmac_f64_e32 v[12:13], v[4:5], v[134:135]
	v_fma_f64 v[2:3], v[2:3], v[134:135], -v[6:7]
	v_mov_b64_e32 v[4:5], v[12:13]
.LBB40_346:
	v_cmp_ne_u32_e32 vcc, 3, v0
	s_and_saveexec_b64 s[6:7], vcc
	s_cbranch_execz .LBB40_350
; %bb.347:
	v_mov_b32_e32 v7, 0
	v_add_u32_e32 v6, 0x2a0, v60
	v_add3_u32 v7, v60, v7, 24
	s_mov_b64 s[8:9], 0
	v_mov_b32_e32 v12, v0
.LBB40_348:                             ; =>This Inner Loop Header: Depth=1
	v_add_u32_e32 v13, -8, v7
	scratch_load_dwordx4 v[134:137], v13, off
	ds_read_b128 v[138:141], v6
	v_add_u32_e32 v12, 1, v12
	v_cmp_lt_u32_e32 vcc, 2, v12
	v_add_u32_e32 v6, 16, v6
	v_add_u32_e32 v7, 16, v7
	s_or_b64 s[8:9], vcc, s[8:9]
	s_waitcnt vmcnt(0) lgkmcnt(0)
	v_mul_f64 v[142:143], v[140:141], v[136:137]
	v_mul_f64 v[136:137], v[138:139], v[136:137]
	v_fma_f64 v[138:139], v[138:139], v[134:135], -v[142:143]
	v_fmac_f64_e32 v[136:137], v[140:141], v[134:135]
	v_add_f64 v[2:3], v[2:3], v[138:139]
	v_add_f64 v[4:5], v[4:5], v[136:137]
	s_andn2_b64 exec, exec, s[8:9]
	s_cbranch_execnz .LBB40_348
; %bb.349:
	s_or_b64 exec, exec, s[8:9]
.LBB40_350:
	s_or_b64 exec, exec, s[6:7]
	v_mov_b32_e32 v6, 0
	ds_read_b128 v[134:137], v6 offset:64
	s_waitcnt lgkmcnt(0)
	v_mul_f64 v[6:7], v[4:5], v[136:137]
	v_mul_f64 v[138:139], v[2:3], v[136:137]
	v_fma_f64 v[136:137], v[2:3], v[134:135], -v[6:7]
	v_fmac_f64_e32 v[138:139], v[4:5], v[134:135]
	scratch_store_dwordx4 off, v[136:139], off offset:64
.LBB40_351:
	s_or_b64 exec, exec, s[2:3]
	scratch_load_dwordx4 v[2:5], v129, off
	v_cmp_gt_u32_e32 vcc, 5, v0
	s_waitcnt vmcnt(0)
	ds_write_b128 v11, v[2:5]
	s_waitcnt lgkmcnt(0)
	; wave barrier
	s_waitcnt lgkmcnt(0)
	s_and_saveexec_b64 s[2:3], vcc
	s_cbranch_execz .LBB40_359
; %bb.352:
	ds_read_b128 v[2:5], v11
	s_and_b64 vcc, exec, s[0:1]
	s_cbranch_vccnz .LBB40_354
; %bb.353:
	scratch_load_dwordx4 v[134:137], v10, off
	s_waitcnt vmcnt(0) lgkmcnt(0)
	v_mul_f64 v[12:13], v[2:3], v[136:137]
	v_mul_f64 v[6:7], v[4:5], v[136:137]
	v_fmac_f64_e32 v[12:13], v[4:5], v[134:135]
	v_fma_f64 v[2:3], v[2:3], v[134:135], -v[6:7]
	v_mov_b64_e32 v[4:5], v[12:13]
.LBB40_354:
	v_cmp_ne_u32_e32 vcc, 4, v0
	s_and_saveexec_b64 s[6:7], vcc
	s_cbranch_execz .LBB40_358
; %bb.355:
	v_mov_b32_e32 v7, 0
	v_add_u32_e32 v6, 0x2a0, v60
	v_add3_u32 v7, v60, v7, 24
	s_mov_b64 s[8:9], 0
	v_mov_b32_e32 v12, v0
.LBB40_356:                             ; =>This Inner Loop Header: Depth=1
	v_add_u32_e32 v13, -8, v7
	scratch_load_dwordx4 v[134:137], v13, off
	ds_read_b128 v[138:141], v6
	v_add_u32_e32 v12, 1, v12
	v_cmp_lt_u32_e32 vcc, 3, v12
	v_add_u32_e32 v6, 16, v6
	v_add_u32_e32 v7, 16, v7
	s_or_b64 s[8:9], vcc, s[8:9]
	s_waitcnt vmcnt(0) lgkmcnt(0)
	v_mul_f64 v[142:143], v[140:141], v[136:137]
	v_mul_f64 v[136:137], v[138:139], v[136:137]
	v_fma_f64 v[138:139], v[138:139], v[134:135], -v[142:143]
	v_fmac_f64_e32 v[136:137], v[140:141], v[134:135]
	v_add_f64 v[2:3], v[2:3], v[138:139]
	v_add_f64 v[4:5], v[4:5], v[136:137]
	s_andn2_b64 exec, exec, s[8:9]
	s_cbranch_execnz .LBB40_356
; %bb.357:
	s_or_b64 exec, exec, s[8:9]
.LBB40_358:
	s_or_b64 exec, exec, s[6:7]
	v_mov_b32_e32 v6, 0
	ds_read_b128 v[134:137], v6 offset:80
	s_waitcnt lgkmcnt(0)
	v_mul_f64 v[6:7], v[4:5], v[136:137]
	v_mul_f64 v[138:139], v[2:3], v[136:137]
	v_fma_f64 v[136:137], v[2:3], v[134:135], -v[6:7]
	v_fmac_f64_e32 v[138:139], v[4:5], v[134:135]
	scratch_store_dwordx4 off, v[136:139], off offset:80
.LBB40_359:
	;; [unrolled: 63-line block ×35, first 2 shown]
	s_or_b64 exec, exec, s[2:3]
	scratch_load_dwordx4 v[2:5], v8, off
	v_cmp_gt_u32_e64 s[2:3], 39, v0
	s_waitcnt vmcnt(0)
	ds_write_b128 v11, v[2:5]
	s_waitcnt lgkmcnt(0)
	; wave barrier
	s_waitcnt lgkmcnt(0)
	s_and_saveexec_b64 s[6:7], s[2:3]
	s_cbranch_execz .LBB40_631
; %bb.624:
	ds_read_b128 v[2:5], v11
	s_and_b64 vcc, exec, s[0:1]
	s_cbranch_vccnz .LBB40_626
; %bb.625:
	scratch_load_dwordx4 v[134:137], v10, off
	s_waitcnt vmcnt(0) lgkmcnt(0)
	v_mul_f64 v[12:13], v[2:3], v[136:137]
	v_mul_f64 v[6:7], v[4:5], v[136:137]
	v_fmac_f64_e32 v[12:13], v[4:5], v[134:135]
	v_fma_f64 v[2:3], v[2:3], v[134:135], -v[6:7]
	v_mov_b64_e32 v[4:5], v[12:13]
.LBB40_626:
	v_cmp_ne_u32_e32 vcc, 38, v0
	s_and_saveexec_b64 s[8:9], vcc
	s_cbranch_execz .LBB40_630
; %bb.627:
	v_mov_b32_e32 v7, 0
	v_add_u32_e32 v6, 0x2a0, v60
	v_add3_u32 v7, v60, v7, 24
	s_mov_b64 s[10:11], 0
	v_mov_b32_e32 v12, v0
.LBB40_628:                             ; =>This Inner Loop Header: Depth=1
	v_add_u32_e32 v13, -8, v7
	scratch_load_dwordx4 v[134:137], v13, off
	ds_read_b128 v[138:141], v6
	v_add_u32_e32 v12, 1, v12
	v_cmp_lt_u32_e32 vcc, 37, v12
	v_add_u32_e32 v6, 16, v6
	v_add_u32_e32 v7, 16, v7
	s_or_b64 s[10:11], vcc, s[10:11]
	s_waitcnt vmcnt(0) lgkmcnt(0)
	v_mul_f64 v[142:143], v[140:141], v[136:137]
	v_mul_f64 v[136:137], v[138:139], v[136:137]
	v_fma_f64 v[138:139], v[138:139], v[134:135], -v[142:143]
	v_fmac_f64_e32 v[136:137], v[140:141], v[134:135]
	v_add_f64 v[2:3], v[2:3], v[138:139]
	v_add_f64 v[4:5], v[4:5], v[136:137]
	s_andn2_b64 exec, exec, s[10:11]
	s_cbranch_execnz .LBB40_628
; %bb.629:
	s_or_b64 exec, exec, s[10:11]
.LBB40_630:
	s_or_b64 exec, exec, s[8:9]
	v_mov_b32_e32 v6, 0
	ds_read_b128 v[134:137], v6 offset:624
	s_waitcnt lgkmcnt(0)
	v_mul_f64 v[6:7], v[4:5], v[136:137]
	v_mul_f64 v[138:139], v[2:3], v[136:137]
	v_fma_f64 v[136:137], v[2:3], v[134:135], -v[6:7]
	v_fmac_f64_e32 v[138:139], v[4:5], v[134:135]
	scratch_store_dwordx4 off, v[136:139], off offset:624
.LBB40_631:
	s_or_b64 exec, exec, s[6:7]
	scratch_load_dwordx4 v[2:5], v1, off
	v_cmp_ne_u32_e32 vcc, 40, v0
                                        ; implicit-def: $vgpr6_vgpr7
                                        ; implicit-def: $vgpr12
	s_waitcnt vmcnt(0)
	ds_write_b128 v11, v[2:5]
	s_waitcnt lgkmcnt(0)
	; wave barrier
	s_waitcnt lgkmcnt(0)
	s_and_saveexec_b64 s[6:7], vcc
	s_cbranch_execz .LBB40_639
; %bb.632:
	ds_read_b128 v[2:5], v11
	s_and_b64 vcc, exec, s[0:1]
	s_cbranch_vccnz .LBB40_634
; %bb.633:
	scratch_load_dwordx4 v[10:13], v10, off
	s_waitcnt vmcnt(0) lgkmcnt(0)
	v_mul_f64 v[6:7], v[4:5], v[12:13]
	v_mul_f64 v[12:13], v[2:3], v[12:13]
	v_fmac_f64_e32 v[12:13], v[4:5], v[10:11]
	v_fma_f64 v[2:3], v[2:3], v[10:11], -v[6:7]
	v_mov_b64_e32 v[4:5], v[12:13]
.LBB40_634:
	s_and_saveexec_b64 s[0:1], s[2:3]
	s_cbranch_execz .LBB40_638
; %bb.635:
	v_mov_b32_e32 v7, 0
	v_add_u32_e32 v6, 0x2a0, v60
	v_add3_u32 v7, v60, v7, 24
	s_mov_b64 s[2:3], 0
.LBB40_636:                             ; =>This Inner Loop Header: Depth=1
	v_add_u32_e32 v10, -8, v7
	scratch_load_dwordx4 v[10:13], v10, off
	ds_read_b128 v[134:137], v6
	v_add_u32_e32 v0, 1, v0
	v_cmp_lt_u32_e32 vcc, 38, v0
	v_add_u32_e32 v6, 16, v6
	v_add_u32_e32 v7, 16, v7
	s_or_b64 s[2:3], vcc, s[2:3]
	s_waitcnt vmcnt(0) lgkmcnt(0)
	v_mul_f64 v[138:139], v[136:137], v[12:13]
	v_mul_f64 v[12:13], v[134:135], v[12:13]
	v_fma_f64 v[134:135], v[134:135], v[10:11], -v[138:139]
	v_fmac_f64_e32 v[12:13], v[136:137], v[10:11]
	v_add_f64 v[2:3], v[2:3], v[134:135]
	v_add_f64 v[4:5], v[4:5], v[12:13]
	s_andn2_b64 exec, exec, s[2:3]
	s_cbranch_execnz .LBB40_636
; %bb.637:
	s_or_b64 exec, exec, s[2:3]
.LBB40_638:
	s_or_b64 exec, exec, s[0:1]
	v_mov_b32_e32 v0, 0
	ds_read_b128 v[134:137], v0 offset:640
	v_mov_b32_e32 v0, 0
	v_add_u32_e32 v12, 0x288, v0
	s_or_b64 s[4:5], s[4:5], exec
	s_waitcnt lgkmcnt(0)
	v_mul_f64 v[10:11], v[4:5], v[136:137]
	v_mul_f64 v[6:7], v[2:3], v[136:137]
	v_fma_f64 v[2:3], v[2:3], v[134:135], -v[10:11]
	v_fmac_f64_e32 v[6:7], v[4:5], v[134:135]
	scratch_store_dwordx2 off, v[2:3], off offset:640
.LBB40_639:
	s_or_b64 exec, exec, s[6:7]
.LBB40_640:
	s_and_saveexec_b64 s[0:1], s[4:5]
	s_cbranch_execz .LBB40_642
; %bb.641:
	scratch_store_dwordx2 v12, v[6:7], off
.LBB40_642:
	s_or_b64 exec, exec, s[0:1]
	scratch_load_dwordx4 v[2:5], off, off
	scratch_load_dwordx4 v[10:13], v133, off
	s_nop 0
	scratch_load_dwordx4 v[132:135], v132, off
	s_nop 0
	scratch_load_dwordx4 v[136:139], v131, off
	scratch_load_dwordx4 v[140:143], v130, off
	scratch_load_dwordx4 v[144:147], v129, off
	s_nop 0
	scratch_load_dwordx4 v[128:131], v128, off
	s_nop 0
	scratch_load_dwordx4 v[148:151], v127, off
	scratch_load_dwordx4 v[152:155], v126, off
	;; [unrolled: 6-line block ×3, first 2 shown]
	s_waitcnt vmcnt(12)
	global_store_dwordx4 v[14:15], v[2:5], off
	scratch_load_dwordx4 v[2:5], v121, off
	s_nop 0
	scratch_load_dwordx4 v[120:123], v120, off
	s_waitcnt vmcnt(14)
	global_store_dwordx4 v[16:17], v[10:13], off
	scratch_load_dwordx4 v[10:13], v119, off
	s_nop 0
	scratch_load_dwordx4 v[14:17], v118, off
	;; [unrolled: 5-line block ×14, first 2 shown]
	s_waitcnt vmcnt(39)
	global_store_dwordx4 v[42:43], v[120:123], off
	s_waitcnt vmcnt(38)
	global_store_dwordx4 v[44:45], v[10:13], off
	;; [unrolled: 2-line block ×27, first 2 shown]
.LBB40_643:
	s_endpgm
	.section	.rodata,"a",@progbits
	.p2align	6, 0x0
	.amdhsa_kernel _ZN9rocsolver6v33100L18trti2_kernel_smallILi41E19rocblas_complex_numIdEPS3_EEv13rocblas_fill_17rocblas_diagonal_T1_iil
		.amdhsa_group_segment_fixed_size 1312
		.amdhsa_private_segment_fixed_size 672
		.amdhsa_kernarg_size 32
		.amdhsa_user_sgpr_count 2
		.amdhsa_user_sgpr_dispatch_ptr 0
		.amdhsa_user_sgpr_queue_ptr 0
		.amdhsa_user_sgpr_kernarg_segment_ptr 1
		.amdhsa_user_sgpr_dispatch_id 0
		.amdhsa_user_sgpr_kernarg_preload_length 0
		.amdhsa_user_sgpr_kernarg_preload_offset 0
		.amdhsa_user_sgpr_private_segment_size 0
		.amdhsa_uses_dynamic_stack 0
		.amdhsa_enable_private_segment 1
		.amdhsa_system_sgpr_workgroup_id_x 1
		.amdhsa_system_sgpr_workgroup_id_y 0
		.amdhsa_system_sgpr_workgroup_id_z 0
		.amdhsa_system_sgpr_workgroup_info 0
		.amdhsa_system_vgpr_workitem_id 0
		.amdhsa_next_free_vgpr 172
		.amdhsa_next_free_sgpr 12
		.amdhsa_accum_offset 172
		.amdhsa_reserve_vcc 1
		.amdhsa_float_round_mode_32 0
		.amdhsa_float_round_mode_16_64 0
		.amdhsa_float_denorm_mode_32 3
		.amdhsa_float_denorm_mode_16_64 3
		.amdhsa_dx10_clamp 1
		.amdhsa_ieee_mode 1
		.amdhsa_fp16_overflow 0
		.amdhsa_tg_split 0
		.amdhsa_exception_fp_ieee_invalid_op 0
		.amdhsa_exception_fp_denorm_src 0
		.amdhsa_exception_fp_ieee_div_zero 0
		.amdhsa_exception_fp_ieee_overflow 0
		.amdhsa_exception_fp_ieee_underflow 0
		.amdhsa_exception_fp_ieee_inexact 0
		.amdhsa_exception_int_div_zero 0
	.end_amdhsa_kernel
	.section	.text._ZN9rocsolver6v33100L18trti2_kernel_smallILi41E19rocblas_complex_numIdEPS3_EEv13rocblas_fill_17rocblas_diagonal_T1_iil,"axG",@progbits,_ZN9rocsolver6v33100L18trti2_kernel_smallILi41E19rocblas_complex_numIdEPS3_EEv13rocblas_fill_17rocblas_diagonal_T1_iil,comdat
.Lfunc_end40:
	.size	_ZN9rocsolver6v33100L18trti2_kernel_smallILi41E19rocblas_complex_numIdEPS3_EEv13rocblas_fill_17rocblas_diagonal_T1_iil, .Lfunc_end40-_ZN9rocsolver6v33100L18trti2_kernel_smallILi41E19rocblas_complex_numIdEPS3_EEv13rocblas_fill_17rocblas_diagonal_T1_iil
                                        ; -- End function
	.section	.AMDGPU.csdata,"",@progbits
; Kernel info:
; codeLenInByte = 27008
; NumSgprs: 18
; NumVgprs: 172
; NumAgprs: 0
; TotalNumVgprs: 172
; ScratchSize: 672
; MemoryBound: 0
; FloatMode: 240
; IeeeMode: 1
; LDSByteSize: 1312 bytes/workgroup (compile time only)
; SGPRBlocks: 2
; VGPRBlocks: 21
; NumSGPRsForWavesPerEU: 18
; NumVGPRsForWavesPerEU: 172
; AccumOffset: 172
; Occupancy: 2
; WaveLimiterHint : 0
; COMPUTE_PGM_RSRC2:SCRATCH_EN: 1
; COMPUTE_PGM_RSRC2:USER_SGPR: 2
; COMPUTE_PGM_RSRC2:TRAP_HANDLER: 0
; COMPUTE_PGM_RSRC2:TGID_X_EN: 1
; COMPUTE_PGM_RSRC2:TGID_Y_EN: 0
; COMPUTE_PGM_RSRC2:TGID_Z_EN: 0
; COMPUTE_PGM_RSRC2:TIDIG_COMP_CNT: 0
; COMPUTE_PGM_RSRC3_GFX90A:ACCUM_OFFSET: 42
; COMPUTE_PGM_RSRC3_GFX90A:TG_SPLIT: 0
	.section	.text._ZN9rocsolver6v33100L18trti2_kernel_smallILi42E19rocblas_complex_numIdEPS3_EEv13rocblas_fill_17rocblas_diagonal_T1_iil,"axG",@progbits,_ZN9rocsolver6v33100L18trti2_kernel_smallILi42E19rocblas_complex_numIdEPS3_EEv13rocblas_fill_17rocblas_diagonal_T1_iil,comdat
	.globl	_ZN9rocsolver6v33100L18trti2_kernel_smallILi42E19rocblas_complex_numIdEPS3_EEv13rocblas_fill_17rocblas_diagonal_T1_iil ; -- Begin function _ZN9rocsolver6v33100L18trti2_kernel_smallILi42E19rocblas_complex_numIdEPS3_EEv13rocblas_fill_17rocblas_diagonal_T1_iil
	.p2align	8
	.type	_ZN9rocsolver6v33100L18trti2_kernel_smallILi42E19rocblas_complex_numIdEPS3_EEv13rocblas_fill_17rocblas_diagonal_T1_iil,@function
_ZN9rocsolver6v33100L18trti2_kernel_smallILi42E19rocblas_complex_numIdEPS3_EEv13rocblas_fill_17rocblas_diagonal_T1_iil: ; @_ZN9rocsolver6v33100L18trti2_kernel_smallILi42E19rocblas_complex_numIdEPS3_EEv13rocblas_fill_17rocblas_diagonal_T1_iil
; %bb.0:
	v_cmp_gt_u32_e32 vcc, 42, v0
	s_and_saveexec_b64 s[4:5], vcc
	s_cbranch_execz .LBB41_659
; %bb.1:
	s_load_dwordx8 s[4:11], s[0:1], 0x0
	s_ashr_i32 s3, s2, 31
	v_lshlrev_b32_e32 v64, 4, v0
	v_mov_b32_e32 v65, 0
	v_mov_b32_e32 v1, 0
	s_waitcnt lgkmcnt(0)
	s_ashr_i32 s1, s8, 31
	s_mov_b32 s0, s8
	s_mul_i32 s8, s2, s11
	s_mul_hi_u32 s11, s2, s10
	s_add_i32 s8, s11, s8
	s_mul_i32 s3, s3, s10
	s_add_i32 s3, s8, s3
	s_mul_i32 s2, s2, s10
	s_lshl_b64 s[2:3], s[2:3], 4
	s_add_u32 s2, s6, s2
	s_addc_u32 s3, s7, s3
	s_lshl_b64 s[0:1], s[0:1], 4
	s_add_u32 s0, s2, s0
	s_addc_u32 s1, s3, s1
	v_lshl_add_u64 v[42:43], s[0:1], 0, v[64:65]
	s_ashr_i32 s3, s9, 31
	s_mov_b32 s2, s9
	v_lshl_add_u64 v[44:45], s[2:3], 4, v[42:43]
	s_add_i32 s2, s9, s9
	v_add_u32_e32 v14, s2, v0
	v_ashrrev_i32_e32 v15, 31, v14
	v_lshl_add_u64 v[46:47], v[14:15], 4, s[0:1]
	v_add_u32_e32 v14, s9, v14
	v_ashrrev_i32_e32 v15, 31, v14
	v_add_u32_e32 v22, s9, v14
	v_lshl_add_u64 v[48:49], v[14:15], 4, s[0:1]
	v_ashrrev_i32_e32 v23, 31, v22
	global_load_dwordx4 v[2:5], v64, s[0:1]
	global_load_dwordx4 v[6:9], v[44:45], off
	global_load_dwordx4 v[10:13], v[46:47], off
	v_lshl_add_u64 v[50:51], v[22:23], 4, s[0:1]
	global_load_dwordx4 v[14:17], v[48:49], off
	global_load_dwordx4 v[18:21], v[50:51], off
	v_add_u32_e32 v22, s9, v22
	v_add_u32_e32 v24, s9, v22
	;; [unrolled: 1-line block ×35, first 2 shown]
	v_ashrrev_i32_e32 v39, 31, v38
	v_add_u32_e32 v168, s9, v166
	v_lshl_add_u64 v[60:61], v[38:39], 4, s[0:1]
	v_add_u32_e32 v38, s9, v168
	v_ashrrev_i32_e32 v23, 31, v22
	v_ashrrev_i32_e32 v31, 31, v30
	;; [unrolled: 1-line block ×3, first 2 shown]
	v_lshl_add_u64 v[52:53], v[22:23], 4, s[0:1]
	v_ashrrev_i32_e32 v25, 31, v24
	v_lshl_add_u64 v[56:57], v[30:31], 4, s[0:1]
	v_ashrrev_i32_e32 v33, 31, v32
	v_ashrrev_i32_e32 v41, 31, v40
	v_lshl_add_u64 v[66:67], v[38:39], 4, s[0:1]
	v_ashrrev_i32_e32 v69, 31, v68
	v_ashrrev_i32_e32 v75, 31, v74
	;; [unrolled: 1-line block ×6, first 2 shown]
	v_lshl_add_u64 v[54:55], v[24:25], 4, s[0:1]
	global_load_dwordx4 v[22:25], v[52:53], off
	global_load_dwordx4 v[26:29], v[54:55], off
	v_lshl_add_u64 v[58:59], v[32:33], 4, s[0:1]
	global_load_dwordx4 v[30:33], v[56:57], off
	global_load_dwordx4 v[34:37], v[58:59], off
	v_lshl_add_u64 v[62:63], v[40:41], 4, s[0:1]
	global_load_dwordx4 v[38:41], v[66:67], off
	v_lshl_add_u64 v[72:73], v[68:69], 4, s[0:1]
	v_ashrrev_i32_e32 v71, 31, v70
	v_ashrrev_i32_e32 v77, 31, v76
	v_ashrrev_i32_e32 v81, 31, v80
	s_waitcnt vmcnt(9)
	scratch_store_dwordx4 off, v[2:5], off
	s_waitcnt vmcnt(9)
	scratch_store_dwordx4 off, v[6:9], off offset:16
	s_waitcnt vmcnt(9)
	scratch_store_dwordx4 off, v[10:13], off offset:32
	s_waitcnt vmcnt(9)
	scratch_store_dwordx4 off, v[14:17], off offset:48
	s_waitcnt vmcnt(9)
	scratch_store_dwordx4 off, v[18:21], off offset:64
	s_nop 1
	v_lshl_add_u64 v[18:19], v[74:75], 4, s[0:1]
	v_lshl_add_u64 v[12:13], v[78:79], 4, s[0:1]
	;; [unrolled: 1-line block ×3, first 2 shown]
	v_ashrrev_i32_e32 v85, 31, v84
	v_lshl_add_u64 v[74:75], v[86:87], 4, s[0:1]
	v_ashrrev_i32_e32 v89, 31, v88
	v_lshl_add_u64 v[78:79], v[92:93], 4, s[0:1]
	v_ashrrev_i32_e32 v97, 31, v96
	global_load_dwordx4 v[2:5], v[60:61], off
	global_load_dwordx4 v[6:9], v[62:63], off
	v_lshl_add_u64 v[68:69], v[70:71], 4, s[0:1]
	global_load_dwordx4 v[98:101], v[72:73], off
	global_load_dwordx4 v[102:105], v[68:69], off
	v_lshl_add_u64 v[14:15], v[76:77], 4, s[0:1]
	;; [unrolled: 3-line block ×6, first 2 shown]
	global_load_dwordx4 v[130:133], v[78:79], off
	global_load_dwordx4 v[134:137], v[80:81], off
	v_ashrrev_i32_e32 v91, 31, v90
	v_ashrrev_i32_e32 v95, 31, v94
	;; [unrolled: 1-line block ×18, first 2 shown]
	v_lshl_add_u64 v[92:93], v[160:161], 4, s[0:1]
	v_lshl_add_u64 v[96:97], v[164:165], 4, s[0:1]
	s_cmpk_lg_i32 s5, 0x84
	s_cselect_b64 s[6:7], -1, 0
	s_cmpk_eq_i32 s5, 0x84
	s_waitcnt vmcnt(23)
	scratch_store_dwordx4 off, v[22:25], off offset:80
	s_waitcnt vmcnt(23)
	scratch_store_dwordx4 off, v[26:29], off offset:96
	s_waitcnt vmcnt(23)
	scratch_store_dwordx4 off, v[30:33], off offset:112
	s_waitcnt vmcnt(23)
	scratch_store_dwordx4 off, v[34:37], off offset:128
	s_waitcnt vmcnt(17)
	scratch_store_dwordx4 off, v[2:5], off offset:144
	s_waitcnt vmcnt(17)
	scratch_store_dwordx4 off, v[6:9], off offset:160
	s_waitcnt vmcnt(17)
	scratch_store_dwordx4 off, v[98:101], off offset:176
	s_waitcnt vmcnt(17)
	scratch_store_dwordx4 off, v[102:105], off offset:192
	s_waitcnt vmcnt(17)
	scratch_store_dwordx4 off, v[106:109], off offset:208
	s_waitcnt vmcnt(17)
	scratch_store_dwordx4 off, v[110:113], off offset:224
	s_waitcnt vmcnt(17)
	scratch_store_dwordx4 off, v[114:117], off offset:240
	s_waitcnt vmcnt(17)
	scratch_store_dwordx4 off, v[118:121], off offset:256
	s_waitcnt vmcnt(17)
	scratch_store_dwordx4 off, v[82:85], off offset:272
	s_waitcnt vmcnt(17)
	scratch_store_dwordx4 off, v[122:125], off offset:288
	s_waitcnt vmcnt(17)
	scratch_store_dwordx4 off, v[86:89], off offset:304
	s_waitcnt vmcnt(17)
	scratch_store_dwordx4 off, v[126:129], off offset:320
	s_waitcnt vmcnt(17)
	scratch_store_dwordx4 off, v[130:133], off offset:336
	s_waitcnt vmcnt(17)
	scratch_store_dwordx4 off, v[134:137], off offset:352
	v_lshl_add_u64 v[22:23], v[90:91], 4, s[0:1]
	v_lshl_add_u64 v[24:25], v[94:95], 4, s[0:1]
	;; [unrolled: 1-line block ×10, first 2 shown]
	global_load_dwordx4 v[2:5], v[22:23], off
	global_load_dwordx4 v[6:9], v[24:25], off
	v_lshl_add_u64 v[28:29], v[140:141], 4, s[0:1]
	global_load_dwordx4 v[102:105], v[26:27], off
	global_load_dwordx4 v[106:109], v[28:29], off
	v_lshl_add_u64 v[32:33], v[144:145], 4, s[0:1]
	;; [unrolled: 3-line block ×5, first 2 shown]
	global_load_dwordx4 v[134:137], v[86:87], off
	global_load_dwordx4 v[138:141], v[88:89], off
	global_load_dwordx4 v[142:145], v[90:91], off
	global_load_dwordx4 v[146:149], v[92:93], off
	global_load_dwordx4 v[150:153], v[94:95], off
	global_load_dwordx4 v[154:157], v[96:97], off
	v_lshl_add_u64 v[100:101], v[168:169], 4, s[0:1]
	global_load_dwordx4 v[158:161], v[98:99], off
	global_load_dwordx4 v[162:165], v[100:101], off
	s_waitcnt vmcnt(17)
	scratch_store_dwordx4 off, v[2:5], off offset:368
	s_waitcnt vmcnt(17)
	scratch_store_dwordx4 off, v[6:9], off offset:384
	;; [unrolled: 2-line block ×18, first 2 shown]
	scratch_store_dwordx4 off, v[38:41], off offset:656
	s_cbranch_scc1 .LBB41_7
; %bb.2:
	scratch_load_dwordx4 v[8:11], v64, off
                                        ; implicit-def: $vgpr6_vgpr7
	s_waitcnt vmcnt(0)
	v_xor_b32_e32 v3, 0x80000000, v9
	v_cmp_gt_f64_e32 vcc, 0, v[8:9]
	v_xor_b32_e32 v4, 0x80000000, v11
	v_mov_b32_e32 v2, v8
	v_cndmask_b32_e32 v3, v9, v3, vcc
	v_cmp_gt_f64_e32 vcc, 0, v[10:11]
	s_nop 1
	v_cndmask_b32_e32 v5, v11, v4, vcc
	v_mov_b32_e32 v4, v10
	v_cmp_ngt_f64_e32 vcc, v[2:3], v[4:5]
                                        ; implicit-def: $vgpr2_vgpr3
	s_and_saveexec_b64 s[0:1], vcc
	s_xor_b64 s[0:1], exec, s[0:1]
	s_cbranch_execz .LBB41_4
; %bb.3:
	v_div_scale_f64 v[2:3], s[2:3], v[10:11], v[10:11], v[8:9]
	v_rcp_f64_e32 v[4:5], v[2:3]
	v_div_scale_f64 v[6:7], vcc, v[8:9], v[10:11], v[8:9]
	v_fma_f64 v[38:39], -v[2:3], v[4:5], 1.0
	v_fmac_f64_e32 v[4:5], v[4:5], v[38:39]
	v_fma_f64 v[38:39], -v[2:3], v[4:5], 1.0
	v_fmac_f64_e32 v[4:5], v[4:5], v[38:39]
	v_mul_f64 v[38:39], v[6:7], v[4:5]
	v_fma_f64 v[2:3], -v[2:3], v[38:39], v[6:7]
	v_div_fmas_f64 v[2:3], v[2:3], v[4:5], v[38:39]
	v_div_fixup_f64 v[2:3], v[2:3], v[10:11], v[8:9]
	v_fmac_f64_e32 v[10:11], v[8:9], v[2:3]
	v_div_scale_f64 v[4:5], s[2:3], v[10:11], v[10:11], 1.0
	v_rcp_f64_e32 v[6:7], v[4:5]
	s_nop 0
	v_fma_f64 v[8:9], -v[4:5], v[6:7], 1.0
	v_fmac_f64_e32 v[6:7], v[6:7], v[8:9]
	v_fma_f64 v[8:9], -v[4:5], v[6:7], 1.0
	v_fmac_f64_e32 v[6:7], v[6:7], v[8:9]
	v_div_scale_f64 v[8:9], vcc, 1.0, v[10:11], 1.0
	v_mul_f64 v[38:39], v[8:9], v[6:7]
	v_fma_f64 v[4:5], -v[4:5], v[38:39], v[8:9]
                                        ; implicit-def: $vgpr8_vgpr9
	s_nop 1
	v_div_fmas_f64 v[4:5], v[4:5], v[6:7], v[38:39]
	v_div_fixup_f64 v[4:5], v[4:5], v[10:11], 1.0
	v_mul_f64 v[2:3], v[2:3], v[4:5]
	v_xor_b32_e32 v5, 0x80000000, v5
	v_xor_b32_e32 v7, 0x80000000, v3
	v_mov_b32_e32 v6, v2
.LBB41_4:
	s_or_saveexec_b64 s[0:1], s[0:1]
	v_add_u32_e32 v38, 0, v64
	s_xor_b64 exec, exec, s[0:1]
	s_cbranch_execz .LBB41_6
; %bb.5:
	v_div_scale_f64 v[2:3], s[2:3], v[8:9], v[8:9], v[10:11]
	v_rcp_f64_e32 v[4:5], v[2:3]
	v_div_scale_f64 v[6:7], vcc, v[10:11], v[8:9], v[10:11]
	v_fma_f64 v[40:41], -v[2:3], v[4:5], 1.0
	v_fmac_f64_e32 v[4:5], v[4:5], v[40:41]
	v_fma_f64 v[40:41], -v[2:3], v[4:5], 1.0
	v_fmac_f64_e32 v[4:5], v[4:5], v[40:41]
	v_mul_f64 v[40:41], v[6:7], v[4:5]
	v_fma_f64 v[2:3], -v[2:3], v[40:41], v[6:7]
	v_div_fmas_f64 v[2:3], v[2:3], v[4:5], v[40:41]
	v_div_fixup_f64 v[4:5], v[2:3], v[8:9], v[10:11]
	v_fmac_f64_e32 v[8:9], v[10:11], v[4:5]
	v_div_scale_f64 v[2:3], s[2:3], v[8:9], v[8:9], 1.0
	v_rcp_f64_e32 v[6:7], v[2:3]
	s_nop 0
	v_fma_f64 v[10:11], -v[2:3], v[6:7], 1.0
	v_fmac_f64_e32 v[6:7], v[6:7], v[10:11]
	v_fma_f64 v[10:11], -v[2:3], v[6:7], 1.0
	v_fmac_f64_e32 v[6:7], v[6:7], v[10:11]
	v_div_scale_f64 v[10:11], vcc, 1.0, v[8:9], 1.0
	v_mul_f64 v[40:41], v[10:11], v[6:7]
	v_fma_f64 v[2:3], -v[2:3], v[40:41], v[10:11]
	s_nop 1
	v_div_fmas_f64 v[2:3], v[2:3], v[6:7], v[40:41]
	v_div_fixup_f64 v[2:3], v[2:3], v[8:9], 1.0
	v_xor_b32_e32 v7, 0x80000000, v3
	v_mov_b32_e32 v6, v2
	v_mul_f64 v[4:5], v[4:5], -v[2:3]
.LBB41_6:
	s_or_b64 exec, exec, s[0:1]
	scratch_store_dwordx4 v38, v[2:5], off
	s_nop 1
	v_xor_b32_e32 v5, 0x80000000, v5
	s_branch .LBB41_8
.LBB41_7:
	v_mov_b64_e32 v[4:5], 0
	v_mov_b64_e32 v[6:7], -1.0
.LBB41_8:
	v_mov_b32_e32 v8, v4
	v_mov_b32_e32 v9, v5
	v_add_u32_e32 v134, 16, v1
	v_add_u32_e32 v133, 32, v1
	;; [unrolled: 1-line block ×41, first 2 shown]
	ds_write_b128 v64, v[6:9]
	s_cmpk_eq_i32 s4, 0x79
	v_add_u32_e32 v9, 0x2a0, v64
	v_add_u32_e32 v8, 0, v64
	s_cbranch_scc1 .LBB41_332
; %bb.9:
	scratch_load_dwordx4 v[2:5], v10, off
	v_cmp_eq_u32_e64 s[0:1], 41, v0
	s_waitcnt vmcnt(0)
	ds_write_b128 v9, v[2:5]
	s_waitcnt lgkmcnt(0)
	; wave barrier
	s_waitcnt lgkmcnt(0)
	s_and_saveexec_b64 s[2:3], s[0:1]
	s_cbranch_execz .LBB41_13
; %bb.10:
	ds_read_b128 v[2:5], v9
	s_andn2_b64 vcc, exec, s[6:7]
	s_cbranch_vccnz .LBB41_12
; %bb.11:
	scratch_load_dwordx4 v[136:139], v8, off
	s_waitcnt vmcnt(0) lgkmcnt(0)
	v_mul_f64 v[6:7], v[4:5], v[138:139]
	v_mul_f64 v[138:139], v[2:3], v[138:139]
	v_fmac_f64_e32 v[138:139], v[4:5], v[136:137]
	v_fma_f64 v[2:3], v[2:3], v[136:137], -v[6:7]
	v_mov_b64_e32 v[4:5], v[138:139]
.LBB41_12:
	v_mov_b32_e32 v6, 0
	ds_read_b128 v[136:139], v6 offset:640
	s_waitcnt lgkmcnt(0)
	v_mul_f64 v[6:7], v[4:5], v[138:139]
	v_mul_f64 v[140:141], v[2:3], v[138:139]
	v_fma_f64 v[138:139], v[2:3], v[136:137], -v[6:7]
	v_fmac_f64_e32 v[140:141], v[4:5], v[136:137]
	scratch_store_dwordx4 off, v[138:141], off offset:640
.LBB41_13:
	s_or_b64 exec, exec, s[2:3]
	scratch_load_dwordx4 v[2:5], v11, off
	v_cmp_lt_u32_e64 s[2:3], 39, v0
	s_waitcnt vmcnt(0)
	ds_write_b128 v9, v[2:5]
	s_waitcnt lgkmcnt(0)
	; wave barrier
	s_waitcnt lgkmcnt(0)
	s_and_saveexec_b64 s[4:5], s[2:3]
	s_cbranch_execz .LBB41_19
; %bb.14:
	ds_read_b128 v[2:5], v9
	s_andn2_b64 vcc, exec, s[6:7]
	s_cbranch_vccnz .LBB41_16
; %bb.15:
	scratch_load_dwordx4 v[136:139], v8, off
	s_waitcnt vmcnt(0) lgkmcnt(0)
	v_mul_f64 v[6:7], v[4:5], v[138:139]
	v_mul_f64 v[138:139], v[2:3], v[138:139]
	v_fmac_f64_e32 v[138:139], v[4:5], v[136:137]
	v_fma_f64 v[2:3], v[2:3], v[136:137], -v[6:7]
	v_mov_b64_e32 v[4:5], v[138:139]
.LBB41_16:
	s_and_saveexec_b64 s[8:9], s[0:1]
	s_cbranch_execz .LBB41_18
; %bb.17:
	scratch_load_dwordx4 v[136:139], off, off offset:640
	v_mov_b32_e32 v6, 0
	ds_read_b128 v[140:143], v6 offset:1312
	s_waitcnt vmcnt(0) lgkmcnt(0)
	v_mul_f64 v[6:7], v[140:141], v[138:139]
	v_mul_f64 v[138:139], v[142:143], v[138:139]
	v_fmac_f64_e32 v[6:7], v[142:143], v[136:137]
	v_fma_f64 v[136:137], v[140:141], v[136:137], -v[138:139]
	v_add_f64 v[4:5], v[4:5], v[6:7]
	v_add_f64 v[2:3], v[2:3], v[136:137]
.LBB41_18:
	s_or_b64 exec, exec, s[8:9]
	v_mov_b32_e32 v6, 0
	ds_read_b128 v[136:139], v6 offset:624
	s_waitcnt lgkmcnt(0)
	v_mul_f64 v[6:7], v[4:5], v[138:139]
	v_mul_f64 v[140:141], v[2:3], v[138:139]
	v_fma_f64 v[138:139], v[2:3], v[136:137], -v[6:7]
	v_fmac_f64_e32 v[140:141], v[4:5], v[136:137]
	scratch_store_dwordx4 off, v[138:141], off offset:624
.LBB41_19:
	s_or_b64 exec, exec, s[4:5]
	scratch_load_dwordx4 v[2:5], v38, off
	v_cmp_lt_u32_e64 s[0:1], 38, v0
	s_waitcnt vmcnt(0)
	ds_write_b128 v9, v[2:5]
	s_waitcnt lgkmcnt(0)
	; wave barrier
	s_waitcnt lgkmcnt(0)
	s_and_saveexec_b64 s[4:5], s[0:1]
	s_cbranch_execz .LBB41_27
; %bb.20:
	ds_read_b128 v[2:5], v9
	s_andn2_b64 vcc, exec, s[6:7]
	s_cbranch_vccnz .LBB41_22
; %bb.21:
	scratch_load_dwordx4 v[136:139], v8, off
	s_waitcnt vmcnt(0) lgkmcnt(0)
	v_mul_f64 v[6:7], v[4:5], v[138:139]
	v_mul_f64 v[138:139], v[2:3], v[138:139]
	v_fmac_f64_e32 v[138:139], v[4:5], v[136:137]
	v_fma_f64 v[2:3], v[2:3], v[136:137], -v[6:7]
	v_mov_b64_e32 v[4:5], v[138:139]
.LBB41_22:
	s_and_saveexec_b64 s[8:9], s[2:3]
	s_cbranch_execz .LBB41_26
; %bb.23:
	v_mov_b32_e32 v7, 0
	v_subrev_u32_e32 v6, 39, v0
	v_add_u32_e32 v7, 0x278, v7
	s_movk_i32 s10, 0x510
	s_mov_b64 s[2:3], 0
.LBB41_24:                              ; =>This Inner Loop Header: Depth=1
	v_add_u32_e32 v135, -8, v7
	scratch_load_dwordx4 v[136:139], v135, off
	v_mov_b32_e32 v135, s10
	ds_read_b128 v[140:143], v135
	v_add_u32_e32 v6, -1, v6
	s_add_i32 s10, s10, 16
	v_cmp_eq_u32_e32 vcc, 0, v6
	v_add_u32_e32 v7, 16, v7
	s_or_b64 s[2:3], vcc, s[2:3]
	s_waitcnt vmcnt(0) lgkmcnt(0)
	v_mul_f64 v[144:145], v[142:143], v[138:139]
	v_mul_f64 v[138:139], v[140:141], v[138:139]
	v_fma_f64 v[140:141], v[140:141], v[136:137], -v[144:145]
	v_fmac_f64_e32 v[138:139], v[142:143], v[136:137]
	v_add_f64 v[2:3], v[2:3], v[140:141]
	v_add_f64 v[4:5], v[4:5], v[138:139]
	s_andn2_b64 exec, exec, s[2:3]
	s_cbranch_execnz .LBB41_24
; %bb.25:
	s_or_b64 exec, exec, s[2:3]
.LBB41_26:
	s_or_b64 exec, exec, s[8:9]
	v_mov_b32_e32 v6, 0
	ds_read_b128 v[136:139], v6 offset:608
	s_waitcnt lgkmcnt(0)
	v_mul_f64 v[6:7], v[4:5], v[138:139]
	v_mul_f64 v[140:141], v[2:3], v[138:139]
	v_fma_f64 v[138:139], v[2:3], v[136:137], -v[6:7]
	v_fmac_f64_e32 v[140:141], v[4:5], v[136:137]
	scratch_store_dwordx4 off, v[138:141], off offset:608
.LBB41_27:
	s_or_b64 exec, exec, s[4:5]
	scratch_load_dwordx4 v[2:5], v39, off
	v_cmp_lt_u32_e64 s[2:3], 37, v0
	s_waitcnt vmcnt(0)
	ds_write_b128 v9, v[2:5]
	s_waitcnt lgkmcnt(0)
	; wave barrier
	s_waitcnt lgkmcnt(0)
	s_and_saveexec_b64 s[4:5], s[2:3]
	s_cbranch_execz .LBB41_35
; %bb.28:
	ds_read_b128 v[2:5], v9
	s_andn2_b64 vcc, exec, s[6:7]
	s_cbranch_vccnz .LBB41_30
; %bb.29:
	scratch_load_dwordx4 v[136:139], v8, off
	s_waitcnt vmcnt(0) lgkmcnt(0)
	v_mul_f64 v[6:7], v[4:5], v[138:139]
	v_mul_f64 v[138:139], v[2:3], v[138:139]
	v_fmac_f64_e32 v[138:139], v[4:5], v[136:137]
	v_fma_f64 v[2:3], v[2:3], v[136:137], -v[6:7]
	v_mov_b64_e32 v[4:5], v[138:139]
.LBB41_30:
	s_and_saveexec_b64 s[8:9], s[0:1]
	s_cbranch_execz .LBB41_34
; %bb.31:
	v_mov_b32_e32 v7, 0
	v_subrev_u32_e32 v6, 38, v0
	v_add_u32_e32 v7, 0x268, v7
	s_movk_i32 s10, 0x500
	s_mov_b64 s[0:1], 0
.LBB41_32:                              ; =>This Inner Loop Header: Depth=1
	v_add_u32_e32 v135, -8, v7
	scratch_load_dwordx4 v[136:139], v135, off
	v_mov_b32_e32 v135, s10
	ds_read_b128 v[140:143], v135
	v_add_u32_e32 v6, -1, v6
	s_add_i32 s10, s10, 16
	v_cmp_eq_u32_e32 vcc, 0, v6
	v_add_u32_e32 v7, 16, v7
	s_or_b64 s[0:1], vcc, s[0:1]
	s_waitcnt vmcnt(0) lgkmcnt(0)
	v_mul_f64 v[144:145], v[142:143], v[138:139]
	v_mul_f64 v[138:139], v[140:141], v[138:139]
	v_fma_f64 v[140:141], v[140:141], v[136:137], -v[144:145]
	v_fmac_f64_e32 v[138:139], v[142:143], v[136:137]
	v_add_f64 v[2:3], v[2:3], v[140:141]
	v_add_f64 v[4:5], v[4:5], v[138:139]
	s_andn2_b64 exec, exec, s[0:1]
	s_cbranch_execnz .LBB41_32
; %bb.33:
	s_or_b64 exec, exec, s[0:1]
.LBB41_34:
	s_or_b64 exec, exec, s[8:9]
	v_mov_b32_e32 v6, 0
	ds_read_b128 v[136:139], v6 offset:592
	s_waitcnt lgkmcnt(0)
	v_mul_f64 v[6:7], v[4:5], v[138:139]
	v_mul_f64 v[140:141], v[2:3], v[138:139]
	v_fma_f64 v[138:139], v[2:3], v[136:137], -v[6:7]
	v_fmac_f64_e32 v[140:141], v[4:5], v[136:137]
	scratch_store_dwordx4 off, v[138:141], off offset:592
.LBB41_35:
	;; [unrolled: 63-line block ×10, first 2 shown]
	s_or_b64 exec, exec, s[4:5]
	scratch_load_dwordx4 v[2:5], v107, off
	v_cmp_lt_u32_e64 s[0:1], 28, v0
	s_waitcnt vmcnt(0)
	ds_write_b128 v9, v[2:5]
	s_waitcnt lgkmcnt(0)
	; wave barrier
	s_waitcnt lgkmcnt(0)
	s_and_saveexec_b64 s[4:5], s[0:1]
	s_cbranch_execz .LBB41_107
; %bb.100:
	ds_read_b128 v[2:5], v9
	s_andn2_b64 vcc, exec, s[6:7]
	s_cbranch_vccnz .LBB41_102
; %bb.101:
	scratch_load_dwordx4 v[136:139], v8, off
	s_waitcnt vmcnt(0) lgkmcnt(0)
	v_mul_f64 v[6:7], v[4:5], v[138:139]
	v_mul_f64 v[138:139], v[2:3], v[138:139]
	v_fmac_f64_e32 v[138:139], v[4:5], v[136:137]
	v_fma_f64 v[2:3], v[2:3], v[136:137], -v[6:7]
	v_mov_b64_e32 v[4:5], v[138:139]
.LBB41_102:
	s_and_saveexec_b64 s[8:9], s[2:3]
	s_cbranch_execz .LBB41_106
; %bb.103:
	v_mov_b32_e32 v7, 0
	v_subrev_u32_e32 v6, 29, v0
	v_add_u32_e32 v7, 0x1d8, v7
	s_movk_i32 s10, 0x470
	s_mov_b64 s[2:3], 0
.LBB41_104:                             ; =>This Inner Loop Header: Depth=1
	v_add_u32_e32 v135, -8, v7
	scratch_load_dwordx4 v[136:139], v135, off
	v_mov_b32_e32 v135, s10
	ds_read_b128 v[140:143], v135
	v_add_u32_e32 v6, -1, v6
	s_add_i32 s10, s10, 16
	v_cmp_eq_u32_e32 vcc, 0, v6
	v_add_u32_e32 v7, 16, v7
	s_or_b64 s[2:3], vcc, s[2:3]
	s_waitcnt vmcnt(0) lgkmcnt(0)
	v_mul_f64 v[144:145], v[142:143], v[138:139]
	v_mul_f64 v[138:139], v[140:141], v[138:139]
	v_fma_f64 v[140:141], v[140:141], v[136:137], -v[144:145]
	v_fmac_f64_e32 v[138:139], v[142:143], v[136:137]
	v_add_f64 v[2:3], v[2:3], v[140:141]
	v_add_f64 v[4:5], v[4:5], v[138:139]
	s_andn2_b64 exec, exec, s[2:3]
	s_cbranch_execnz .LBB41_104
; %bb.105:
	s_or_b64 exec, exec, s[2:3]
.LBB41_106:
	s_or_b64 exec, exec, s[8:9]
	v_mov_b32_e32 v6, 0
	ds_read_b128 v[136:139], v6 offset:448
	s_waitcnt lgkmcnt(0)
	v_mul_f64 v[6:7], v[4:5], v[138:139]
	v_mul_f64 v[140:141], v[2:3], v[138:139]
	v_fma_f64 v[138:139], v[2:3], v[136:137], -v[6:7]
	v_fmac_f64_e32 v[140:141], v[4:5], v[136:137]
	scratch_store_dwordx4 off, v[138:141], off offset:448
.LBB41_107:
	s_or_b64 exec, exec, s[4:5]
	scratch_load_dwordx4 v[2:5], v108, off
	v_cmp_lt_u32_e64 s[2:3], 27, v0
	s_waitcnt vmcnt(0)
	ds_write_b128 v9, v[2:5]
	s_waitcnt lgkmcnt(0)
	; wave barrier
	s_waitcnt lgkmcnt(0)
	s_and_saveexec_b64 s[4:5], s[2:3]
	s_cbranch_execz .LBB41_115
; %bb.108:
	ds_read_b128 v[2:5], v9
	s_andn2_b64 vcc, exec, s[6:7]
	s_cbranch_vccnz .LBB41_110
; %bb.109:
	scratch_load_dwordx4 v[136:139], v8, off
	s_waitcnt vmcnt(0) lgkmcnt(0)
	v_mul_f64 v[6:7], v[4:5], v[138:139]
	v_mul_f64 v[138:139], v[2:3], v[138:139]
	v_fmac_f64_e32 v[138:139], v[4:5], v[136:137]
	v_fma_f64 v[2:3], v[2:3], v[136:137], -v[6:7]
	v_mov_b64_e32 v[4:5], v[138:139]
.LBB41_110:
	s_and_saveexec_b64 s[8:9], s[0:1]
	s_cbranch_execz .LBB41_114
; %bb.111:
	v_mov_b32_e32 v7, 0
	v_subrev_u32_e32 v6, 28, v0
	v_add_u32_e32 v7, 0x1c8, v7
	s_movk_i32 s10, 0x460
	s_mov_b64 s[0:1], 0
.LBB41_112:                             ; =>This Inner Loop Header: Depth=1
	v_add_u32_e32 v135, -8, v7
	scratch_load_dwordx4 v[136:139], v135, off
	v_mov_b32_e32 v135, s10
	ds_read_b128 v[140:143], v135
	v_add_u32_e32 v6, -1, v6
	s_add_i32 s10, s10, 16
	v_cmp_eq_u32_e32 vcc, 0, v6
	v_add_u32_e32 v7, 16, v7
	s_or_b64 s[0:1], vcc, s[0:1]
	s_waitcnt vmcnt(0) lgkmcnt(0)
	v_mul_f64 v[144:145], v[142:143], v[138:139]
	v_mul_f64 v[138:139], v[140:141], v[138:139]
	v_fma_f64 v[140:141], v[140:141], v[136:137], -v[144:145]
	v_fmac_f64_e32 v[138:139], v[142:143], v[136:137]
	v_add_f64 v[2:3], v[2:3], v[140:141]
	v_add_f64 v[4:5], v[4:5], v[138:139]
	s_andn2_b64 exec, exec, s[0:1]
	s_cbranch_execnz .LBB41_112
; %bb.113:
	s_or_b64 exec, exec, s[0:1]
.LBB41_114:
	s_or_b64 exec, exec, s[8:9]
	v_mov_b32_e32 v6, 0
	ds_read_b128 v[136:139], v6 offset:432
	s_waitcnt lgkmcnt(0)
	v_mul_f64 v[6:7], v[4:5], v[138:139]
	v_mul_f64 v[140:141], v[2:3], v[138:139]
	v_fma_f64 v[138:139], v[2:3], v[136:137], -v[6:7]
	v_fmac_f64_e32 v[140:141], v[4:5], v[136:137]
	scratch_store_dwordx4 off, v[138:141], off offset:432
.LBB41_115:
	;; [unrolled: 63-line block ×13, first 2 shown]
	s_or_b64 exec, exec, s[4:5]
	scratch_load_dwordx4 v[2:5], v120, off
	v_cmp_lt_u32_e64 s[2:3], 15, v0
	s_waitcnt vmcnt(0)
	ds_write_b128 v9, v[2:5]
	s_waitcnt lgkmcnt(0)
	; wave barrier
	s_waitcnt lgkmcnt(0)
	s_and_saveexec_b64 s[4:5], s[2:3]
	s_cbranch_execz .LBB41_211
; %bb.204:
	ds_read_b128 v[2:5], v9
	s_andn2_b64 vcc, exec, s[6:7]
	s_cbranch_vccnz .LBB41_206
; %bb.205:
	scratch_load_dwordx4 v[136:139], v8, off
	s_waitcnt vmcnt(0) lgkmcnt(0)
	v_mul_f64 v[6:7], v[4:5], v[138:139]
	v_mul_f64 v[138:139], v[2:3], v[138:139]
	v_fmac_f64_e32 v[138:139], v[4:5], v[136:137]
	v_fma_f64 v[2:3], v[2:3], v[136:137], -v[6:7]
	v_mov_b64_e32 v[4:5], v[138:139]
.LBB41_206:
	s_and_saveexec_b64 s[8:9], s[0:1]
	s_cbranch_execz .LBB41_210
; %bb.207:
	v_mov_b32_e32 v7, 0
	v_add_u32_e32 v6, -16, v0
	v_add_u32_e32 v7, 0x108, v7
	s_movk_i32 s10, 0x3a0
	s_mov_b64 s[0:1], 0
.LBB41_208:                             ; =>This Inner Loop Header: Depth=1
	v_add_u32_e32 v135, -8, v7
	scratch_load_dwordx4 v[136:139], v135, off
	v_mov_b32_e32 v135, s10
	ds_read_b128 v[140:143], v135
	v_add_u32_e32 v6, -1, v6
	s_add_i32 s10, s10, 16
	v_cmp_eq_u32_e32 vcc, 0, v6
	v_add_u32_e32 v7, 16, v7
	s_or_b64 s[0:1], vcc, s[0:1]
	s_waitcnt vmcnt(0) lgkmcnt(0)
	v_mul_f64 v[144:145], v[142:143], v[138:139]
	v_mul_f64 v[138:139], v[140:141], v[138:139]
	v_fma_f64 v[140:141], v[140:141], v[136:137], -v[144:145]
	v_fmac_f64_e32 v[138:139], v[142:143], v[136:137]
	v_add_f64 v[2:3], v[2:3], v[140:141]
	v_add_f64 v[4:5], v[4:5], v[138:139]
	s_andn2_b64 exec, exec, s[0:1]
	s_cbranch_execnz .LBB41_208
; %bb.209:
	s_or_b64 exec, exec, s[0:1]
.LBB41_210:
	s_or_b64 exec, exec, s[8:9]
	v_mov_b32_e32 v6, 0
	ds_read_b128 v[136:139], v6 offset:240
	s_waitcnt lgkmcnt(0)
	v_mul_f64 v[6:7], v[4:5], v[138:139]
	v_mul_f64 v[140:141], v[2:3], v[138:139]
	v_fma_f64 v[138:139], v[2:3], v[136:137], -v[6:7]
	v_fmac_f64_e32 v[140:141], v[4:5], v[136:137]
	scratch_store_dwordx4 off, v[138:141], off offset:240
.LBB41_211:
	s_or_b64 exec, exec, s[4:5]
	scratch_load_dwordx4 v[2:5], v121, off
	v_cmp_lt_u32_e64 s[0:1], 14, v0
	s_waitcnt vmcnt(0)
	ds_write_b128 v9, v[2:5]
	s_waitcnt lgkmcnt(0)
	; wave barrier
	s_waitcnt lgkmcnt(0)
	s_and_saveexec_b64 s[4:5], s[0:1]
	s_cbranch_execz .LBB41_219
; %bb.212:
	ds_read_b128 v[2:5], v9
	s_andn2_b64 vcc, exec, s[6:7]
	s_cbranch_vccnz .LBB41_214
; %bb.213:
	scratch_load_dwordx4 v[136:139], v8, off
	s_waitcnt vmcnt(0) lgkmcnt(0)
	v_mul_f64 v[6:7], v[4:5], v[138:139]
	v_mul_f64 v[138:139], v[2:3], v[138:139]
	v_fmac_f64_e32 v[138:139], v[4:5], v[136:137]
	v_fma_f64 v[2:3], v[2:3], v[136:137], -v[6:7]
	v_mov_b64_e32 v[4:5], v[138:139]
.LBB41_214:
	s_and_saveexec_b64 s[8:9], s[2:3]
	s_cbranch_execz .LBB41_218
; %bb.215:
	v_mov_b32_e32 v7, 0
	v_add_u32_e32 v6, -15, v0
	v_add_u32_e32 v7, 0xf8, v7
	s_movk_i32 s10, 0x390
	s_mov_b64 s[2:3], 0
.LBB41_216:                             ; =>This Inner Loop Header: Depth=1
	v_add_u32_e32 v135, -8, v7
	scratch_load_dwordx4 v[136:139], v135, off
	v_mov_b32_e32 v135, s10
	ds_read_b128 v[140:143], v135
	v_add_u32_e32 v6, -1, v6
	s_add_i32 s10, s10, 16
	v_cmp_eq_u32_e32 vcc, 0, v6
	v_add_u32_e32 v7, 16, v7
	s_or_b64 s[2:3], vcc, s[2:3]
	s_waitcnt vmcnt(0) lgkmcnt(0)
	v_mul_f64 v[144:145], v[142:143], v[138:139]
	v_mul_f64 v[138:139], v[140:141], v[138:139]
	v_fma_f64 v[140:141], v[140:141], v[136:137], -v[144:145]
	v_fmac_f64_e32 v[138:139], v[142:143], v[136:137]
	v_add_f64 v[2:3], v[2:3], v[140:141]
	v_add_f64 v[4:5], v[4:5], v[138:139]
	s_andn2_b64 exec, exec, s[2:3]
	s_cbranch_execnz .LBB41_216
; %bb.217:
	s_or_b64 exec, exec, s[2:3]
.LBB41_218:
	s_or_b64 exec, exec, s[8:9]
	v_mov_b32_e32 v6, 0
	ds_read_b128 v[136:139], v6 offset:224
	s_waitcnt lgkmcnt(0)
	v_mul_f64 v[6:7], v[4:5], v[138:139]
	v_mul_f64 v[140:141], v[2:3], v[138:139]
	v_fma_f64 v[138:139], v[2:3], v[136:137], -v[6:7]
	v_fmac_f64_e32 v[140:141], v[4:5], v[136:137]
	scratch_store_dwordx4 off, v[138:141], off offset:224
.LBB41_219:
	;; [unrolled: 63-line block ×15, first 2 shown]
	s_or_b64 exec, exec, s[2:3]
	scratch_load_dwordx4 v[2:5], off, off
	v_cmp_ne_u32_e32 vcc, 0, v0
	s_mov_b64 s[2:3], 0
	s_mov_b64 s[4:5], 0
                                        ; implicit-def: $vgpr6_vgpr7
                                        ; implicit-def: $vgpr135
	s_waitcnt vmcnt(0)
	ds_write_b128 v9, v[2:5]
	s_waitcnt lgkmcnt(0)
	; wave barrier
	s_waitcnt lgkmcnt(0)
	s_and_saveexec_b64 s[8:9], vcc
	s_cbranch_execz .LBB41_331
; %bb.324:
	ds_read_b128 v[2:5], v9
	s_andn2_b64 vcc, exec, s[6:7]
	s_cbranch_vccnz .LBB41_326
; %bb.325:
	scratch_load_dwordx4 v[136:139], v8, off
	s_waitcnt vmcnt(0) lgkmcnt(0)
	v_mul_f64 v[6:7], v[4:5], v[138:139]
	v_mul_f64 v[138:139], v[2:3], v[138:139]
	v_fmac_f64_e32 v[138:139], v[4:5], v[136:137]
	v_fma_f64 v[2:3], v[2:3], v[136:137], -v[6:7]
	v_mov_b64_e32 v[4:5], v[138:139]
.LBB41_326:
	s_and_saveexec_b64 s[4:5], s[0:1]
	s_cbranch_execz .LBB41_330
; %bb.327:
	v_mov_b32_e32 v7, 0
	v_add_u32_e32 v6, -1, v0
	v_add_u32_e32 v7, 24, v7
	s_movk_i32 s10, 0x2b0
	s_mov_b64 s[0:1], 0
.LBB41_328:                             ; =>This Inner Loop Header: Depth=1
	v_add_u32_e32 v135, -8, v7
	scratch_load_dwordx4 v[136:139], v135, off
	v_mov_b32_e32 v135, s10
	ds_read_b128 v[140:143], v135
	v_add_u32_e32 v6, -1, v6
	s_add_i32 s10, s10, 16
	v_cmp_eq_u32_e32 vcc, 0, v6
	v_add_u32_e32 v7, 16, v7
	s_or_b64 s[0:1], vcc, s[0:1]
	s_waitcnt vmcnt(0) lgkmcnt(0)
	v_mul_f64 v[144:145], v[142:143], v[138:139]
	v_mul_f64 v[138:139], v[140:141], v[138:139]
	v_fma_f64 v[140:141], v[140:141], v[136:137], -v[144:145]
	v_fmac_f64_e32 v[138:139], v[142:143], v[136:137]
	v_add_f64 v[2:3], v[2:3], v[140:141]
	v_add_f64 v[4:5], v[4:5], v[138:139]
	s_andn2_b64 exec, exec, s[0:1]
	s_cbranch_execnz .LBB41_328
; %bb.329:
	s_or_b64 exec, exec, s[0:1]
.LBB41_330:
	s_or_b64 exec, exec, s[4:5]
	v_mov_b32_e32 v6, 0
	ds_read_b128 v[136:139], v6
	v_mov_b32_e32 v6, 0
	v_or_b32_e32 v135, 8, v6
	s_mov_b64 s[4:5], exec
	s_waitcnt lgkmcnt(0)
	v_mul_f64 v[140:141], v[4:5], v[138:139]
	v_mul_f64 v[6:7], v[2:3], v[138:139]
	v_fma_f64 v[2:3], v[2:3], v[136:137], -v[140:141]
	v_fmac_f64_e32 v[6:7], v[4:5], v[136:137]
	scratch_store_dwordx2 off, v[2:3], off
.LBB41_331:
	s_or_b64 exec, exec, s[8:9]
	s_and_b64 vcc, exec, s[2:3]
	s_cbranch_vccnz .LBB41_333
	s_branch .LBB41_656
.LBB41_332:
	s_mov_b64 s[4:5], 0
                                        ; implicit-def: $vgpr6_vgpr7
                                        ; implicit-def: $vgpr135
	s_cbranch_execz .LBB41_656
.LBB41_333:
	scratch_load_dwordx4 v[2:5], v134, off
	v_cndmask_b32_e64 v6, 0, 1, s[6:7]
	v_cmp_eq_u32_e64 s[2:3], 0, v0
	v_cmp_ne_u32_e64 s[0:1], 1, v6
	s_waitcnt vmcnt(0)
	ds_write_b128 v9, v[2:5]
	s_waitcnt lgkmcnt(0)
	; wave barrier
	s_waitcnt lgkmcnt(0)
	s_and_saveexec_b64 s[6:7], s[2:3]
	s_cbranch_execz .LBB41_337
; %bb.334:
	ds_read_b128 v[2:5], v9
	s_and_b64 vcc, exec, s[0:1]
	s_cbranch_vccnz .LBB41_336
; %bb.335:
	scratch_load_dwordx4 v[136:139], v8, off
	s_waitcnt vmcnt(0) lgkmcnt(0)
	v_mul_f64 v[6:7], v[4:5], v[138:139]
	v_mul_f64 v[138:139], v[2:3], v[138:139]
	v_fmac_f64_e32 v[138:139], v[4:5], v[136:137]
	v_fma_f64 v[2:3], v[2:3], v[136:137], -v[6:7]
	v_mov_b64_e32 v[4:5], v[138:139]
.LBB41_336:
	v_mov_b32_e32 v6, 0
	ds_read_b128 v[136:139], v6 offset:16
	s_waitcnt lgkmcnt(0)
	v_mul_f64 v[6:7], v[4:5], v[138:139]
	v_mul_f64 v[140:141], v[2:3], v[138:139]
	v_fma_f64 v[138:139], v[2:3], v[136:137], -v[6:7]
	v_fmac_f64_e32 v[140:141], v[4:5], v[136:137]
	scratch_store_dwordx4 off, v[138:141], off offset:16
.LBB41_337:
	s_or_b64 exec, exec, s[6:7]
	scratch_load_dwordx4 v[2:5], v133, off
	v_cmp_gt_u32_e32 vcc, 2, v0
	s_waitcnt vmcnt(0)
	ds_write_b128 v9, v[2:5]
	s_waitcnt lgkmcnt(0)
	; wave barrier
	s_waitcnt lgkmcnt(0)
	s_and_saveexec_b64 s[6:7], vcc
	s_cbranch_execz .LBB41_343
; %bb.338:
	ds_read_b128 v[2:5], v9
	s_and_b64 vcc, exec, s[0:1]
	s_cbranch_vccnz .LBB41_340
; %bb.339:
	scratch_load_dwordx4 v[136:139], v8, off
	s_waitcnt vmcnt(0) lgkmcnt(0)
	v_mul_f64 v[6:7], v[4:5], v[138:139]
	v_mul_f64 v[138:139], v[2:3], v[138:139]
	v_fmac_f64_e32 v[138:139], v[4:5], v[136:137]
	v_fma_f64 v[2:3], v[2:3], v[136:137], -v[6:7]
	v_mov_b64_e32 v[4:5], v[138:139]
.LBB41_340:
	s_and_saveexec_b64 s[8:9], s[2:3]
	s_cbranch_execz .LBB41_342
; %bb.341:
	scratch_load_dwordx4 v[136:139], v8, off offset:16
	ds_read_b128 v[140:143], v9 offset:16
	s_waitcnt vmcnt(0) lgkmcnt(0)
	v_mul_f64 v[6:7], v[142:143], v[138:139]
	v_mul_f64 v[138:139], v[140:141], v[138:139]
	v_fma_f64 v[6:7], v[140:141], v[136:137], -v[6:7]
	v_fmac_f64_e32 v[138:139], v[142:143], v[136:137]
	v_add_f64 v[2:3], v[2:3], v[6:7]
	v_add_f64 v[4:5], v[4:5], v[138:139]
.LBB41_342:
	s_or_b64 exec, exec, s[8:9]
	v_mov_b32_e32 v6, 0
	ds_read_b128 v[136:139], v6 offset:32
	s_waitcnt lgkmcnt(0)
	v_mul_f64 v[6:7], v[4:5], v[138:139]
	v_mul_f64 v[140:141], v[2:3], v[138:139]
	v_fma_f64 v[138:139], v[2:3], v[136:137], -v[6:7]
	v_fmac_f64_e32 v[140:141], v[4:5], v[136:137]
	scratch_store_dwordx4 off, v[138:141], off offset:32
.LBB41_343:
	s_or_b64 exec, exec, s[6:7]
	scratch_load_dwordx4 v[2:5], v132, off
	v_cmp_gt_u32_e32 vcc, 3, v0
	s_waitcnt vmcnt(0)
	ds_write_b128 v9, v[2:5]
	s_waitcnt lgkmcnt(0)
	; wave barrier
	s_waitcnt lgkmcnt(0)
	s_and_saveexec_b64 s[6:7], vcc
	s_cbranch_execz .LBB41_351
; %bb.344:
	ds_read_b128 v[2:5], v9
	s_and_b64 vcc, exec, s[0:1]
	s_cbranch_vccnz .LBB41_346
; %bb.345:
	scratch_load_dwordx4 v[136:139], v8, off
	s_waitcnt vmcnt(0) lgkmcnt(0)
	v_mul_f64 v[6:7], v[4:5], v[138:139]
	v_mul_f64 v[138:139], v[2:3], v[138:139]
	v_fmac_f64_e32 v[138:139], v[4:5], v[136:137]
	v_fma_f64 v[2:3], v[2:3], v[136:137], -v[6:7]
	v_mov_b64_e32 v[4:5], v[138:139]
.LBB41_346:
	v_cmp_ne_u32_e32 vcc, 2, v0
	s_and_saveexec_b64 s[8:9], vcc
	s_cbranch_execz .LBB41_350
; %bb.347:
	scratch_load_dwordx4 v[136:139], v8, off offset:16
	ds_read_b128 v[140:143], v9 offset:16
	s_waitcnt vmcnt(0) lgkmcnt(0)
	v_mul_f64 v[6:7], v[142:143], v[138:139]
	v_mul_f64 v[138:139], v[140:141], v[138:139]
	v_fma_f64 v[6:7], v[140:141], v[136:137], -v[6:7]
	v_fmac_f64_e32 v[138:139], v[142:143], v[136:137]
	v_add_f64 v[2:3], v[2:3], v[6:7]
	v_add_f64 v[4:5], v[4:5], v[138:139]
	s_and_saveexec_b64 s[10:11], s[2:3]
	s_cbranch_execz .LBB41_349
; %bb.348:
	scratch_load_dwordx4 v[136:139], off, off offset:32
	v_mov_b32_e32 v6, 0
	ds_read_b128 v[140:143], v6 offset:704
	s_waitcnt vmcnt(0) lgkmcnt(0)
	v_mul_f64 v[6:7], v[140:141], v[138:139]
	v_mul_f64 v[138:139], v[142:143], v[138:139]
	v_fmac_f64_e32 v[6:7], v[142:143], v[136:137]
	v_fma_f64 v[136:137], v[140:141], v[136:137], -v[138:139]
	v_add_f64 v[4:5], v[4:5], v[6:7]
	v_add_f64 v[2:3], v[2:3], v[136:137]
.LBB41_349:
	s_or_b64 exec, exec, s[10:11]
.LBB41_350:
	s_or_b64 exec, exec, s[8:9]
	v_mov_b32_e32 v6, 0
	ds_read_b128 v[136:139], v6 offset:48
	s_waitcnt lgkmcnt(0)
	v_mul_f64 v[6:7], v[4:5], v[138:139]
	v_mul_f64 v[140:141], v[2:3], v[138:139]
	v_fma_f64 v[138:139], v[2:3], v[136:137], -v[6:7]
	v_fmac_f64_e32 v[140:141], v[4:5], v[136:137]
	scratch_store_dwordx4 off, v[138:141], off offset:48
.LBB41_351:
	s_or_b64 exec, exec, s[6:7]
	scratch_load_dwordx4 v[2:5], v131, off
	v_cmp_gt_u32_e32 vcc, 4, v0
	s_waitcnt vmcnt(0)
	ds_write_b128 v9, v[2:5]
	s_waitcnt lgkmcnt(0)
	; wave barrier
	s_waitcnt lgkmcnt(0)
	s_and_saveexec_b64 s[2:3], vcc
	s_cbranch_execz .LBB41_359
; %bb.352:
	ds_read_b128 v[2:5], v9
	s_and_b64 vcc, exec, s[0:1]
	s_cbranch_vccnz .LBB41_354
; %bb.353:
	scratch_load_dwordx4 v[136:139], v8, off
	s_waitcnt vmcnt(0) lgkmcnt(0)
	v_mul_f64 v[6:7], v[4:5], v[138:139]
	v_mul_f64 v[138:139], v[2:3], v[138:139]
	v_fmac_f64_e32 v[138:139], v[4:5], v[136:137]
	v_fma_f64 v[2:3], v[2:3], v[136:137], -v[6:7]
	v_mov_b64_e32 v[4:5], v[138:139]
.LBB41_354:
	v_cmp_ne_u32_e32 vcc, 3, v0
	s_and_saveexec_b64 s[6:7], vcc
	s_cbranch_execz .LBB41_358
; %bb.355:
	v_mov_b32_e32 v7, 0
	v_add_u32_e32 v6, 0x2b0, v64
	v_add3_u32 v7, v64, v7, 24
	s_mov_b64 s[8:9], 0
	v_mov_b32_e32 v135, v0
.LBB41_356:                             ; =>This Inner Loop Header: Depth=1
	v_add_u32_e32 v136, -8, v7
	scratch_load_dwordx4 v[136:139], v136, off
	ds_read_b128 v[140:143], v6
	v_add_u32_e32 v135, 1, v135
	v_cmp_lt_u32_e32 vcc, 2, v135
	v_add_u32_e32 v6, 16, v6
	v_add_u32_e32 v7, 16, v7
	s_or_b64 s[8:9], vcc, s[8:9]
	s_waitcnt vmcnt(0) lgkmcnt(0)
	v_mul_f64 v[144:145], v[142:143], v[138:139]
	v_mul_f64 v[138:139], v[140:141], v[138:139]
	v_fma_f64 v[140:141], v[140:141], v[136:137], -v[144:145]
	v_fmac_f64_e32 v[138:139], v[142:143], v[136:137]
	v_add_f64 v[2:3], v[2:3], v[140:141]
	v_add_f64 v[4:5], v[4:5], v[138:139]
	s_andn2_b64 exec, exec, s[8:9]
	s_cbranch_execnz .LBB41_356
; %bb.357:
	s_or_b64 exec, exec, s[8:9]
.LBB41_358:
	s_or_b64 exec, exec, s[6:7]
	v_mov_b32_e32 v6, 0
	ds_read_b128 v[136:139], v6 offset:64
	s_waitcnt lgkmcnt(0)
	v_mul_f64 v[6:7], v[4:5], v[138:139]
	v_mul_f64 v[140:141], v[2:3], v[138:139]
	v_fma_f64 v[138:139], v[2:3], v[136:137], -v[6:7]
	v_fmac_f64_e32 v[140:141], v[4:5], v[136:137]
	scratch_store_dwordx4 off, v[138:141], off offset:64
.LBB41_359:
	s_or_b64 exec, exec, s[2:3]
	scratch_load_dwordx4 v[2:5], v130, off
	v_cmp_gt_u32_e32 vcc, 5, v0
	s_waitcnt vmcnt(0)
	ds_write_b128 v9, v[2:5]
	s_waitcnt lgkmcnt(0)
	; wave barrier
	s_waitcnt lgkmcnt(0)
	s_and_saveexec_b64 s[2:3], vcc
	s_cbranch_execz .LBB41_367
; %bb.360:
	ds_read_b128 v[2:5], v9
	s_and_b64 vcc, exec, s[0:1]
	s_cbranch_vccnz .LBB41_362
; %bb.361:
	scratch_load_dwordx4 v[136:139], v8, off
	s_waitcnt vmcnt(0) lgkmcnt(0)
	v_mul_f64 v[6:7], v[4:5], v[138:139]
	v_mul_f64 v[138:139], v[2:3], v[138:139]
	v_fmac_f64_e32 v[138:139], v[4:5], v[136:137]
	v_fma_f64 v[2:3], v[2:3], v[136:137], -v[6:7]
	v_mov_b64_e32 v[4:5], v[138:139]
.LBB41_362:
	v_cmp_ne_u32_e32 vcc, 4, v0
	s_and_saveexec_b64 s[6:7], vcc
	s_cbranch_execz .LBB41_366
; %bb.363:
	v_mov_b32_e32 v7, 0
	v_add_u32_e32 v6, 0x2b0, v64
	v_add3_u32 v7, v64, v7, 24
	s_mov_b64 s[8:9], 0
	v_mov_b32_e32 v135, v0
.LBB41_364:                             ; =>This Inner Loop Header: Depth=1
	v_add_u32_e32 v136, -8, v7
	scratch_load_dwordx4 v[136:139], v136, off
	ds_read_b128 v[140:143], v6
	v_add_u32_e32 v135, 1, v135
	v_cmp_lt_u32_e32 vcc, 3, v135
	v_add_u32_e32 v6, 16, v6
	v_add_u32_e32 v7, 16, v7
	s_or_b64 s[8:9], vcc, s[8:9]
	s_waitcnt vmcnt(0) lgkmcnt(0)
	v_mul_f64 v[144:145], v[142:143], v[138:139]
	v_mul_f64 v[138:139], v[140:141], v[138:139]
	v_fma_f64 v[140:141], v[140:141], v[136:137], -v[144:145]
	v_fmac_f64_e32 v[138:139], v[142:143], v[136:137]
	v_add_f64 v[2:3], v[2:3], v[140:141]
	v_add_f64 v[4:5], v[4:5], v[138:139]
	s_andn2_b64 exec, exec, s[8:9]
	s_cbranch_execnz .LBB41_364
; %bb.365:
	s_or_b64 exec, exec, s[8:9]
.LBB41_366:
	s_or_b64 exec, exec, s[6:7]
	v_mov_b32_e32 v6, 0
	ds_read_b128 v[136:139], v6 offset:80
	s_waitcnt lgkmcnt(0)
	v_mul_f64 v[6:7], v[4:5], v[138:139]
	v_mul_f64 v[140:141], v[2:3], v[138:139]
	v_fma_f64 v[138:139], v[2:3], v[136:137], -v[6:7]
	v_fmac_f64_e32 v[140:141], v[4:5], v[136:137]
	scratch_store_dwordx4 off, v[138:141], off offset:80
.LBB41_367:
	s_or_b64 exec, exec, s[2:3]
	scratch_load_dwordx4 v[2:5], v129, off
	v_cmp_gt_u32_e32 vcc, 6, v0
	s_waitcnt vmcnt(0)
	ds_write_b128 v9, v[2:5]
	s_waitcnt lgkmcnt(0)
	; wave barrier
	s_waitcnt lgkmcnt(0)
	s_and_saveexec_b64 s[2:3], vcc
	s_cbranch_execz .LBB41_375
; %bb.368:
	ds_read_b128 v[2:5], v9
	s_and_b64 vcc, exec, s[0:1]
	s_cbranch_vccnz .LBB41_370
; %bb.369:
	scratch_load_dwordx4 v[136:139], v8, off
	s_waitcnt vmcnt(0) lgkmcnt(0)
	v_mul_f64 v[6:7], v[4:5], v[138:139]
	v_mul_f64 v[138:139], v[2:3], v[138:139]
	v_fmac_f64_e32 v[138:139], v[4:5], v[136:137]
	v_fma_f64 v[2:3], v[2:3], v[136:137], -v[6:7]
	v_mov_b64_e32 v[4:5], v[138:139]
.LBB41_370:
	v_cmp_ne_u32_e32 vcc, 5, v0
	s_and_saveexec_b64 s[6:7], vcc
	s_cbranch_execz .LBB41_374
; %bb.371:
	v_mov_b32_e32 v7, 0
	v_add_u32_e32 v6, 0x2b0, v64
	v_add3_u32 v7, v64, v7, 24
	s_mov_b64 s[8:9], 0
	v_mov_b32_e32 v135, v0
.LBB41_372:                             ; =>This Inner Loop Header: Depth=1
	v_add_u32_e32 v136, -8, v7
	scratch_load_dwordx4 v[136:139], v136, off
	ds_read_b128 v[140:143], v6
	v_add_u32_e32 v135, 1, v135
	v_cmp_lt_u32_e32 vcc, 4, v135
	v_add_u32_e32 v6, 16, v6
	v_add_u32_e32 v7, 16, v7
	s_or_b64 s[8:9], vcc, s[8:9]
	s_waitcnt vmcnt(0) lgkmcnt(0)
	v_mul_f64 v[144:145], v[142:143], v[138:139]
	v_mul_f64 v[138:139], v[140:141], v[138:139]
	v_fma_f64 v[140:141], v[140:141], v[136:137], -v[144:145]
	v_fmac_f64_e32 v[138:139], v[142:143], v[136:137]
	v_add_f64 v[2:3], v[2:3], v[140:141]
	v_add_f64 v[4:5], v[4:5], v[138:139]
	s_andn2_b64 exec, exec, s[8:9]
	s_cbranch_execnz .LBB41_372
; %bb.373:
	s_or_b64 exec, exec, s[8:9]
.LBB41_374:
	s_or_b64 exec, exec, s[6:7]
	v_mov_b32_e32 v6, 0
	ds_read_b128 v[136:139], v6 offset:96
	s_waitcnt lgkmcnt(0)
	v_mul_f64 v[6:7], v[4:5], v[138:139]
	v_mul_f64 v[140:141], v[2:3], v[138:139]
	v_fma_f64 v[138:139], v[2:3], v[136:137], -v[6:7]
	v_fmac_f64_e32 v[140:141], v[4:5], v[136:137]
	scratch_store_dwordx4 off, v[138:141], off offset:96
.LBB41_375:
	s_or_b64 exec, exec, s[2:3]
	scratch_load_dwordx4 v[2:5], v128, off
	v_cmp_gt_u32_e32 vcc, 7, v0
	s_waitcnt vmcnt(0)
	ds_write_b128 v9, v[2:5]
	s_waitcnt lgkmcnt(0)
	; wave barrier
	s_waitcnt lgkmcnt(0)
	s_and_saveexec_b64 s[2:3], vcc
	s_cbranch_execz .LBB41_383
; %bb.376:
	ds_read_b128 v[2:5], v9
	s_and_b64 vcc, exec, s[0:1]
	s_cbranch_vccnz .LBB41_378
; %bb.377:
	scratch_load_dwordx4 v[136:139], v8, off
	s_waitcnt vmcnt(0) lgkmcnt(0)
	v_mul_f64 v[6:7], v[4:5], v[138:139]
	v_mul_f64 v[138:139], v[2:3], v[138:139]
	v_fmac_f64_e32 v[138:139], v[4:5], v[136:137]
	v_fma_f64 v[2:3], v[2:3], v[136:137], -v[6:7]
	v_mov_b64_e32 v[4:5], v[138:139]
.LBB41_378:
	v_cmp_ne_u32_e32 vcc, 6, v0
	s_and_saveexec_b64 s[6:7], vcc
	s_cbranch_execz .LBB41_382
; %bb.379:
	v_mov_b32_e32 v7, 0
	v_add_u32_e32 v6, 0x2b0, v64
	v_add3_u32 v7, v64, v7, 24
	s_mov_b64 s[8:9], 0
	v_mov_b32_e32 v135, v0
.LBB41_380:                             ; =>This Inner Loop Header: Depth=1
	v_add_u32_e32 v136, -8, v7
	scratch_load_dwordx4 v[136:139], v136, off
	ds_read_b128 v[140:143], v6
	v_add_u32_e32 v135, 1, v135
	v_cmp_lt_u32_e32 vcc, 5, v135
	v_add_u32_e32 v6, 16, v6
	v_add_u32_e32 v7, 16, v7
	s_or_b64 s[8:9], vcc, s[8:9]
	s_waitcnt vmcnt(0) lgkmcnt(0)
	v_mul_f64 v[144:145], v[142:143], v[138:139]
	v_mul_f64 v[138:139], v[140:141], v[138:139]
	v_fma_f64 v[140:141], v[140:141], v[136:137], -v[144:145]
	v_fmac_f64_e32 v[138:139], v[142:143], v[136:137]
	v_add_f64 v[2:3], v[2:3], v[140:141]
	v_add_f64 v[4:5], v[4:5], v[138:139]
	s_andn2_b64 exec, exec, s[8:9]
	s_cbranch_execnz .LBB41_380
; %bb.381:
	s_or_b64 exec, exec, s[8:9]
.LBB41_382:
	s_or_b64 exec, exec, s[6:7]
	v_mov_b32_e32 v6, 0
	ds_read_b128 v[136:139], v6 offset:112
	s_waitcnt lgkmcnt(0)
	v_mul_f64 v[6:7], v[4:5], v[138:139]
	v_mul_f64 v[140:141], v[2:3], v[138:139]
	v_fma_f64 v[138:139], v[2:3], v[136:137], -v[6:7]
	v_fmac_f64_e32 v[140:141], v[4:5], v[136:137]
	scratch_store_dwordx4 off, v[138:141], off offset:112
.LBB41_383:
	s_or_b64 exec, exec, s[2:3]
	scratch_load_dwordx4 v[2:5], v127, off
	v_cmp_gt_u32_e32 vcc, 8, v0
	s_waitcnt vmcnt(0)
	ds_write_b128 v9, v[2:5]
	s_waitcnt lgkmcnt(0)
	; wave barrier
	s_waitcnt lgkmcnt(0)
	s_and_saveexec_b64 s[2:3], vcc
	s_cbranch_execz .LBB41_391
; %bb.384:
	ds_read_b128 v[2:5], v9
	s_and_b64 vcc, exec, s[0:1]
	s_cbranch_vccnz .LBB41_386
; %bb.385:
	scratch_load_dwordx4 v[136:139], v8, off
	s_waitcnt vmcnt(0) lgkmcnt(0)
	v_mul_f64 v[6:7], v[4:5], v[138:139]
	v_mul_f64 v[138:139], v[2:3], v[138:139]
	v_fmac_f64_e32 v[138:139], v[4:5], v[136:137]
	v_fma_f64 v[2:3], v[2:3], v[136:137], -v[6:7]
	v_mov_b64_e32 v[4:5], v[138:139]
.LBB41_386:
	v_cmp_ne_u32_e32 vcc, 7, v0
	s_and_saveexec_b64 s[6:7], vcc
	s_cbranch_execz .LBB41_390
; %bb.387:
	v_mov_b32_e32 v7, 0
	v_add_u32_e32 v6, 0x2b0, v64
	v_add3_u32 v7, v64, v7, 24
	s_mov_b64 s[8:9], 0
	v_mov_b32_e32 v135, v0
.LBB41_388:                             ; =>This Inner Loop Header: Depth=1
	v_add_u32_e32 v136, -8, v7
	scratch_load_dwordx4 v[136:139], v136, off
	ds_read_b128 v[140:143], v6
	v_add_u32_e32 v135, 1, v135
	v_cmp_lt_u32_e32 vcc, 6, v135
	v_add_u32_e32 v6, 16, v6
	v_add_u32_e32 v7, 16, v7
	s_or_b64 s[8:9], vcc, s[8:9]
	s_waitcnt vmcnt(0) lgkmcnt(0)
	v_mul_f64 v[144:145], v[142:143], v[138:139]
	v_mul_f64 v[138:139], v[140:141], v[138:139]
	v_fma_f64 v[140:141], v[140:141], v[136:137], -v[144:145]
	v_fmac_f64_e32 v[138:139], v[142:143], v[136:137]
	v_add_f64 v[2:3], v[2:3], v[140:141]
	v_add_f64 v[4:5], v[4:5], v[138:139]
	s_andn2_b64 exec, exec, s[8:9]
	s_cbranch_execnz .LBB41_388
; %bb.389:
	s_or_b64 exec, exec, s[8:9]
.LBB41_390:
	s_or_b64 exec, exec, s[6:7]
	v_mov_b32_e32 v6, 0
	ds_read_b128 v[136:139], v6 offset:128
	s_waitcnt lgkmcnt(0)
	v_mul_f64 v[6:7], v[4:5], v[138:139]
	v_mul_f64 v[140:141], v[2:3], v[138:139]
	v_fma_f64 v[138:139], v[2:3], v[136:137], -v[6:7]
	v_fmac_f64_e32 v[140:141], v[4:5], v[136:137]
	scratch_store_dwordx4 off, v[138:141], off offset:128
.LBB41_391:
	s_or_b64 exec, exec, s[2:3]
	scratch_load_dwordx4 v[2:5], v126, off
	v_cmp_gt_u32_e32 vcc, 9, v0
	s_waitcnt vmcnt(0)
	ds_write_b128 v9, v[2:5]
	s_waitcnt lgkmcnt(0)
	; wave barrier
	s_waitcnt lgkmcnt(0)
	s_and_saveexec_b64 s[2:3], vcc
	s_cbranch_execz .LBB41_399
; %bb.392:
	ds_read_b128 v[2:5], v9
	s_and_b64 vcc, exec, s[0:1]
	s_cbranch_vccnz .LBB41_394
; %bb.393:
	scratch_load_dwordx4 v[136:139], v8, off
	s_waitcnt vmcnt(0) lgkmcnt(0)
	v_mul_f64 v[6:7], v[4:5], v[138:139]
	v_mul_f64 v[138:139], v[2:3], v[138:139]
	v_fmac_f64_e32 v[138:139], v[4:5], v[136:137]
	v_fma_f64 v[2:3], v[2:3], v[136:137], -v[6:7]
	v_mov_b64_e32 v[4:5], v[138:139]
.LBB41_394:
	v_cmp_ne_u32_e32 vcc, 8, v0
	s_and_saveexec_b64 s[6:7], vcc
	s_cbranch_execz .LBB41_398
; %bb.395:
	v_mov_b32_e32 v7, 0
	v_add_u32_e32 v6, 0x2b0, v64
	v_add3_u32 v7, v64, v7, 24
	s_mov_b64 s[8:9], 0
	v_mov_b32_e32 v135, v0
.LBB41_396:                             ; =>This Inner Loop Header: Depth=1
	v_add_u32_e32 v136, -8, v7
	scratch_load_dwordx4 v[136:139], v136, off
	ds_read_b128 v[140:143], v6
	v_add_u32_e32 v135, 1, v135
	v_cmp_lt_u32_e32 vcc, 7, v135
	v_add_u32_e32 v6, 16, v6
	v_add_u32_e32 v7, 16, v7
	s_or_b64 s[8:9], vcc, s[8:9]
	s_waitcnt vmcnt(0) lgkmcnt(0)
	v_mul_f64 v[144:145], v[142:143], v[138:139]
	v_mul_f64 v[138:139], v[140:141], v[138:139]
	v_fma_f64 v[140:141], v[140:141], v[136:137], -v[144:145]
	v_fmac_f64_e32 v[138:139], v[142:143], v[136:137]
	v_add_f64 v[2:3], v[2:3], v[140:141]
	v_add_f64 v[4:5], v[4:5], v[138:139]
	s_andn2_b64 exec, exec, s[8:9]
	s_cbranch_execnz .LBB41_396
; %bb.397:
	s_or_b64 exec, exec, s[8:9]
.LBB41_398:
	s_or_b64 exec, exec, s[6:7]
	v_mov_b32_e32 v6, 0
	ds_read_b128 v[136:139], v6 offset:144
	s_waitcnt lgkmcnt(0)
	v_mul_f64 v[6:7], v[4:5], v[138:139]
	v_mul_f64 v[140:141], v[2:3], v[138:139]
	v_fma_f64 v[138:139], v[2:3], v[136:137], -v[6:7]
	v_fmac_f64_e32 v[140:141], v[4:5], v[136:137]
	scratch_store_dwordx4 off, v[138:141], off offset:144
.LBB41_399:
	s_or_b64 exec, exec, s[2:3]
	scratch_load_dwordx4 v[2:5], v125, off
	v_cmp_gt_u32_e32 vcc, 10, v0
	s_waitcnt vmcnt(0)
	ds_write_b128 v9, v[2:5]
	s_waitcnt lgkmcnt(0)
	; wave barrier
	s_waitcnt lgkmcnt(0)
	s_and_saveexec_b64 s[2:3], vcc
	s_cbranch_execz .LBB41_407
; %bb.400:
	ds_read_b128 v[2:5], v9
	s_and_b64 vcc, exec, s[0:1]
	s_cbranch_vccnz .LBB41_402
; %bb.401:
	scratch_load_dwordx4 v[136:139], v8, off
	s_waitcnt vmcnt(0) lgkmcnt(0)
	v_mul_f64 v[6:7], v[4:5], v[138:139]
	v_mul_f64 v[138:139], v[2:3], v[138:139]
	v_fmac_f64_e32 v[138:139], v[4:5], v[136:137]
	v_fma_f64 v[2:3], v[2:3], v[136:137], -v[6:7]
	v_mov_b64_e32 v[4:5], v[138:139]
.LBB41_402:
	v_cmp_ne_u32_e32 vcc, 9, v0
	s_and_saveexec_b64 s[6:7], vcc
	s_cbranch_execz .LBB41_406
; %bb.403:
	v_mov_b32_e32 v7, 0
	v_add_u32_e32 v6, 0x2b0, v64
	v_add3_u32 v7, v64, v7, 24
	s_mov_b64 s[8:9], 0
	v_mov_b32_e32 v135, v0
.LBB41_404:                             ; =>This Inner Loop Header: Depth=1
	v_add_u32_e32 v136, -8, v7
	scratch_load_dwordx4 v[136:139], v136, off
	ds_read_b128 v[140:143], v6
	v_add_u32_e32 v135, 1, v135
	v_cmp_lt_u32_e32 vcc, 8, v135
	v_add_u32_e32 v6, 16, v6
	v_add_u32_e32 v7, 16, v7
	s_or_b64 s[8:9], vcc, s[8:9]
	s_waitcnt vmcnt(0) lgkmcnt(0)
	v_mul_f64 v[144:145], v[142:143], v[138:139]
	v_mul_f64 v[138:139], v[140:141], v[138:139]
	v_fma_f64 v[140:141], v[140:141], v[136:137], -v[144:145]
	v_fmac_f64_e32 v[138:139], v[142:143], v[136:137]
	v_add_f64 v[2:3], v[2:3], v[140:141]
	v_add_f64 v[4:5], v[4:5], v[138:139]
	s_andn2_b64 exec, exec, s[8:9]
	s_cbranch_execnz .LBB41_404
; %bb.405:
	s_or_b64 exec, exec, s[8:9]
.LBB41_406:
	s_or_b64 exec, exec, s[6:7]
	v_mov_b32_e32 v6, 0
	ds_read_b128 v[136:139], v6 offset:160
	s_waitcnt lgkmcnt(0)
	v_mul_f64 v[6:7], v[4:5], v[138:139]
	v_mul_f64 v[140:141], v[2:3], v[138:139]
	v_fma_f64 v[138:139], v[2:3], v[136:137], -v[6:7]
	v_fmac_f64_e32 v[140:141], v[4:5], v[136:137]
	scratch_store_dwordx4 off, v[138:141], off offset:160
.LBB41_407:
	s_or_b64 exec, exec, s[2:3]
	scratch_load_dwordx4 v[2:5], v124, off
	v_cmp_gt_u32_e32 vcc, 11, v0
	s_waitcnt vmcnt(0)
	ds_write_b128 v9, v[2:5]
	s_waitcnt lgkmcnt(0)
	; wave barrier
	s_waitcnt lgkmcnt(0)
	s_and_saveexec_b64 s[2:3], vcc
	s_cbranch_execz .LBB41_415
; %bb.408:
	ds_read_b128 v[2:5], v9
	s_and_b64 vcc, exec, s[0:1]
	s_cbranch_vccnz .LBB41_410
; %bb.409:
	scratch_load_dwordx4 v[136:139], v8, off
	s_waitcnt vmcnt(0) lgkmcnt(0)
	v_mul_f64 v[6:7], v[4:5], v[138:139]
	v_mul_f64 v[138:139], v[2:3], v[138:139]
	v_fmac_f64_e32 v[138:139], v[4:5], v[136:137]
	v_fma_f64 v[2:3], v[2:3], v[136:137], -v[6:7]
	v_mov_b64_e32 v[4:5], v[138:139]
.LBB41_410:
	v_cmp_ne_u32_e32 vcc, 10, v0
	s_and_saveexec_b64 s[6:7], vcc
	s_cbranch_execz .LBB41_414
; %bb.411:
	v_mov_b32_e32 v7, 0
	v_add_u32_e32 v6, 0x2b0, v64
	v_add3_u32 v7, v64, v7, 24
	s_mov_b64 s[8:9], 0
	v_mov_b32_e32 v135, v0
.LBB41_412:                             ; =>This Inner Loop Header: Depth=1
	v_add_u32_e32 v136, -8, v7
	scratch_load_dwordx4 v[136:139], v136, off
	ds_read_b128 v[140:143], v6
	v_add_u32_e32 v135, 1, v135
	v_cmp_lt_u32_e32 vcc, 9, v135
	v_add_u32_e32 v6, 16, v6
	v_add_u32_e32 v7, 16, v7
	s_or_b64 s[8:9], vcc, s[8:9]
	s_waitcnt vmcnt(0) lgkmcnt(0)
	v_mul_f64 v[144:145], v[142:143], v[138:139]
	v_mul_f64 v[138:139], v[140:141], v[138:139]
	v_fma_f64 v[140:141], v[140:141], v[136:137], -v[144:145]
	v_fmac_f64_e32 v[138:139], v[142:143], v[136:137]
	v_add_f64 v[2:3], v[2:3], v[140:141]
	v_add_f64 v[4:5], v[4:5], v[138:139]
	s_andn2_b64 exec, exec, s[8:9]
	s_cbranch_execnz .LBB41_412
; %bb.413:
	s_or_b64 exec, exec, s[8:9]
.LBB41_414:
	s_or_b64 exec, exec, s[6:7]
	v_mov_b32_e32 v6, 0
	ds_read_b128 v[136:139], v6 offset:176
	s_waitcnt lgkmcnt(0)
	v_mul_f64 v[6:7], v[4:5], v[138:139]
	v_mul_f64 v[140:141], v[2:3], v[138:139]
	v_fma_f64 v[138:139], v[2:3], v[136:137], -v[6:7]
	v_fmac_f64_e32 v[140:141], v[4:5], v[136:137]
	scratch_store_dwordx4 off, v[138:141], off offset:176
.LBB41_415:
	s_or_b64 exec, exec, s[2:3]
	scratch_load_dwordx4 v[2:5], v123, off
	v_cmp_gt_u32_e32 vcc, 12, v0
	s_waitcnt vmcnt(0)
	ds_write_b128 v9, v[2:5]
	s_waitcnt lgkmcnt(0)
	; wave barrier
	s_waitcnt lgkmcnt(0)
	s_and_saveexec_b64 s[2:3], vcc
	s_cbranch_execz .LBB41_423
; %bb.416:
	ds_read_b128 v[2:5], v9
	s_and_b64 vcc, exec, s[0:1]
	s_cbranch_vccnz .LBB41_418
; %bb.417:
	scratch_load_dwordx4 v[136:139], v8, off
	s_waitcnt vmcnt(0) lgkmcnt(0)
	v_mul_f64 v[6:7], v[4:5], v[138:139]
	v_mul_f64 v[138:139], v[2:3], v[138:139]
	v_fmac_f64_e32 v[138:139], v[4:5], v[136:137]
	v_fma_f64 v[2:3], v[2:3], v[136:137], -v[6:7]
	v_mov_b64_e32 v[4:5], v[138:139]
.LBB41_418:
	v_cmp_ne_u32_e32 vcc, 11, v0
	s_and_saveexec_b64 s[6:7], vcc
	s_cbranch_execz .LBB41_422
; %bb.419:
	v_mov_b32_e32 v7, 0
	v_add_u32_e32 v6, 0x2b0, v64
	v_add3_u32 v7, v64, v7, 24
	s_mov_b64 s[8:9], 0
	v_mov_b32_e32 v135, v0
.LBB41_420:                             ; =>This Inner Loop Header: Depth=1
	v_add_u32_e32 v136, -8, v7
	scratch_load_dwordx4 v[136:139], v136, off
	ds_read_b128 v[140:143], v6
	v_add_u32_e32 v135, 1, v135
	v_cmp_lt_u32_e32 vcc, 10, v135
	v_add_u32_e32 v6, 16, v6
	v_add_u32_e32 v7, 16, v7
	s_or_b64 s[8:9], vcc, s[8:9]
	s_waitcnt vmcnt(0) lgkmcnt(0)
	v_mul_f64 v[144:145], v[142:143], v[138:139]
	v_mul_f64 v[138:139], v[140:141], v[138:139]
	v_fma_f64 v[140:141], v[140:141], v[136:137], -v[144:145]
	v_fmac_f64_e32 v[138:139], v[142:143], v[136:137]
	v_add_f64 v[2:3], v[2:3], v[140:141]
	v_add_f64 v[4:5], v[4:5], v[138:139]
	s_andn2_b64 exec, exec, s[8:9]
	s_cbranch_execnz .LBB41_420
; %bb.421:
	s_or_b64 exec, exec, s[8:9]
.LBB41_422:
	s_or_b64 exec, exec, s[6:7]
	v_mov_b32_e32 v6, 0
	ds_read_b128 v[136:139], v6 offset:192
	s_waitcnt lgkmcnt(0)
	v_mul_f64 v[6:7], v[4:5], v[138:139]
	v_mul_f64 v[140:141], v[2:3], v[138:139]
	v_fma_f64 v[138:139], v[2:3], v[136:137], -v[6:7]
	v_fmac_f64_e32 v[140:141], v[4:5], v[136:137]
	scratch_store_dwordx4 off, v[138:141], off offset:192
.LBB41_423:
	s_or_b64 exec, exec, s[2:3]
	scratch_load_dwordx4 v[2:5], v122, off
	v_cmp_gt_u32_e32 vcc, 13, v0
	s_waitcnt vmcnt(0)
	ds_write_b128 v9, v[2:5]
	s_waitcnt lgkmcnt(0)
	; wave barrier
	s_waitcnt lgkmcnt(0)
	s_and_saveexec_b64 s[2:3], vcc
	s_cbranch_execz .LBB41_431
; %bb.424:
	ds_read_b128 v[2:5], v9
	s_and_b64 vcc, exec, s[0:1]
	s_cbranch_vccnz .LBB41_426
; %bb.425:
	scratch_load_dwordx4 v[136:139], v8, off
	s_waitcnt vmcnt(0) lgkmcnt(0)
	v_mul_f64 v[6:7], v[4:5], v[138:139]
	v_mul_f64 v[138:139], v[2:3], v[138:139]
	v_fmac_f64_e32 v[138:139], v[4:5], v[136:137]
	v_fma_f64 v[2:3], v[2:3], v[136:137], -v[6:7]
	v_mov_b64_e32 v[4:5], v[138:139]
.LBB41_426:
	v_cmp_ne_u32_e32 vcc, 12, v0
	s_and_saveexec_b64 s[6:7], vcc
	s_cbranch_execz .LBB41_430
; %bb.427:
	v_mov_b32_e32 v7, 0
	v_add_u32_e32 v6, 0x2b0, v64
	v_add3_u32 v7, v64, v7, 24
	s_mov_b64 s[8:9], 0
	v_mov_b32_e32 v135, v0
.LBB41_428:                             ; =>This Inner Loop Header: Depth=1
	v_add_u32_e32 v136, -8, v7
	scratch_load_dwordx4 v[136:139], v136, off
	ds_read_b128 v[140:143], v6
	v_add_u32_e32 v135, 1, v135
	v_cmp_lt_u32_e32 vcc, 11, v135
	v_add_u32_e32 v6, 16, v6
	v_add_u32_e32 v7, 16, v7
	s_or_b64 s[8:9], vcc, s[8:9]
	s_waitcnt vmcnt(0) lgkmcnt(0)
	v_mul_f64 v[144:145], v[142:143], v[138:139]
	v_mul_f64 v[138:139], v[140:141], v[138:139]
	v_fma_f64 v[140:141], v[140:141], v[136:137], -v[144:145]
	v_fmac_f64_e32 v[138:139], v[142:143], v[136:137]
	v_add_f64 v[2:3], v[2:3], v[140:141]
	v_add_f64 v[4:5], v[4:5], v[138:139]
	s_andn2_b64 exec, exec, s[8:9]
	s_cbranch_execnz .LBB41_428
; %bb.429:
	s_or_b64 exec, exec, s[8:9]
.LBB41_430:
	s_or_b64 exec, exec, s[6:7]
	v_mov_b32_e32 v6, 0
	ds_read_b128 v[136:139], v6 offset:208
	s_waitcnt lgkmcnt(0)
	v_mul_f64 v[6:7], v[4:5], v[138:139]
	v_mul_f64 v[140:141], v[2:3], v[138:139]
	v_fma_f64 v[138:139], v[2:3], v[136:137], -v[6:7]
	v_fmac_f64_e32 v[140:141], v[4:5], v[136:137]
	scratch_store_dwordx4 off, v[138:141], off offset:208
.LBB41_431:
	s_or_b64 exec, exec, s[2:3]
	scratch_load_dwordx4 v[2:5], v121, off
	v_cmp_gt_u32_e32 vcc, 14, v0
	s_waitcnt vmcnt(0)
	ds_write_b128 v9, v[2:5]
	s_waitcnt lgkmcnt(0)
	; wave barrier
	s_waitcnt lgkmcnt(0)
	s_and_saveexec_b64 s[2:3], vcc
	s_cbranch_execz .LBB41_439
; %bb.432:
	ds_read_b128 v[2:5], v9
	s_and_b64 vcc, exec, s[0:1]
	s_cbranch_vccnz .LBB41_434
; %bb.433:
	scratch_load_dwordx4 v[136:139], v8, off
	s_waitcnt vmcnt(0) lgkmcnt(0)
	v_mul_f64 v[6:7], v[4:5], v[138:139]
	v_mul_f64 v[138:139], v[2:3], v[138:139]
	v_fmac_f64_e32 v[138:139], v[4:5], v[136:137]
	v_fma_f64 v[2:3], v[2:3], v[136:137], -v[6:7]
	v_mov_b64_e32 v[4:5], v[138:139]
.LBB41_434:
	v_cmp_ne_u32_e32 vcc, 13, v0
	s_and_saveexec_b64 s[6:7], vcc
	s_cbranch_execz .LBB41_438
; %bb.435:
	v_mov_b32_e32 v7, 0
	v_add_u32_e32 v6, 0x2b0, v64
	v_add3_u32 v7, v64, v7, 24
	s_mov_b64 s[8:9], 0
	v_mov_b32_e32 v135, v0
.LBB41_436:                             ; =>This Inner Loop Header: Depth=1
	v_add_u32_e32 v136, -8, v7
	scratch_load_dwordx4 v[136:139], v136, off
	ds_read_b128 v[140:143], v6
	v_add_u32_e32 v135, 1, v135
	v_cmp_lt_u32_e32 vcc, 12, v135
	v_add_u32_e32 v6, 16, v6
	v_add_u32_e32 v7, 16, v7
	s_or_b64 s[8:9], vcc, s[8:9]
	s_waitcnt vmcnt(0) lgkmcnt(0)
	v_mul_f64 v[144:145], v[142:143], v[138:139]
	v_mul_f64 v[138:139], v[140:141], v[138:139]
	v_fma_f64 v[140:141], v[140:141], v[136:137], -v[144:145]
	v_fmac_f64_e32 v[138:139], v[142:143], v[136:137]
	v_add_f64 v[2:3], v[2:3], v[140:141]
	v_add_f64 v[4:5], v[4:5], v[138:139]
	s_andn2_b64 exec, exec, s[8:9]
	s_cbranch_execnz .LBB41_436
; %bb.437:
	s_or_b64 exec, exec, s[8:9]
.LBB41_438:
	s_or_b64 exec, exec, s[6:7]
	v_mov_b32_e32 v6, 0
	ds_read_b128 v[136:139], v6 offset:224
	s_waitcnt lgkmcnt(0)
	v_mul_f64 v[6:7], v[4:5], v[138:139]
	v_mul_f64 v[140:141], v[2:3], v[138:139]
	v_fma_f64 v[138:139], v[2:3], v[136:137], -v[6:7]
	v_fmac_f64_e32 v[140:141], v[4:5], v[136:137]
	scratch_store_dwordx4 off, v[138:141], off offset:224
.LBB41_439:
	s_or_b64 exec, exec, s[2:3]
	scratch_load_dwordx4 v[2:5], v120, off
	v_cmp_gt_u32_e32 vcc, 15, v0
	s_waitcnt vmcnt(0)
	ds_write_b128 v9, v[2:5]
	s_waitcnt lgkmcnt(0)
	; wave barrier
	s_waitcnt lgkmcnt(0)
	s_and_saveexec_b64 s[2:3], vcc
	s_cbranch_execz .LBB41_447
; %bb.440:
	ds_read_b128 v[2:5], v9
	s_and_b64 vcc, exec, s[0:1]
	s_cbranch_vccnz .LBB41_442
; %bb.441:
	scratch_load_dwordx4 v[136:139], v8, off
	s_waitcnt vmcnt(0) lgkmcnt(0)
	v_mul_f64 v[6:7], v[4:5], v[138:139]
	v_mul_f64 v[138:139], v[2:3], v[138:139]
	v_fmac_f64_e32 v[138:139], v[4:5], v[136:137]
	v_fma_f64 v[2:3], v[2:3], v[136:137], -v[6:7]
	v_mov_b64_e32 v[4:5], v[138:139]
.LBB41_442:
	v_cmp_ne_u32_e32 vcc, 14, v0
	s_and_saveexec_b64 s[6:7], vcc
	s_cbranch_execz .LBB41_446
; %bb.443:
	v_mov_b32_e32 v7, 0
	v_add_u32_e32 v6, 0x2b0, v64
	v_add3_u32 v7, v64, v7, 24
	s_mov_b64 s[8:9], 0
	v_mov_b32_e32 v135, v0
.LBB41_444:                             ; =>This Inner Loop Header: Depth=1
	v_add_u32_e32 v136, -8, v7
	scratch_load_dwordx4 v[136:139], v136, off
	ds_read_b128 v[140:143], v6
	v_add_u32_e32 v135, 1, v135
	v_cmp_lt_u32_e32 vcc, 13, v135
	v_add_u32_e32 v6, 16, v6
	v_add_u32_e32 v7, 16, v7
	s_or_b64 s[8:9], vcc, s[8:9]
	s_waitcnt vmcnt(0) lgkmcnt(0)
	v_mul_f64 v[144:145], v[142:143], v[138:139]
	v_mul_f64 v[138:139], v[140:141], v[138:139]
	v_fma_f64 v[140:141], v[140:141], v[136:137], -v[144:145]
	v_fmac_f64_e32 v[138:139], v[142:143], v[136:137]
	v_add_f64 v[2:3], v[2:3], v[140:141]
	v_add_f64 v[4:5], v[4:5], v[138:139]
	s_andn2_b64 exec, exec, s[8:9]
	s_cbranch_execnz .LBB41_444
; %bb.445:
	s_or_b64 exec, exec, s[8:9]
.LBB41_446:
	s_or_b64 exec, exec, s[6:7]
	v_mov_b32_e32 v6, 0
	ds_read_b128 v[136:139], v6 offset:240
	s_waitcnt lgkmcnt(0)
	v_mul_f64 v[6:7], v[4:5], v[138:139]
	v_mul_f64 v[140:141], v[2:3], v[138:139]
	v_fma_f64 v[138:139], v[2:3], v[136:137], -v[6:7]
	v_fmac_f64_e32 v[140:141], v[4:5], v[136:137]
	scratch_store_dwordx4 off, v[138:141], off offset:240
.LBB41_447:
	s_or_b64 exec, exec, s[2:3]
	scratch_load_dwordx4 v[2:5], v119, off
	v_cmp_gt_u32_e32 vcc, 16, v0
	s_waitcnt vmcnt(0)
	ds_write_b128 v9, v[2:5]
	s_waitcnt lgkmcnt(0)
	; wave barrier
	s_waitcnt lgkmcnt(0)
	s_and_saveexec_b64 s[2:3], vcc
	s_cbranch_execz .LBB41_455
; %bb.448:
	ds_read_b128 v[2:5], v9
	s_and_b64 vcc, exec, s[0:1]
	s_cbranch_vccnz .LBB41_450
; %bb.449:
	scratch_load_dwordx4 v[136:139], v8, off
	s_waitcnt vmcnt(0) lgkmcnt(0)
	v_mul_f64 v[6:7], v[4:5], v[138:139]
	v_mul_f64 v[138:139], v[2:3], v[138:139]
	v_fmac_f64_e32 v[138:139], v[4:5], v[136:137]
	v_fma_f64 v[2:3], v[2:3], v[136:137], -v[6:7]
	v_mov_b64_e32 v[4:5], v[138:139]
.LBB41_450:
	v_cmp_ne_u32_e32 vcc, 15, v0
	s_and_saveexec_b64 s[6:7], vcc
	s_cbranch_execz .LBB41_454
; %bb.451:
	v_mov_b32_e32 v7, 0
	v_add_u32_e32 v6, 0x2b0, v64
	v_add3_u32 v7, v64, v7, 24
	s_mov_b64 s[8:9], 0
	v_mov_b32_e32 v135, v0
.LBB41_452:                             ; =>This Inner Loop Header: Depth=1
	v_add_u32_e32 v136, -8, v7
	scratch_load_dwordx4 v[136:139], v136, off
	ds_read_b128 v[140:143], v6
	v_add_u32_e32 v135, 1, v135
	v_cmp_lt_u32_e32 vcc, 14, v135
	v_add_u32_e32 v6, 16, v6
	v_add_u32_e32 v7, 16, v7
	s_or_b64 s[8:9], vcc, s[8:9]
	s_waitcnt vmcnt(0) lgkmcnt(0)
	v_mul_f64 v[144:145], v[142:143], v[138:139]
	v_mul_f64 v[138:139], v[140:141], v[138:139]
	v_fma_f64 v[140:141], v[140:141], v[136:137], -v[144:145]
	v_fmac_f64_e32 v[138:139], v[142:143], v[136:137]
	v_add_f64 v[2:3], v[2:3], v[140:141]
	v_add_f64 v[4:5], v[4:5], v[138:139]
	s_andn2_b64 exec, exec, s[8:9]
	s_cbranch_execnz .LBB41_452
; %bb.453:
	s_or_b64 exec, exec, s[8:9]
.LBB41_454:
	s_or_b64 exec, exec, s[6:7]
	v_mov_b32_e32 v6, 0
	ds_read_b128 v[136:139], v6 offset:256
	s_waitcnt lgkmcnt(0)
	v_mul_f64 v[6:7], v[4:5], v[138:139]
	v_mul_f64 v[140:141], v[2:3], v[138:139]
	v_fma_f64 v[138:139], v[2:3], v[136:137], -v[6:7]
	v_fmac_f64_e32 v[140:141], v[4:5], v[136:137]
	scratch_store_dwordx4 off, v[138:141], off offset:256
.LBB41_455:
	s_or_b64 exec, exec, s[2:3]
	scratch_load_dwordx4 v[2:5], v118, off
	v_cmp_gt_u32_e32 vcc, 17, v0
	s_waitcnt vmcnt(0)
	ds_write_b128 v9, v[2:5]
	s_waitcnt lgkmcnt(0)
	; wave barrier
	s_waitcnt lgkmcnt(0)
	s_and_saveexec_b64 s[2:3], vcc
	s_cbranch_execz .LBB41_463
; %bb.456:
	ds_read_b128 v[2:5], v9
	s_and_b64 vcc, exec, s[0:1]
	s_cbranch_vccnz .LBB41_458
; %bb.457:
	scratch_load_dwordx4 v[136:139], v8, off
	s_waitcnt vmcnt(0) lgkmcnt(0)
	v_mul_f64 v[6:7], v[4:5], v[138:139]
	v_mul_f64 v[138:139], v[2:3], v[138:139]
	v_fmac_f64_e32 v[138:139], v[4:5], v[136:137]
	v_fma_f64 v[2:3], v[2:3], v[136:137], -v[6:7]
	v_mov_b64_e32 v[4:5], v[138:139]
.LBB41_458:
	v_cmp_ne_u32_e32 vcc, 16, v0
	s_and_saveexec_b64 s[6:7], vcc
	s_cbranch_execz .LBB41_462
; %bb.459:
	v_mov_b32_e32 v7, 0
	v_add_u32_e32 v6, 0x2b0, v64
	v_add3_u32 v7, v64, v7, 24
	s_mov_b64 s[8:9], 0
	v_mov_b32_e32 v135, v0
.LBB41_460:                             ; =>This Inner Loop Header: Depth=1
	v_add_u32_e32 v136, -8, v7
	scratch_load_dwordx4 v[136:139], v136, off
	ds_read_b128 v[140:143], v6
	v_add_u32_e32 v135, 1, v135
	v_cmp_lt_u32_e32 vcc, 15, v135
	v_add_u32_e32 v6, 16, v6
	v_add_u32_e32 v7, 16, v7
	s_or_b64 s[8:9], vcc, s[8:9]
	s_waitcnt vmcnt(0) lgkmcnt(0)
	v_mul_f64 v[144:145], v[142:143], v[138:139]
	v_mul_f64 v[138:139], v[140:141], v[138:139]
	v_fma_f64 v[140:141], v[140:141], v[136:137], -v[144:145]
	v_fmac_f64_e32 v[138:139], v[142:143], v[136:137]
	v_add_f64 v[2:3], v[2:3], v[140:141]
	v_add_f64 v[4:5], v[4:5], v[138:139]
	s_andn2_b64 exec, exec, s[8:9]
	s_cbranch_execnz .LBB41_460
; %bb.461:
	s_or_b64 exec, exec, s[8:9]
.LBB41_462:
	s_or_b64 exec, exec, s[6:7]
	v_mov_b32_e32 v6, 0
	ds_read_b128 v[136:139], v6 offset:272
	s_waitcnt lgkmcnt(0)
	v_mul_f64 v[6:7], v[4:5], v[138:139]
	v_mul_f64 v[140:141], v[2:3], v[138:139]
	v_fma_f64 v[138:139], v[2:3], v[136:137], -v[6:7]
	v_fmac_f64_e32 v[140:141], v[4:5], v[136:137]
	scratch_store_dwordx4 off, v[138:141], off offset:272
.LBB41_463:
	s_or_b64 exec, exec, s[2:3]
	scratch_load_dwordx4 v[2:5], v117, off
	v_cmp_gt_u32_e32 vcc, 18, v0
	s_waitcnt vmcnt(0)
	ds_write_b128 v9, v[2:5]
	s_waitcnt lgkmcnt(0)
	; wave barrier
	s_waitcnt lgkmcnt(0)
	s_and_saveexec_b64 s[2:3], vcc
	s_cbranch_execz .LBB41_471
; %bb.464:
	ds_read_b128 v[2:5], v9
	s_and_b64 vcc, exec, s[0:1]
	s_cbranch_vccnz .LBB41_466
; %bb.465:
	scratch_load_dwordx4 v[136:139], v8, off
	s_waitcnt vmcnt(0) lgkmcnt(0)
	v_mul_f64 v[6:7], v[4:5], v[138:139]
	v_mul_f64 v[138:139], v[2:3], v[138:139]
	v_fmac_f64_e32 v[138:139], v[4:5], v[136:137]
	v_fma_f64 v[2:3], v[2:3], v[136:137], -v[6:7]
	v_mov_b64_e32 v[4:5], v[138:139]
.LBB41_466:
	v_cmp_ne_u32_e32 vcc, 17, v0
	s_and_saveexec_b64 s[6:7], vcc
	s_cbranch_execz .LBB41_470
; %bb.467:
	v_mov_b32_e32 v7, 0
	v_add_u32_e32 v6, 0x2b0, v64
	v_add3_u32 v7, v64, v7, 24
	s_mov_b64 s[8:9], 0
	v_mov_b32_e32 v135, v0
.LBB41_468:                             ; =>This Inner Loop Header: Depth=1
	v_add_u32_e32 v136, -8, v7
	scratch_load_dwordx4 v[136:139], v136, off
	ds_read_b128 v[140:143], v6
	v_add_u32_e32 v135, 1, v135
	v_cmp_lt_u32_e32 vcc, 16, v135
	v_add_u32_e32 v6, 16, v6
	v_add_u32_e32 v7, 16, v7
	s_or_b64 s[8:9], vcc, s[8:9]
	s_waitcnt vmcnt(0) lgkmcnt(0)
	v_mul_f64 v[144:145], v[142:143], v[138:139]
	v_mul_f64 v[138:139], v[140:141], v[138:139]
	v_fma_f64 v[140:141], v[140:141], v[136:137], -v[144:145]
	v_fmac_f64_e32 v[138:139], v[142:143], v[136:137]
	v_add_f64 v[2:3], v[2:3], v[140:141]
	v_add_f64 v[4:5], v[4:5], v[138:139]
	s_andn2_b64 exec, exec, s[8:9]
	s_cbranch_execnz .LBB41_468
; %bb.469:
	s_or_b64 exec, exec, s[8:9]
.LBB41_470:
	s_or_b64 exec, exec, s[6:7]
	v_mov_b32_e32 v6, 0
	ds_read_b128 v[136:139], v6 offset:288
	s_waitcnt lgkmcnt(0)
	v_mul_f64 v[6:7], v[4:5], v[138:139]
	v_mul_f64 v[140:141], v[2:3], v[138:139]
	v_fma_f64 v[138:139], v[2:3], v[136:137], -v[6:7]
	v_fmac_f64_e32 v[140:141], v[4:5], v[136:137]
	scratch_store_dwordx4 off, v[138:141], off offset:288
.LBB41_471:
	s_or_b64 exec, exec, s[2:3]
	scratch_load_dwordx4 v[2:5], v116, off
	v_cmp_gt_u32_e32 vcc, 19, v0
	s_waitcnt vmcnt(0)
	ds_write_b128 v9, v[2:5]
	s_waitcnt lgkmcnt(0)
	; wave barrier
	s_waitcnt lgkmcnt(0)
	s_and_saveexec_b64 s[2:3], vcc
	s_cbranch_execz .LBB41_479
; %bb.472:
	ds_read_b128 v[2:5], v9
	s_and_b64 vcc, exec, s[0:1]
	s_cbranch_vccnz .LBB41_474
; %bb.473:
	scratch_load_dwordx4 v[136:139], v8, off
	s_waitcnt vmcnt(0) lgkmcnt(0)
	v_mul_f64 v[6:7], v[4:5], v[138:139]
	v_mul_f64 v[138:139], v[2:3], v[138:139]
	v_fmac_f64_e32 v[138:139], v[4:5], v[136:137]
	v_fma_f64 v[2:3], v[2:3], v[136:137], -v[6:7]
	v_mov_b64_e32 v[4:5], v[138:139]
.LBB41_474:
	v_cmp_ne_u32_e32 vcc, 18, v0
	s_and_saveexec_b64 s[6:7], vcc
	s_cbranch_execz .LBB41_478
; %bb.475:
	v_mov_b32_e32 v7, 0
	v_add_u32_e32 v6, 0x2b0, v64
	v_add3_u32 v7, v64, v7, 24
	s_mov_b64 s[8:9], 0
	v_mov_b32_e32 v135, v0
.LBB41_476:                             ; =>This Inner Loop Header: Depth=1
	v_add_u32_e32 v136, -8, v7
	scratch_load_dwordx4 v[136:139], v136, off
	ds_read_b128 v[140:143], v6
	v_add_u32_e32 v135, 1, v135
	v_cmp_lt_u32_e32 vcc, 17, v135
	v_add_u32_e32 v6, 16, v6
	v_add_u32_e32 v7, 16, v7
	s_or_b64 s[8:9], vcc, s[8:9]
	s_waitcnt vmcnt(0) lgkmcnt(0)
	v_mul_f64 v[144:145], v[142:143], v[138:139]
	v_mul_f64 v[138:139], v[140:141], v[138:139]
	v_fma_f64 v[140:141], v[140:141], v[136:137], -v[144:145]
	v_fmac_f64_e32 v[138:139], v[142:143], v[136:137]
	v_add_f64 v[2:3], v[2:3], v[140:141]
	v_add_f64 v[4:5], v[4:5], v[138:139]
	s_andn2_b64 exec, exec, s[8:9]
	s_cbranch_execnz .LBB41_476
; %bb.477:
	s_or_b64 exec, exec, s[8:9]
.LBB41_478:
	s_or_b64 exec, exec, s[6:7]
	v_mov_b32_e32 v6, 0
	ds_read_b128 v[136:139], v6 offset:304
	s_waitcnt lgkmcnt(0)
	v_mul_f64 v[6:7], v[4:5], v[138:139]
	v_mul_f64 v[140:141], v[2:3], v[138:139]
	v_fma_f64 v[138:139], v[2:3], v[136:137], -v[6:7]
	v_fmac_f64_e32 v[140:141], v[4:5], v[136:137]
	scratch_store_dwordx4 off, v[138:141], off offset:304
.LBB41_479:
	s_or_b64 exec, exec, s[2:3]
	scratch_load_dwordx4 v[2:5], v115, off
	v_cmp_gt_u32_e32 vcc, 20, v0
	s_waitcnt vmcnt(0)
	ds_write_b128 v9, v[2:5]
	s_waitcnt lgkmcnt(0)
	; wave barrier
	s_waitcnt lgkmcnt(0)
	s_and_saveexec_b64 s[2:3], vcc
	s_cbranch_execz .LBB41_487
; %bb.480:
	ds_read_b128 v[2:5], v9
	s_and_b64 vcc, exec, s[0:1]
	s_cbranch_vccnz .LBB41_482
; %bb.481:
	scratch_load_dwordx4 v[136:139], v8, off
	s_waitcnt vmcnt(0) lgkmcnt(0)
	v_mul_f64 v[6:7], v[4:5], v[138:139]
	v_mul_f64 v[138:139], v[2:3], v[138:139]
	v_fmac_f64_e32 v[138:139], v[4:5], v[136:137]
	v_fma_f64 v[2:3], v[2:3], v[136:137], -v[6:7]
	v_mov_b64_e32 v[4:5], v[138:139]
.LBB41_482:
	v_cmp_ne_u32_e32 vcc, 19, v0
	s_and_saveexec_b64 s[6:7], vcc
	s_cbranch_execz .LBB41_486
; %bb.483:
	v_mov_b32_e32 v7, 0
	v_add_u32_e32 v6, 0x2b0, v64
	v_add3_u32 v7, v64, v7, 24
	s_mov_b64 s[8:9], 0
	v_mov_b32_e32 v135, v0
.LBB41_484:                             ; =>This Inner Loop Header: Depth=1
	v_add_u32_e32 v136, -8, v7
	scratch_load_dwordx4 v[136:139], v136, off
	ds_read_b128 v[140:143], v6
	v_add_u32_e32 v135, 1, v135
	v_cmp_lt_u32_e32 vcc, 18, v135
	v_add_u32_e32 v6, 16, v6
	v_add_u32_e32 v7, 16, v7
	s_or_b64 s[8:9], vcc, s[8:9]
	s_waitcnt vmcnt(0) lgkmcnt(0)
	v_mul_f64 v[144:145], v[142:143], v[138:139]
	v_mul_f64 v[138:139], v[140:141], v[138:139]
	v_fma_f64 v[140:141], v[140:141], v[136:137], -v[144:145]
	v_fmac_f64_e32 v[138:139], v[142:143], v[136:137]
	v_add_f64 v[2:3], v[2:3], v[140:141]
	v_add_f64 v[4:5], v[4:5], v[138:139]
	s_andn2_b64 exec, exec, s[8:9]
	s_cbranch_execnz .LBB41_484
; %bb.485:
	s_or_b64 exec, exec, s[8:9]
.LBB41_486:
	s_or_b64 exec, exec, s[6:7]
	v_mov_b32_e32 v6, 0
	ds_read_b128 v[136:139], v6 offset:320
	s_waitcnt lgkmcnt(0)
	v_mul_f64 v[6:7], v[4:5], v[138:139]
	v_mul_f64 v[140:141], v[2:3], v[138:139]
	v_fma_f64 v[138:139], v[2:3], v[136:137], -v[6:7]
	v_fmac_f64_e32 v[140:141], v[4:5], v[136:137]
	scratch_store_dwordx4 off, v[138:141], off offset:320
.LBB41_487:
	s_or_b64 exec, exec, s[2:3]
	scratch_load_dwordx4 v[2:5], v114, off
	v_cmp_gt_u32_e32 vcc, 21, v0
	s_waitcnt vmcnt(0)
	ds_write_b128 v9, v[2:5]
	s_waitcnt lgkmcnt(0)
	; wave barrier
	s_waitcnt lgkmcnt(0)
	s_and_saveexec_b64 s[2:3], vcc
	s_cbranch_execz .LBB41_495
; %bb.488:
	ds_read_b128 v[2:5], v9
	s_and_b64 vcc, exec, s[0:1]
	s_cbranch_vccnz .LBB41_490
; %bb.489:
	scratch_load_dwordx4 v[136:139], v8, off
	s_waitcnt vmcnt(0) lgkmcnt(0)
	v_mul_f64 v[6:7], v[4:5], v[138:139]
	v_mul_f64 v[138:139], v[2:3], v[138:139]
	v_fmac_f64_e32 v[138:139], v[4:5], v[136:137]
	v_fma_f64 v[2:3], v[2:3], v[136:137], -v[6:7]
	v_mov_b64_e32 v[4:5], v[138:139]
.LBB41_490:
	v_cmp_ne_u32_e32 vcc, 20, v0
	s_and_saveexec_b64 s[6:7], vcc
	s_cbranch_execz .LBB41_494
; %bb.491:
	v_mov_b32_e32 v7, 0
	v_add_u32_e32 v6, 0x2b0, v64
	v_add3_u32 v7, v64, v7, 24
	s_mov_b64 s[8:9], 0
	v_mov_b32_e32 v135, v0
.LBB41_492:                             ; =>This Inner Loop Header: Depth=1
	v_add_u32_e32 v136, -8, v7
	scratch_load_dwordx4 v[136:139], v136, off
	ds_read_b128 v[140:143], v6
	v_add_u32_e32 v135, 1, v135
	v_cmp_lt_u32_e32 vcc, 19, v135
	v_add_u32_e32 v6, 16, v6
	v_add_u32_e32 v7, 16, v7
	s_or_b64 s[8:9], vcc, s[8:9]
	s_waitcnt vmcnt(0) lgkmcnt(0)
	v_mul_f64 v[144:145], v[142:143], v[138:139]
	v_mul_f64 v[138:139], v[140:141], v[138:139]
	v_fma_f64 v[140:141], v[140:141], v[136:137], -v[144:145]
	v_fmac_f64_e32 v[138:139], v[142:143], v[136:137]
	v_add_f64 v[2:3], v[2:3], v[140:141]
	v_add_f64 v[4:5], v[4:5], v[138:139]
	s_andn2_b64 exec, exec, s[8:9]
	s_cbranch_execnz .LBB41_492
; %bb.493:
	s_or_b64 exec, exec, s[8:9]
.LBB41_494:
	s_or_b64 exec, exec, s[6:7]
	v_mov_b32_e32 v6, 0
	ds_read_b128 v[136:139], v6 offset:336
	s_waitcnt lgkmcnt(0)
	v_mul_f64 v[6:7], v[4:5], v[138:139]
	v_mul_f64 v[140:141], v[2:3], v[138:139]
	v_fma_f64 v[138:139], v[2:3], v[136:137], -v[6:7]
	v_fmac_f64_e32 v[140:141], v[4:5], v[136:137]
	scratch_store_dwordx4 off, v[138:141], off offset:336
.LBB41_495:
	s_or_b64 exec, exec, s[2:3]
	scratch_load_dwordx4 v[2:5], v113, off
	v_cmp_gt_u32_e32 vcc, 22, v0
	s_waitcnt vmcnt(0)
	ds_write_b128 v9, v[2:5]
	s_waitcnt lgkmcnt(0)
	; wave barrier
	s_waitcnt lgkmcnt(0)
	s_and_saveexec_b64 s[2:3], vcc
	s_cbranch_execz .LBB41_503
; %bb.496:
	ds_read_b128 v[2:5], v9
	s_and_b64 vcc, exec, s[0:1]
	s_cbranch_vccnz .LBB41_498
; %bb.497:
	scratch_load_dwordx4 v[136:139], v8, off
	s_waitcnt vmcnt(0) lgkmcnt(0)
	v_mul_f64 v[6:7], v[4:5], v[138:139]
	v_mul_f64 v[138:139], v[2:3], v[138:139]
	v_fmac_f64_e32 v[138:139], v[4:5], v[136:137]
	v_fma_f64 v[2:3], v[2:3], v[136:137], -v[6:7]
	v_mov_b64_e32 v[4:5], v[138:139]
.LBB41_498:
	v_cmp_ne_u32_e32 vcc, 21, v0
	s_and_saveexec_b64 s[6:7], vcc
	s_cbranch_execz .LBB41_502
; %bb.499:
	v_mov_b32_e32 v7, 0
	v_add_u32_e32 v6, 0x2b0, v64
	v_add3_u32 v7, v64, v7, 24
	s_mov_b64 s[8:9], 0
	v_mov_b32_e32 v135, v0
.LBB41_500:                             ; =>This Inner Loop Header: Depth=1
	v_add_u32_e32 v136, -8, v7
	scratch_load_dwordx4 v[136:139], v136, off
	ds_read_b128 v[140:143], v6
	v_add_u32_e32 v135, 1, v135
	v_cmp_lt_u32_e32 vcc, 20, v135
	v_add_u32_e32 v6, 16, v6
	v_add_u32_e32 v7, 16, v7
	s_or_b64 s[8:9], vcc, s[8:9]
	s_waitcnt vmcnt(0) lgkmcnt(0)
	v_mul_f64 v[144:145], v[142:143], v[138:139]
	v_mul_f64 v[138:139], v[140:141], v[138:139]
	v_fma_f64 v[140:141], v[140:141], v[136:137], -v[144:145]
	v_fmac_f64_e32 v[138:139], v[142:143], v[136:137]
	v_add_f64 v[2:3], v[2:3], v[140:141]
	v_add_f64 v[4:5], v[4:5], v[138:139]
	s_andn2_b64 exec, exec, s[8:9]
	s_cbranch_execnz .LBB41_500
; %bb.501:
	s_or_b64 exec, exec, s[8:9]
.LBB41_502:
	s_or_b64 exec, exec, s[6:7]
	v_mov_b32_e32 v6, 0
	ds_read_b128 v[136:139], v6 offset:352
	s_waitcnt lgkmcnt(0)
	v_mul_f64 v[6:7], v[4:5], v[138:139]
	v_mul_f64 v[140:141], v[2:3], v[138:139]
	v_fma_f64 v[138:139], v[2:3], v[136:137], -v[6:7]
	v_fmac_f64_e32 v[140:141], v[4:5], v[136:137]
	scratch_store_dwordx4 off, v[138:141], off offset:352
.LBB41_503:
	s_or_b64 exec, exec, s[2:3]
	scratch_load_dwordx4 v[2:5], v112, off
	v_cmp_gt_u32_e32 vcc, 23, v0
	s_waitcnt vmcnt(0)
	ds_write_b128 v9, v[2:5]
	s_waitcnt lgkmcnt(0)
	; wave barrier
	s_waitcnt lgkmcnt(0)
	s_and_saveexec_b64 s[2:3], vcc
	s_cbranch_execz .LBB41_511
; %bb.504:
	ds_read_b128 v[2:5], v9
	s_and_b64 vcc, exec, s[0:1]
	s_cbranch_vccnz .LBB41_506
; %bb.505:
	scratch_load_dwordx4 v[136:139], v8, off
	s_waitcnt vmcnt(0) lgkmcnt(0)
	v_mul_f64 v[6:7], v[4:5], v[138:139]
	v_mul_f64 v[138:139], v[2:3], v[138:139]
	v_fmac_f64_e32 v[138:139], v[4:5], v[136:137]
	v_fma_f64 v[2:3], v[2:3], v[136:137], -v[6:7]
	v_mov_b64_e32 v[4:5], v[138:139]
.LBB41_506:
	v_cmp_ne_u32_e32 vcc, 22, v0
	s_and_saveexec_b64 s[6:7], vcc
	s_cbranch_execz .LBB41_510
; %bb.507:
	v_mov_b32_e32 v7, 0
	v_add_u32_e32 v6, 0x2b0, v64
	v_add3_u32 v7, v64, v7, 24
	s_mov_b64 s[8:9], 0
	v_mov_b32_e32 v135, v0
.LBB41_508:                             ; =>This Inner Loop Header: Depth=1
	v_add_u32_e32 v136, -8, v7
	scratch_load_dwordx4 v[136:139], v136, off
	ds_read_b128 v[140:143], v6
	v_add_u32_e32 v135, 1, v135
	v_cmp_lt_u32_e32 vcc, 21, v135
	v_add_u32_e32 v6, 16, v6
	v_add_u32_e32 v7, 16, v7
	s_or_b64 s[8:9], vcc, s[8:9]
	s_waitcnt vmcnt(0) lgkmcnt(0)
	v_mul_f64 v[144:145], v[142:143], v[138:139]
	v_mul_f64 v[138:139], v[140:141], v[138:139]
	v_fma_f64 v[140:141], v[140:141], v[136:137], -v[144:145]
	v_fmac_f64_e32 v[138:139], v[142:143], v[136:137]
	v_add_f64 v[2:3], v[2:3], v[140:141]
	v_add_f64 v[4:5], v[4:5], v[138:139]
	s_andn2_b64 exec, exec, s[8:9]
	s_cbranch_execnz .LBB41_508
; %bb.509:
	s_or_b64 exec, exec, s[8:9]
.LBB41_510:
	s_or_b64 exec, exec, s[6:7]
	v_mov_b32_e32 v6, 0
	ds_read_b128 v[136:139], v6 offset:368
	s_waitcnt lgkmcnt(0)
	v_mul_f64 v[6:7], v[4:5], v[138:139]
	v_mul_f64 v[140:141], v[2:3], v[138:139]
	v_fma_f64 v[138:139], v[2:3], v[136:137], -v[6:7]
	v_fmac_f64_e32 v[140:141], v[4:5], v[136:137]
	scratch_store_dwordx4 off, v[138:141], off offset:368
.LBB41_511:
	s_or_b64 exec, exec, s[2:3]
	scratch_load_dwordx4 v[2:5], v111, off
	v_cmp_gt_u32_e32 vcc, 24, v0
	s_waitcnt vmcnt(0)
	ds_write_b128 v9, v[2:5]
	s_waitcnt lgkmcnt(0)
	; wave barrier
	s_waitcnt lgkmcnt(0)
	s_and_saveexec_b64 s[2:3], vcc
	s_cbranch_execz .LBB41_519
; %bb.512:
	ds_read_b128 v[2:5], v9
	s_and_b64 vcc, exec, s[0:1]
	s_cbranch_vccnz .LBB41_514
; %bb.513:
	scratch_load_dwordx4 v[136:139], v8, off
	s_waitcnt vmcnt(0) lgkmcnt(0)
	v_mul_f64 v[6:7], v[4:5], v[138:139]
	v_mul_f64 v[138:139], v[2:3], v[138:139]
	v_fmac_f64_e32 v[138:139], v[4:5], v[136:137]
	v_fma_f64 v[2:3], v[2:3], v[136:137], -v[6:7]
	v_mov_b64_e32 v[4:5], v[138:139]
.LBB41_514:
	v_cmp_ne_u32_e32 vcc, 23, v0
	s_and_saveexec_b64 s[6:7], vcc
	s_cbranch_execz .LBB41_518
; %bb.515:
	v_mov_b32_e32 v7, 0
	v_add_u32_e32 v6, 0x2b0, v64
	v_add3_u32 v7, v64, v7, 24
	s_mov_b64 s[8:9], 0
	v_mov_b32_e32 v135, v0
.LBB41_516:                             ; =>This Inner Loop Header: Depth=1
	v_add_u32_e32 v136, -8, v7
	scratch_load_dwordx4 v[136:139], v136, off
	ds_read_b128 v[140:143], v6
	v_add_u32_e32 v135, 1, v135
	v_cmp_lt_u32_e32 vcc, 22, v135
	v_add_u32_e32 v6, 16, v6
	v_add_u32_e32 v7, 16, v7
	s_or_b64 s[8:9], vcc, s[8:9]
	s_waitcnt vmcnt(0) lgkmcnt(0)
	v_mul_f64 v[144:145], v[142:143], v[138:139]
	v_mul_f64 v[138:139], v[140:141], v[138:139]
	v_fma_f64 v[140:141], v[140:141], v[136:137], -v[144:145]
	v_fmac_f64_e32 v[138:139], v[142:143], v[136:137]
	v_add_f64 v[2:3], v[2:3], v[140:141]
	v_add_f64 v[4:5], v[4:5], v[138:139]
	s_andn2_b64 exec, exec, s[8:9]
	s_cbranch_execnz .LBB41_516
; %bb.517:
	s_or_b64 exec, exec, s[8:9]
.LBB41_518:
	s_or_b64 exec, exec, s[6:7]
	v_mov_b32_e32 v6, 0
	ds_read_b128 v[136:139], v6 offset:384
	s_waitcnt lgkmcnt(0)
	v_mul_f64 v[6:7], v[4:5], v[138:139]
	v_mul_f64 v[140:141], v[2:3], v[138:139]
	v_fma_f64 v[138:139], v[2:3], v[136:137], -v[6:7]
	v_fmac_f64_e32 v[140:141], v[4:5], v[136:137]
	scratch_store_dwordx4 off, v[138:141], off offset:384
.LBB41_519:
	s_or_b64 exec, exec, s[2:3]
	scratch_load_dwordx4 v[2:5], v110, off
	v_cmp_gt_u32_e32 vcc, 25, v0
	s_waitcnt vmcnt(0)
	ds_write_b128 v9, v[2:5]
	s_waitcnt lgkmcnt(0)
	; wave barrier
	s_waitcnt lgkmcnt(0)
	s_and_saveexec_b64 s[2:3], vcc
	s_cbranch_execz .LBB41_527
; %bb.520:
	ds_read_b128 v[2:5], v9
	s_and_b64 vcc, exec, s[0:1]
	s_cbranch_vccnz .LBB41_522
; %bb.521:
	scratch_load_dwordx4 v[136:139], v8, off
	s_waitcnt vmcnt(0) lgkmcnt(0)
	v_mul_f64 v[6:7], v[4:5], v[138:139]
	v_mul_f64 v[138:139], v[2:3], v[138:139]
	v_fmac_f64_e32 v[138:139], v[4:5], v[136:137]
	v_fma_f64 v[2:3], v[2:3], v[136:137], -v[6:7]
	v_mov_b64_e32 v[4:5], v[138:139]
.LBB41_522:
	v_cmp_ne_u32_e32 vcc, 24, v0
	s_and_saveexec_b64 s[6:7], vcc
	s_cbranch_execz .LBB41_526
; %bb.523:
	v_mov_b32_e32 v7, 0
	v_add_u32_e32 v6, 0x2b0, v64
	v_add3_u32 v7, v64, v7, 24
	s_mov_b64 s[8:9], 0
	v_mov_b32_e32 v135, v0
.LBB41_524:                             ; =>This Inner Loop Header: Depth=1
	v_add_u32_e32 v136, -8, v7
	scratch_load_dwordx4 v[136:139], v136, off
	ds_read_b128 v[140:143], v6
	v_add_u32_e32 v135, 1, v135
	v_cmp_lt_u32_e32 vcc, 23, v135
	v_add_u32_e32 v6, 16, v6
	v_add_u32_e32 v7, 16, v7
	s_or_b64 s[8:9], vcc, s[8:9]
	s_waitcnt vmcnt(0) lgkmcnt(0)
	v_mul_f64 v[144:145], v[142:143], v[138:139]
	v_mul_f64 v[138:139], v[140:141], v[138:139]
	v_fma_f64 v[140:141], v[140:141], v[136:137], -v[144:145]
	v_fmac_f64_e32 v[138:139], v[142:143], v[136:137]
	v_add_f64 v[2:3], v[2:3], v[140:141]
	v_add_f64 v[4:5], v[4:5], v[138:139]
	s_andn2_b64 exec, exec, s[8:9]
	s_cbranch_execnz .LBB41_524
; %bb.525:
	s_or_b64 exec, exec, s[8:9]
.LBB41_526:
	s_or_b64 exec, exec, s[6:7]
	v_mov_b32_e32 v6, 0
	ds_read_b128 v[136:139], v6 offset:400
	s_waitcnt lgkmcnt(0)
	v_mul_f64 v[6:7], v[4:5], v[138:139]
	v_mul_f64 v[140:141], v[2:3], v[138:139]
	v_fma_f64 v[138:139], v[2:3], v[136:137], -v[6:7]
	v_fmac_f64_e32 v[140:141], v[4:5], v[136:137]
	scratch_store_dwordx4 off, v[138:141], off offset:400
.LBB41_527:
	s_or_b64 exec, exec, s[2:3]
	scratch_load_dwordx4 v[2:5], v109, off
	v_cmp_gt_u32_e32 vcc, 26, v0
	s_waitcnt vmcnt(0)
	ds_write_b128 v9, v[2:5]
	s_waitcnt lgkmcnt(0)
	; wave barrier
	s_waitcnt lgkmcnt(0)
	s_and_saveexec_b64 s[2:3], vcc
	s_cbranch_execz .LBB41_535
; %bb.528:
	ds_read_b128 v[2:5], v9
	s_and_b64 vcc, exec, s[0:1]
	s_cbranch_vccnz .LBB41_530
; %bb.529:
	scratch_load_dwordx4 v[136:139], v8, off
	s_waitcnt vmcnt(0) lgkmcnt(0)
	v_mul_f64 v[6:7], v[4:5], v[138:139]
	v_mul_f64 v[138:139], v[2:3], v[138:139]
	v_fmac_f64_e32 v[138:139], v[4:5], v[136:137]
	v_fma_f64 v[2:3], v[2:3], v[136:137], -v[6:7]
	v_mov_b64_e32 v[4:5], v[138:139]
.LBB41_530:
	v_cmp_ne_u32_e32 vcc, 25, v0
	s_and_saveexec_b64 s[6:7], vcc
	s_cbranch_execz .LBB41_534
; %bb.531:
	v_mov_b32_e32 v7, 0
	v_add_u32_e32 v6, 0x2b0, v64
	v_add3_u32 v7, v64, v7, 24
	s_mov_b64 s[8:9], 0
	v_mov_b32_e32 v135, v0
.LBB41_532:                             ; =>This Inner Loop Header: Depth=1
	v_add_u32_e32 v136, -8, v7
	scratch_load_dwordx4 v[136:139], v136, off
	ds_read_b128 v[140:143], v6
	v_add_u32_e32 v135, 1, v135
	v_cmp_lt_u32_e32 vcc, 24, v135
	v_add_u32_e32 v6, 16, v6
	v_add_u32_e32 v7, 16, v7
	s_or_b64 s[8:9], vcc, s[8:9]
	s_waitcnt vmcnt(0) lgkmcnt(0)
	v_mul_f64 v[144:145], v[142:143], v[138:139]
	v_mul_f64 v[138:139], v[140:141], v[138:139]
	v_fma_f64 v[140:141], v[140:141], v[136:137], -v[144:145]
	v_fmac_f64_e32 v[138:139], v[142:143], v[136:137]
	v_add_f64 v[2:3], v[2:3], v[140:141]
	v_add_f64 v[4:5], v[4:5], v[138:139]
	s_andn2_b64 exec, exec, s[8:9]
	s_cbranch_execnz .LBB41_532
; %bb.533:
	s_or_b64 exec, exec, s[8:9]
.LBB41_534:
	s_or_b64 exec, exec, s[6:7]
	v_mov_b32_e32 v6, 0
	ds_read_b128 v[136:139], v6 offset:416
	s_waitcnt lgkmcnt(0)
	v_mul_f64 v[6:7], v[4:5], v[138:139]
	v_mul_f64 v[140:141], v[2:3], v[138:139]
	v_fma_f64 v[138:139], v[2:3], v[136:137], -v[6:7]
	v_fmac_f64_e32 v[140:141], v[4:5], v[136:137]
	scratch_store_dwordx4 off, v[138:141], off offset:416
.LBB41_535:
	s_or_b64 exec, exec, s[2:3]
	scratch_load_dwordx4 v[2:5], v108, off
	v_cmp_gt_u32_e32 vcc, 27, v0
	s_waitcnt vmcnt(0)
	ds_write_b128 v9, v[2:5]
	s_waitcnt lgkmcnt(0)
	; wave barrier
	s_waitcnt lgkmcnt(0)
	s_and_saveexec_b64 s[2:3], vcc
	s_cbranch_execz .LBB41_543
; %bb.536:
	ds_read_b128 v[2:5], v9
	s_and_b64 vcc, exec, s[0:1]
	s_cbranch_vccnz .LBB41_538
; %bb.537:
	scratch_load_dwordx4 v[136:139], v8, off
	s_waitcnt vmcnt(0) lgkmcnt(0)
	v_mul_f64 v[6:7], v[4:5], v[138:139]
	v_mul_f64 v[138:139], v[2:3], v[138:139]
	v_fmac_f64_e32 v[138:139], v[4:5], v[136:137]
	v_fma_f64 v[2:3], v[2:3], v[136:137], -v[6:7]
	v_mov_b64_e32 v[4:5], v[138:139]
.LBB41_538:
	v_cmp_ne_u32_e32 vcc, 26, v0
	s_and_saveexec_b64 s[6:7], vcc
	s_cbranch_execz .LBB41_542
; %bb.539:
	v_mov_b32_e32 v7, 0
	v_add_u32_e32 v6, 0x2b0, v64
	v_add3_u32 v7, v64, v7, 24
	s_mov_b64 s[8:9], 0
	v_mov_b32_e32 v135, v0
.LBB41_540:                             ; =>This Inner Loop Header: Depth=1
	v_add_u32_e32 v136, -8, v7
	scratch_load_dwordx4 v[136:139], v136, off
	ds_read_b128 v[140:143], v6
	v_add_u32_e32 v135, 1, v135
	v_cmp_lt_u32_e32 vcc, 25, v135
	v_add_u32_e32 v6, 16, v6
	v_add_u32_e32 v7, 16, v7
	s_or_b64 s[8:9], vcc, s[8:9]
	s_waitcnt vmcnt(0) lgkmcnt(0)
	v_mul_f64 v[144:145], v[142:143], v[138:139]
	v_mul_f64 v[138:139], v[140:141], v[138:139]
	v_fma_f64 v[140:141], v[140:141], v[136:137], -v[144:145]
	v_fmac_f64_e32 v[138:139], v[142:143], v[136:137]
	v_add_f64 v[2:3], v[2:3], v[140:141]
	v_add_f64 v[4:5], v[4:5], v[138:139]
	s_andn2_b64 exec, exec, s[8:9]
	s_cbranch_execnz .LBB41_540
; %bb.541:
	s_or_b64 exec, exec, s[8:9]
.LBB41_542:
	s_or_b64 exec, exec, s[6:7]
	v_mov_b32_e32 v6, 0
	ds_read_b128 v[136:139], v6 offset:432
	s_waitcnt lgkmcnt(0)
	v_mul_f64 v[6:7], v[4:5], v[138:139]
	v_mul_f64 v[140:141], v[2:3], v[138:139]
	v_fma_f64 v[138:139], v[2:3], v[136:137], -v[6:7]
	v_fmac_f64_e32 v[140:141], v[4:5], v[136:137]
	scratch_store_dwordx4 off, v[138:141], off offset:432
.LBB41_543:
	s_or_b64 exec, exec, s[2:3]
	scratch_load_dwordx4 v[2:5], v107, off
	v_cmp_gt_u32_e32 vcc, 28, v0
	s_waitcnt vmcnt(0)
	ds_write_b128 v9, v[2:5]
	s_waitcnt lgkmcnt(0)
	; wave barrier
	s_waitcnt lgkmcnt(0)
	s_and_saveexec_b64 s[2:3], vcc
	s_cbranch_execz .LBB41_551
; %bb.544:
	ds_read_b128 v[2:5], v9
	s_and_b64 vcc, exec, s[0:1]
	s_cbranch_vccnz .LBB41_546
; %bb.545:
	scratch_load_dwordx4 v[136:139], v8, off
	s_waitcnt vmcnt(0) lgkmcnt(0)
	v_mul_f64 v[6:7], v[4:5], v[138:139]
	v_mul_f64 v[138:139], v[2:3], v[138:139]
	v_fmac_f64_e32 v[138:139], v[4:5], v[136:137]
	v_fma_f64 v[2:3], v[2:3], v[136:137], -v[6:7]
	v_mov_b64_e32 v[4:5], v[138:139]
.LBB41_546:
	v_cmp_ne_u32_e32 vcc, 27, v0
	s_and_saveexec_b64 s[6:7], vcc
	s_cbranch_execz .LBB41_550
; %bb.547:
	v_mov_b32_e32 v7, 0
	v_add_u32_e32 v6, 0x2b0, v64
	v_add3_u32 v7, v64, v7, 24
	s_mov_b64 s[8:9], 0
	v_mov_b32_e32 v135, v0
.LBB41_548:                             ; =>This Inner Loop Header: Depth=1
	v_add_u32_e32 v136, -8, v7
	scratch_load_dwordx4 v[136:139], v136, off
	ds_read_b128 v[140:143], v6
	v_add_u32_e32 v135, 1, v135
	v_cmp_lt_u32_e32 vcc, 26, v135
	v_add_u32_e32 v6, 16, v6
	v_add_u32_e32 v7, 16, v7
	s_or_b64 s[8:9], vcc, s[8:9]
	s_waitcnt vmcnt(0) lgkmcnt(0)
	v_mul_f64 v[144:145], v[142:143], v[138:139]
	v_mul_f64 v[138:139], v[140:141], v[138:139]
	v_fma_f64 v[140:141], v[140:141], v[136:137], -v[144:145]
	v_fmac_f64_e32 v[138:139], v[142:143], v[136:137]
	v_add_f64 v[2:3], v[2:3], v[140:141]
	v_add_f64 v[4:5], v[4:5], v[138:139]
	s_andn2_b64 exec, exec, s[8:9]
	s_cbranch_execnz .LBB41_548
; %bb.549:
	s_or_b64 exec, exec, s[8:9]
.LBB41_550:
	s_or_b64 exec, exec, s[6:7]
	v_mov_b32_e32 v6, 0
	ds_read_b128 v[136:139], v6 offset:448
	s_waitcnt lgkmcnt(0)
	v_mul_f64 v[6:7], v[4:5], v[138:139]
	v_mul_f64 v[140:141], v[2:3], v[138:139]
	v_fma_f64 v[138:139], v[2:3], v[136:137], -v[6:7]
	v_fmac_f64_e32 v[140:141], v[4:5], v[136:137]
	scratch_store_dwordx4 off, v[138:141], off offset:448
.LBB41_551:
	s_or_b64 exec, exec, s[2:3]
	scratch_load_dwordx4 v[2:5], v106, off
	v_cmp_gt_u32_e32 vcc, 29, v0
	s_waitcnt vmcnt(0)
	ds_write_b128 v9, v[2:5]
	s_waitcnt lgkmcnt(0)
	; wave barrier
	s_waitcnt lgkmcnt(0)
	s_and_saveexec_b64 s[2:3], vcc
	s_cbranch_execz .LBB41_559
; %bb.552:
	ds_read_b128 v[2:5], v9
	s_and_b64 vcc, exec, s[0:1]
	s_cbranch_vccnz .LBB41_554
; %bb.553:
	scratch_load_dwordx4 v[136:139], v8, off
	s_waitcnt vmcnt(0) lgkmcnt(0)
	v_mul_f64 v[6:7], v[4:5], v[138:139]
	v_mul_f64 v[138:139], v[2:3], v[138:139]
	v_fmac_f64_e32 v[138:139], v[4:5], v[136:137]
	v_fma_f64 v[2:3], v[2:3], v[136:137], -v[6:7]
	v_mov_b64_e32 v[4:5], v[138:139]
.LBB41_554:
	v_cmp_ne_u32_e32 vcc, 28, v0
	s_and_saveexec_b64 s[6:7], vcc
	s_cbranch_execz .LBB41_558
; %bb.555:
	v_mov_b32_e32 v7, 0
	v_add_u32_e32 v6, 0x2b0, v64
	v_add3_u32 v7, v64, v7, 24
	s_mov_b64 s[8:9], 0
	v_mov_b32_e32 v135, v0
.LBB41_556:                             ; =>This Inner Loop Header: Depth=1
	v_add_u32_e32 v136, -8, v7
	scratch_load_dwordx4 v[136:139], v136, off
	ds_read_b128 v[140:143], v6
	v_add_u32_e32 v135, 1, v135
	v_cmp_lt_u32_e32 vcc, 27, v135
	v_add_u32_e32 v6, 16, v6
	v_add_u32_e32 v7, 16, v7
	s_or_b64 s[8:9], vcc, s[8:9]
	s_waitcnt vmcnt(0) lgkmcnt(0)
	v_mul_f64 v[144:145], v[142:143], v[138:139]
	v_mul_f64 v[138:139], v[140:141], v[138:139]
	v_fma_f64 v[140:141], v[140:141], v[136:137], -v[144:145]
	v_fmac_f64_e32 v[138:139], v[142:143], v[136:137]
	v_add_f64 v[2:3], v[2:3], v[140:141]
	v_add_f64 v[4:5], v[4:5], v[138:139]
	s_andn2_b64 exec, exec, s[8:9]
	s_cbranch_execnz .LBB41_556
; %bb.557:
	s_or_b64 exec, exec, s[8:9]
.LBB41_558:
	s_or_b64 exec, exec, s[6:7]
	v_mov_b32_e32 v6, 0
	ds_read_b128 v[136:139], v6 offset:464
	s_waitcnt lgkmcnt(0)
	v_mul_f64 v[6:7], v[4:5], v[138:139]
	v_mul_f64 v[140:141], v[2:3], v[138:139]
	v_fma_f64 v[138:139], v[2:3], v[136:137], -v[6:7]
	v_fmac_f64_e32 v[140:141], v[4:5], v[136:137]
	scratch_store_dwordx4 off, v[138:141], off offset:464
.LBB41_559:
	s_or_b64 exec, exec, s[2:3]
	scratch_load_dwordx4 v[2:5], v105, off
	v_cmp_gt_u32_e32 vcc, 30, v0
	s_waitcnt vmcnt(0)
	ds_write_b128 v9, v[2:5]
	s_waitcnt lgkmcnt(0)
	; wave barrier
	s_waitcnt lgkmcnt(0)
	s_and_saveexec_b64 s[2:3], vcc
	s_cbranch_execz .LBB41_567
; %bb.560:
	ds_read_b128 v[2:5], v9
	s_and_b64 vcc, exec, s[0:1]
	s_cbranch_vccnz .LBB41_562
; %bb.561:
	scratch_load_dwordx4 v[136:139], v8, off
	s_waitcnt vmcnt(0) lgkmcnt(0)
	v_mul_f64 v[6:7], v[4:5], v[138:139]
	v_mul_f64 v[138:139], v[2:3], v[138:139]
	v_fmac_f64_e32 v[138:139], v[4:5], v[136:137]
	v_fma_f64 v[2:3], v[2:3], v[136:137], -v[6:7]
	v_mov_b64_e32 v[4:5], v[138:139]
.LBB41_562:
	v_cmp_ne_u32_e32 vcc, 29, v0
	s_and_saveexec_b64 s[6:7], vcc
	s_cbranch_execz .LBB41_566
; %bb.563:
	v_mov_b32_e32 v7, 0
	v_add_u32_e32 v6, 0x2b0, v64
	v_add3_u32 v7, v64, v7, 24
	s_mov_b64 s[8:9], 0
	v_mov_b32_e32 v135, v0
.LBB41_564:                             ; =>This Inner Loop Header: Depth=1
	v_add_u32_e32 v136, -8, v7
	scratch_load_dwordx4 v[136:139], v136, off
	ds_read_b128 v[140:143], v6
	v_add_u32_e32 v135, 1, v135
	v_cmp_lt_u32_e32 vcc, 28, v135
	v_add_u32_e32 v6, 16, v6
	v_add_u32_e32 v7, 16, v7
	s_or_b64 s[8:9], vcc, s[8:9]
	s_waitcnt vmcnt(0) lgkmcnt(0)
	v_mul_f64 v[144:145], v[142:143], v[138:139]
	v_mul_f64 v[138:139], v[140:141], v[138:139]
	v_fma_f64 v[140:141], v[140:141], v[136:137], -v[144:145]
	v_fmac_f64_e32 v[138:139], v[142:143], v[136:137]
	v_add_f64 v[2:3], v[2:3], v[140:141]
	v_add_f64 v[4:5], v[4:5], v[138:139]
	s_andn2_b64 exec, exec, s[8:9]
	s_cbranch_execnz .LBB41_564
; %bb.565:
	s_or_b64 exec, exec, s[8:9]
.LBB41_566:
	s_or_b64 exec, exec, s[6:7]
	v_mov_b32_e32 v6, 0
	ds_read_b128 v[136:139], v6 offset:480
	s_waitcnt lgkmcnt(0)
	v_mul_f64 v[6:7], v[4:5], v[138:139]
	v_mul_f64 v[140:141], v[2:3], v[138:139]
	v_fma_f64 v[138:139], v[2:3], v[136:137], -v[6:7]
	v_fmac_f64_e32 v[140:141], v[4:5], v[136:137]
	scratch_store_dwordx4 off, v[138:141], off offset:480
.LBB41_567:
	s_or_b64 exec, exec, s[2:3]
	scratch_load_dwordx4 v[2:5], v104, off
	v_cmp_gt_u32_e32 vcc, 31, v0
	s_waitcnt vmcnt(0)
	ds_write_b128 v9, v[2:5]
	s_waitcnt lgkmcnt(0)
	; wave barrier
	s_waitcnt lgkmcnt(0)
	s_and_saveexec_b64 s[2:3], vcc
	s_cbranch_execz .LBB41_575
; %bb.568:
	ds_read_b128 v[2:5], v9
	s_and_b64 vcc, exec, s[0:1]
	s_cbranch_vccnz .LBB41_570
; %bb.569:
	scratch_load_dwordx4 v[136:139], v8, off
	s_waitcnt vmcnt(0) lgkmcnt(0)
	v_mul_f64 v[6:7], v[4:5], v[138:139]
	v_mul_f64 v[138:139], v[2:3], v[138:139]
	v_fmac_f64_e32 v[138:139], v[4:5], v[136:137]
	v_fma_f64 v[2:3], v[2:3], v[136:137], -v[6:7]
	v_mov_b64_e32 v[4:5], v[138:139]
.LBB41_570:
	v_cmp_ne_u32_e32 vcc, 30, v0
	s_and_saveexec_b64 s[6:7], vcc
	s_cbranch_execz .LBB41_574
; %bb.571:
	v_mov_b32_e32 v7, 0
	v_add_u32_e32 v6, 0x2b0, v64
	v_add3_u32 v7, v64, v7, 24
	s_mov_b64 s[8:9], 0
	v_mov_b32_e32 v135, v0
.LBB41_572:                             ; =>This Inner Loop Header: Depth=1
	v_add_u32_e32 v136, -8, v7
	scratch_load_dwordx4 v[136:139], v136, off
	ds_read_b128 v[140:143], v6
	v_add_u32_e32 v135, 1, v135
	v_cmp_lt_u32_e32 vcc, 29, v135
	v_add_u32_e32 v6, 16, v6
	v_add_u32_e32 v7, 16, v7
	s_or_b64 s[8:9], vcc, s[8:9]
	s_waitcnt vmcnt(0) lgkmcnt(0)
	v_mul_f64 v[144:145], v[142:143], v[138:139]
	v_mul_f64 v[138:139], v[140:141], v[138:139]
	v_fma_f64 v[140:141], v[140:141], v[136:137], -v[144:145]
	v_fmac_f64_e32 v[138:139], v[142:143], v[136:137]
	v_add_f64 v[2:3], v[2:3], v[140:141]
	v_add_f64 v[4:5], v[4:5], v[138:139]
	s_andn2_b64 exec, exec, s[8:9]
	s_cbranch_execnz .LBB41_572
; %bb.573:
	s_or_b64 exec, exec, s[8:9]
.LBB41_574:
	s_or_b64 exec, exec, s[6:7]
	v_mov_b32_e32 v6, 0
	ds_read_b128 v[136:139], v6 offset:496
	s_waitcnt lgkmcnt(0)
	v_mul_f64 v[6:7], v[4:5], v[138:139]
	v_mul_f64 v[140:141], v[2:3], v[138:139]
	v_fma_f64 v[138:139], v[2:3], v[136:137], -v[6:7]
	v_fmac_f64_e32 v[140:141], v[4:5], v[136:137]
	scratch_store_dwordx4 off, v[138:141], off offset:496
.LBB41_575:
	s_or_b64 exec, exec, s[2:3]
	scratch_load_dwordx4 v[2:5], v103, off
	v_cmp_gt_u32_e32 vcc, 32, v0
	s_waitcnt vmcnt(0)
	ds_write_b128 v9, v[2:5]
	s_waitcnt lgkmcnt(0)
	; wave barrier
	s_waitcnt lgkmcnt(0)
	s_and_saveexec_b64 s[2:3], vcc
	s_cbranch_execz .LBB41_583
; %bb.576:
	ds_read_b128 v[2:5], v9
	s_and_b64 vcc, exec, s[0:1]
	s_cbranch_vccnz .LBB41_578
; %bb.577:
	scratch_load_dwordx4 v[136:139], v8, off
	s_waitcnt vmcnt(0) lgkmcnt(0)
	v_mul_f64 v[6:7], v[4:5], v[138:139]
	v_mul_f64 v[138:139], v[2:3], v[138:139]
	v_fmac_f64_e32 v[138:139], v[4:5], v[136:137]
	v_fma_f64 v[2:3], v[2:3], v[136:137], -v[6:7]
	v_mov_b64_e32 v[4:5], v[138:139]
.LBB41_578:
	v_cmp_ne_u32_e32 vcc, 31, v0
	s_and_saveexec_b64 s[6:7], vcc
	s_cbranch_execz .LBB41_582
; %bb.579:
	v_mov_b32_e32 v7, 0
	v_add_u32_e32 v6, 0x2b0, v64
	v_add3_u32 v7, v64, v7, 24
	s_mov_b64 s[8:9], 0
	v_mov_b32_e32 v135, v0
.LBB41_580:                             ; =>This Inner Loop Header: Depth=1
	v_add_u32_e32 v136, -8, v7
	scratch_load_dwordx4 v[136:139], v136, off
	ds_read_b128 v[140:143], v6
	v_add_u32_e32 v135, 1, v135
	v_cmp_lt_u32_e32 vcc, 30, v135
	v_add_u32_e32 v6, 16, v6
	v_add_u32_e32 v7, 16, v7
	s_or_b64 s[8:9], vcc, s[8:9]
	s_waitcnt vmcnt(0) lgkmcnt(0)
	v_mul_f64 v[144:145], v[142:143], v[138:139]
	v_mul_f64 v[138:139], v[140:141], v[138:139]
	v_fma_f64 v[140:141], v[140:141], v[136:137], -v[144:145]
	v_fmac_f64_e32 v[138:139], v[142:143], v[136:137]
	v_add_f64 v[2:3], v[2:3], v[140:141]
	v_add_f64 v[4:5], v[4:5], v[138:139]
	s_andn2_b64 exec, exec, s[8:9]
	s_cbranch_execnz .LBB41_580
; %bb.581:
	s_or_b64 exec, exec, s[8:9]
.LBB41_582:
	s_or_b64 exec, exec, s[6:7]
	v_mov_b32_e32 v6, 0
	ds_read_b128 v[136:139], v6 offset:512
	s_waitcnt lgkmcnt(0)
	v_mul_f64 v[6:7], v[4:5], v[138:139]
	v_mul_f64 v[140:141], v[2:3], v[138:139]
	v_fma_f64 v[138:139], v[2:3], v[136:137], -v[6:7]
	v_fmac_f64_e32 v[140:141], v[4:5], v[136:137]
	scratch_store_dwordx4 off, v[138:141], off offset:512
.LBB41_583:
	s_or_b64 exec, exec, s[2:3]
	scratch_load_dwordx4 v[2:5], v102, off
	v_cmp_gt_u32_e32 vcc, 33, v0
	s_waitcnt vmcnt(0)
	ds_write_b128 v9, v[2:5]
	s_waitcnt lgkmcnt(0)
	; wave barrier
	s_waitcnt lgkmcnt(0)
	s_and_saveexec_b64 s[2:3], vcc
	s_cbranch_execz .LBB41_591
; %bb.584:
	ds_read_b128 v[2:5], v9
	s_and_b64 vcc, exec, s[0:1]
	s_cbranch_vccnz .LBB41_586
; %bb.585:
	scratch_load_dwordx4 v[136:139], v8, off
	s_waitcnt vmcnt(0) lgkmcnt(0)
	v_mul_f64 v[6:7], v[4:5], v[138:139]
	v_mul_f64 v[138:139], v[2:3], v[138:139]
	v_fmac_f64_e32 v[138:139], v[4:5], v[136:137]
	v_fma_f64 v[2:3], v[2:3], v[136:137], -v[6:7]
	v_mov_b64_e32 v[4:5], v[138:139]
.LBB41_586:
	v_cmp_ne_u32_e32 vcc, 32, v0
	s_and_saveexec_b64 s[6:7], vcc
	s_cbranch_execz .LBB41_590
; %bb.587:
	v_mov_b32_e32 v7, 0
	v_add_u32_e32 v6, 0x2b0, v64
	v_add3_u32 v7, v64, v7, 24
	s_mov_b64 s[8:9], 0
	v_mov_b32_e32 v135, v0
.LBB41_588:                             ; =>This Inner Loop Header: Depth=1
	v_add_u32_e32 v136, -8, v7
	scratch_load_dwordx4 v[136:139], v136, off
	ds_read_b128 v[140:143], v6
	v_add_u32_e32 v135, 1, v135
	v_cmp_lt_u32_e32 vcc, 31, v135
	v_add_u32_e32 v6, 16, v6
	v_add_u32_e32 v7, 16, v7
	s_or_b64 s[8:9], vcc, s[8:9]
	s_waitcnt vmcnt(0) lgkmcnt(0)
	v_mul_f64 v[144:145], v[142:143], v[138:139]
	v_mul_f64 v[138:139], v[140:141], v[138:139]
	v_fma_f64 v[140:141], v[140:141], v[136:137], -v[144:145]
	v_fmac_f64_e32 v[138:139], v[142:143], v[136:137]
	v_add_f64 v[2:3], v[2:3], v[140:141]
	v_add_f64 v[4:5], v[4:5], v[138:139]
	s_andn2_b64 exec, exec, s[8:9]
	s_cbranch_execnz .LBB41_588
; %bb.589:
	s_or_b64 exec, exec, s[8:9]
.LBB41_590:
	s_or_b64 exec, exec, s[6:7]
	v_mov_b32_e32 v6, 0
	ds_read_b128 v[136:139], v6 offset:528
	s_waitcnt lgkmcnt(0)
	v_mul_f64 v[6:7], v[4:5], v[138:139]
	v_mul_f64 v[140:141], v[2:3], v[138:139]
	v_fma_f64 v[138:139], v[2:3], v[136:137], -v[6:7]
	v_fmac_f64_e32 v[140:141], v[4:5], v[136:137]
	scratch_store_dwordx4 off, v[138:141], off offset:528
.LBB41_591:
	s_or_b64 exec, exec, s[2:3]
	scratch_load_dwordx4 v[2:5], v65, off
	v_cmp_gt_u32_e32 vcc, 34, v0
	s_waitcnt vmcnt(0)
	ds_write_b128 v9, v[2:5]
	s_waitcnt lgkmcnt(0)
	; wave barrier
	s_waitcnt lgkmcnt(0)
	s_and_saveexec_b64 s[2:3], vcc
	s_cbranch_execz .LBB41_599
; %bb.592:
	ds_read_b128 v[2:5], v9
	s_and_b64 vcc, exec, s[0:1]
	s_cbranch_vccnz .LBB41_594
; %bb.593:
	scratch_load_dwordx4 v[136:139], v8, off
	s_waitcnt vmcnt(0) lgkmcnt(0)
	v_mul_f64 v[6:7], v[4:5], v[138:139]
	v_mul_f64 v[138:139], v[2:3], v[138:139]
	v_fmac_f64_e32 v[138:139], v[4:5], v[136:137]
	v_fma_f64 v[2:3], v[2:3], v[136:137], -v[6:7]
	v_mov_b64_e32 v[4:5], v[138:139]
.LBB41_594:
	v_cmp_ne_u32_e32 vcc, 33, v0
	s_and_saveexec_b64 s[6:7], vcc
	s_cbranch_execz .LBB41_598
; %bb.595:
	v_mov_b32_e32 v7, 0
	v_add_u32_e32 v6, 0x2b0, v64
	v_add3_u32 v7, v64, v7, 24
	s_mov_b64 s[8:9], 0
	v_mov_b32_e32 v135, v0
.LBB41_596:                             ; =>This Inner Loop Header: Depth=1
	v_add_u32_e32 v136, -8, v7
	scratch_load_dwordx4 v[136:139], v136, off
	ds_read_b128 v[140:143], v6
	v_add_u32_e32 v135, 1, v135
	v_cmp_lt_u32_e32 vcc, 32, v135
	v_add_u32_e32 v6, 16, v6
	v_add_u32_e32 v7, 16, v7
	s_or_b64 s[8:9], vcc, s[8:9]
	s_waitcnt vmcnt(0) lgkmcnt(0)
	v_mul_f64 v[144:145], v[142:143], v[138:139]
	v_mul_f64 v[138:139], v[140:141], v[138:139]
	v_fma_f64 v[140:141], v[140:141], v[136:137], -v[144:145]
	v_fmac_f64_e32 v[138:139], v[142:143], v[136:137]
	v_add_f64 v[2:3], v[2:3], v[140:141]
	v_add_f64 v[4:5], v[4:5], v[138:139]
	s_andn2_b64 exec, exec, s[8:9]
	s_cbranch_execnz .LBB41_596
; %bb.597:
	s_or_b64 exec, exec, s[8:9]
.LBB41_598:
	s_or_b64 exec, exec, s[6:7]
	v_mov_b32_e32 v6, 0
	ds_read_b128 v[136:139], v6 offset:544
	s_waitcnt lgkmcnt(0)
	v_mul_f64 v[6:7], v[4:5], v[138:139]
	v_mul_f64 v[140:141], v[2:3], v[138:139]
	v_fma_f64 v[138:139], v[2:3], v[136:137], -v[6:7]
	v_fmac_f64_e32 v[140:141], v[4:5], v[136:137]
	scratch_store_dwordx4 off, v[138:141], off offset:544
.LBB41_599:
	s_or_b64 exec, exec, s[2:3]
	scratch_load_dwordx4 v[2:5], v41, off
	v_cmp_gt_u32_e32 vcc, 35, v0
	s_waitcnt vmcnt(0)
	ds_write_b128 v9, v[2:5]
	s_waitcnt lgkmcnt(0)
	; wave barrier
	s_waitcnt lgkmcnt(0)
	s_and_saveexec_b64 s[2:3], vcc
	s_cbranch_execz .LBB41_607
; %bb.600:
	ds_read_b128 v[2:5], v9
	s_and_b64 vcc, exec, s[0:1]
	s_cbranch_vccnz .LBB41_602
; %bb.601:
	scratch_load_dwordx4 v[136:139], v8, off
	s_waitcnt vmcnt(0) lgkmcnt(0)
	v_mul_f64 v[6:7], v[4:5], v[138:139]
	v_mul_f64 v[138:139], v[2:3], v[138:139]
	v_fmac_f64_e32 v[138:139], v[4:5], v[136:137]
	v_fma_f64 v[2:3], v[2:3], v[136:137], -v[6:7]
	v_mov_b64_e32 v[4:5], v[138:139]
.LBB41_602:
	v_cmp_ne_u32_e32 vcc, 34, v0
	s_and_saveexec_b64 s[6:7], vcc
	s_cbranch_execz .LBB41_606
; %bb.603:
	v_mov_b32_e32 v7, 0
	v_add_u32_e32 v6, 0x2b0, v64
	v_add3_u32 v7, v64, v7, 24
	s_mov_b64 s[8:9], 0
	v_mov_b32_e32 v135, v0
.LBB41_604:                             ; =>This Inner Loop Header: Depth=1
	v_add_u32_e32 v136, -8, v7
	scratch_load_dwordx4 v[136:139], v136, off
	ds_read_b128 v[140:143], v6
	v_add_u32_e32 v135, 1, v135
	v_cmp_lt_u32_e32 vcc, 33, v135
	v_add_u32_e32 v6, 16, v6
	v_add_u32_e32 v7, 16, v7
	s_or_b64 s[8:9], vcc, s[8:9]
	s_waitcnt vmcnt(0) lgkmcnt(0)
	v_mul_f64 v[144:145], v[142:143], v[138:139]
	v_mul_f64 v[138:139], v[140:141], v[138:139]
	v_fma_f64 v[140:141], v[140:141], v[136:137], -v[144:145]
	v_fmac_f64_e32 v[138:139], v[142:143], v[136:137]
	v_add_f64 v[2:3], v[2:3], v[140:141]
	v_add_f64 v[4:5], v[4:5], v[138:139]
	s_andn2_b64 exec, exec, s[8:9]
	s_cbranch_execnz .LBB41_604
; %bb.605:
	s_or_b64 exec, exec, s[8:9]
.LBB41_606:
	s_or_b64 exec, exec, s[6:7]
	v_mov_b32_e32 v6, 0
	ds_read_b128 v[136:139], v6 offset:560
	s_waitcnt lgkmcnt(0)
	v_mul_f64 v[6:7], v[4:5], v[138:139]
	v_mul_f64 v[140:141], v[2:3], v[138:139]
	v_fma_f64 v[138:139], v[2:3], v[136:137], -v[6:7]
	v_fmac_f64_e32 v[140:141], v[4:5], v[136:137]
	scratch_store_dwordx4 off, v[138:141], off offset:560
.LBB41_607:
	s_or_b64 exec, exec, s[2:3]
	scratch_load_dwordx4 v[2:5], v40, off
	v_cmp_gt_u32_e32 vcc, 36, v0
	s_waitcnt vmcnt(0)
	ds_write_b128 v9, v[2:5]
	s_waitcnt lgkmcnt(0)
	; wave barrier
	s_waitcnt lgkmcnt(0)
	s_and_saveexec_b64 s[2:3], vcc
	s_cbranch_execz .LBB41_615
; %bb.608:
	ds_read_b128 v[2:5], v9
	s_and_b64 vcc, exec, s[0:1]
	s_cbranch_vccnz .LBB41_610
; %bb.609:
	scratch_load_dwordx4 v[136:139], v8, off
	s_waitcnt vmcnt(0) lgkmcnt(0)
	v_mul_f64 v[6:7], v[4:5], v[138:139]
	v_mul_f64 v[138:139], v[2:3], v[138:139]
	v_fmac_f64_e32 v[138:139], v[4:5], v[136:137]
	v_fma_f64 v[2:3], v[2:3], v[136:137], -v[6:7]
	v_mov_b64_e32 v[4:5], v[138:139]
.LBB41_610:
	v_cmp_ne_u32_e32 vcc, 35, v0
	s_and_saveexec_b64 s[6:7], vcc
	s_cbranch_execz .LBB41_614
; %bb.611:
	v_mov_b32_e32 v7, 0
	v_add_u32_e32 v6, 0x2b0, v64
	v_add3_u32 v7, v64, v7, 24
	s_mov_b64 s[8:9], 0
	v_mov_b32_e32 v135, v0
.LBB41_612:                             ; =>This Inner Loop Header: Depth=1
	v_add_u32_e32 v136, -8, v7
	scratch_load_dwordx4 v[136:139], v136, off
	ds_read_b128 v[140:143], v6
	v_add_u32_e32 v135, 1, v135
	v_cmp_lt_u32_e32 vcc, 34, v135
	v_add_u32_e32 v6, 16, v6
	v_add_u32_e32 v7, 16, v7
	s_or_b64 s[8:9], vcc, s[8:9]
	s_waitcnt vmcnt(0) lgkmcnt(0)
	v_mul_f64 v[144:145], v[142:143], v[138:139]
	v_mul_f64 v[138:139], v[140:141], v[138:139]
	v_fma_f64 v[140:141], v[140:141], v[136:137], -v[144:145]
	v_fmac_f64_e32 v[138:139], v[142:143], v[136:137]
	v_add_f64 v[2:3], v[2:3], v[140:141]
	v_add_f64 v[4:5], v[4:5], v[138:139]
	s_andn2_b64 exec, exec, s[8:9]
	s_cbranch_execnz .LBB41_612
; %bb.613:
	s_or_b64 exec, exec, s[8:9]
.LBB41_614:
	s_or_b64 exec, exec, s[6:7]
	v_mov_b32_e32 v6, 0
	ds_read_b128 v[136:139], v6 offset:576
	s_waitcnt lgkmcnt(0)
	v_mul_f64 v[6:7], v[4:5], v[138:139]
	v_mul_f64 v[140:141], v[2:3], v[138:139]
	v_fma_f64 v[138:139], v[2:3], v[136:137], -v[6:7]
	v_fmac_f64_e32 v[140:141], v[4:5], v[136:137]
	scratch_store_dwordx4 off, v[138:141], off offset:576
.LBB41_615:
	s_or_b64 exec, exec, s[2:3]
	scratch_load_dwordx4 v[2:5], v39, off
	v_cmp_gt_u32_e32 vcc, 37, v0
	s_waitcnt vmcnt(0)
	ds_write_b128 v9, v[2:5]
	s_waitcnt lgkmcnt(0)
	; wave barrier
	s_waitcnt lgkmcnt(0)
	s_and_saveexec_b64 s[2:3], vcc
	s_cbranch_execz .LBB41_623
; %bb.616:
	ds_read_b128 v[2:5], v9
	s_and_b64 vcc, exec, s[0:1]
	s_cbranch_vccnz .LBB41_618
; %bb.617:
	scratch_load_dwordx4 v[136:139], v8, off
	s_waitcnt vmcnt(0) lgkmcnt(0)
	v_mul_f64 v[6:7], v[4:5], v[138:139]
	v_mul_f64 v[138:139], v[2:3], v[138:139]
	v_fmac_f64_e32 v[138:139], v[4:5], v[136:137]
	v_fma_f64 v[2:3], v[2:3], v[136:137], -v[6:7]
	v_mov_b64_e32 v[4:5], v[138:139]
.LBB41_618:
	v_cmp_ne_u32_e32 vcc, 36, v0
	s_and_saveexec_b64 s[6:7], vcc
	s_cbranch_execz .LBB41_622
; %bb.619:
	v_mov_b32_e32 v7, 0
	v_add_u32_e32 v6, 0x2b0, v64
	v_add3_u32 v7, v64, v7, 24
	s_mov_b64 s[8:9], 0
	v_mov_b32_e32 v135, v0
.LBB41_620:                             ; =>This Inner Loop Header: Depth=1
	v_add_u32_e32 v136, -8, v7
	scratch_load_dwordx4 v[136:139], v136, off
	ds_read_b128 v[140:143], v6
	v_add_u32_e32 v135, 1, v135
	v_cmp_lt_u32_e32 vcc, 35, v135
	v_add_u32_e32 v6, 16, v6
	v_add_u32_e32 v7, 16, v7
	s_or_b64 s[8:9], vcc, s[8:9]
	s_waitcnt vmcnt(0) lgkmcnt(0)
	v_mul_f64 v[144:145], v[142:143], v[138:139]
	v_mul_f64 v[138:139], v[140:141], v[138:139]
	v_fma_f64 v[140:141], v[140:141], v[136:137], -v[144:145]
	v_fmac_f64_e32 v[138:139], v[142:143], v[136:137]
	v_add_f64 v[2:3], v[2:3], v[140:141]
	v_add_f64 v[4:5], v[4:5], v[138:139]
	s_andn2_b64 exec, exec, s[8:9]
	s_cbranch_execnz .LBB41_620
; %bb.621:
	s_or_b64 exec, exec, s[8:9]
.LBB41_622:
	s_or_b64 exec, exec, s[6:7]
	v_mov_b32_e32 v6, 0
	ds_read_b128 v[136:139], v6 offset:592
	s_waitcnt lgkmcnt(0)
	v_mul_f64 v[6:7], v[4:5], v[138:139]
	v_mul_f64 v[140:141], v[2:3], v[138:139]
	v_fma_f64 v[138:139], v[2:3], v[136:137], -v[6:7]
	v_fmac_f64_e32 v[140:141], v[4:5], v[136:137]
	scratch_store_dwordx4 off, v[138:141], off offset:592
.LBB41_623:
	s_or_b64 exec, exec, s[2:3]
	scratch_load_dwordx4 v[2:5], v38, off
	v_cmp_gt_u32_e32 vcc, 38, v0
	s_waitcnt vmcnt(0)
	ds_write_b128 v9, v[2:5]
	s_waitcnt lgkmcnt(0)
	; wave barrier
	s_waitcnt lgkmcnt(0)
	s_and_saveexec_b64 s[2:3], vcc
	s_cbranch_execz .LBB41_631
; %bb.624:
	ds_read_b128 v[2:5], v9
	s_and_b64 vcc, exec, s[0:1]
	s_cbranch_vccnz .LBB41_626
; %bb.625:
	scratch_load_dwordx4 v[136:139], v8, off
	s_waitcnt vmcnt(0) lgkmcnt(0)
	v_mul_f64 v[6:7], v[4:5], v[138:139]
	v_mul_f64 v[138:139], v[2:3], v[138:139]
	v_fmac_f64_e32 v[138:139], v[4:5], v[136:137]
	v_fma_f64 v[2:3], v[2:3], v[136:137], -v[6:7]
	v_mov_b64_e32 v[4:5], v[138:139]
.LBB41_626:
	v_cmp_ne_u32_e32 vcc, 37, v0
	s_and_saveexec_b64 s[6:7], vcc
	s_cbranch_execz .LBB41_630
; %bb.627:
	v_mov_b32_e32 v7, 0
	v_add_u32_e32 v6, 0x2b0, v64
	v_add3_u32 v7, v64, v7, 24
	s_mov_b64 s[8:9], 0
	v_mov_b32_e32 v135, v0
.LBB41_628:                             ; =>This Inner Loop Header: Depth=1
	v_add_u32_e32 v136, -8, v7
	scratch_load_dwordx4 v[136:139], v136, off
	ds_read_b128 v[140:143], v6
	v_add_u32_e32 v135, 1, v135
	v_cmp_lt_u32_e32 vcc, 36, v135
	v_add_u32_e32 v6, 16, v6
	v_add_u32_e32 v7, 16, v7
	s_or_b64 s[8:9], vcc, s[8:9]
	s_waitcnt vmcnt(0) lgkmcnt(0)
	v_mul_f64 v[144:145], v[142:143], v[138:139]
	v_mul_f64 v[138:139], v[140:141], v[138:139]
	v_fma_f64 v[140:141], v[140:141], v[136:137], -v[144:145]
	v_fmac_f64_e32 v[138:139], v[142:143], v[136:137]
	v_add_f64 v[2:3], v[2:3], v[140:141]
	v_add_f64 v[4:5], v[4:5], v[138:139]
	s_andn2_b64 exec, exec, s[8:9]
	s_cbranch_execnz .LBB41_628
; %bb.629:
	s_or_b64 exec, exec, s[8:9]
.LBB41_630:
	s_or_b64 exec, exec, s[6:7]
	v_mov_b32_e32 v6, 0
	ds_read_b128 v[136:139], v6 offset:608
	s_waitcnt lgkmcnt(0)
	v_mul_f64 v[6:7], v[4:5], v[138:139]
	v_mul_f64 v[140:141], v[2:3], v[138:139]
	v_fma_f64 v[138:139], v[2:3], v[136:137], -v[6:7]
	v_fmac_f64_e32 v[140:141], v[4:5], v[136:137]
	scratch_store_dwordx4 off, v[138:141], off offset:608
.LBB41_631:
	s_or_b64 exec, exec, s[2:3]
	scratch_load_dwordx4 v[2:5], v11, off
	v_cmp_gt_u32_e32 vcc, 39, v0
	s_waitcnt vmcnt(0)
	ds_write_b128 v9, v[2:5]
	s_waitcnt lgkmcnt(0)
	; wave barrier
	s_waitcnt lgkmcnt(0)
	s_and_saveexec_b64 s[2:3], vcc
	s_cbranch_execz .LBB41_639
; %bb.632:
	ds_read_b128 v[2:5], v9
	s_and_b64 vcc, exec, s[0:1]
	s_cbranch_vccnz .LBB41_634
; %bb.633:
	scratch_load_dwordx4 v[136:139], v8, off
	s_waitcnt vmcnt(0) lgkmcnt(0)
	v_mul_f64 v[6:7], v[4:5], v[138:139]
	v_mul_f64 v[138:139], v[2:3], v[138:139]
	v_fmac_f64_e32 v[138:139], v[4:5], v[136:137]
	v_fma_f64 v[2:3], v[2:3], v[136:137], -v[6:7]
	v_mov_b64_e32 v[4:5], v[138:139]
.LBB41_634:
	v_cmp_ne_u32_e32 vcc, 38, v0
	s_and_saveexec_b64 s[6:7], vcc
	s_cbranch_execz .LBB41_638
; %bb.635:
	v_mov_b32_e32 v7, 0
	v_add_u32_e32 v6, 0x2b0, v64
	v_add3_u32 v7, v64, v7, 24
	s_mov_b64 s[8:9], 0
	v_mov_b32_e32 v135, v0
.LBB41_636:                             ; =>This Inner Loop Header: Depth=1
	v_add_u32_e32 v136, -8, v7
	scratch_load_dwordx4 v[136:139], v136, off
	ds_read_b128 v[140:143], v6
	v_add_u32_e32 v135, 1, v135
	v_cmp_lt_u32_e32 vcc, 37, v135
	v_add_u32_e32 v6, 16, v6
	v_add_u32_e32 v7, 16, v7
	s_or_b64 s[8:9], vcc, s[8:9]
	s_waitcnt vmcnt(0) lgkmcnt(0)
	v_mul_f64 v[144:145], v[142:143], v[138:139]
	v_mul_f64 v[138:139], v[140:141], v[138:139]
	v_fma_f64 v[140:141], v[140:141], v[136:137], -v[144:145]
	v_fmac_f64_e32 v[138:139], v[142:143], v[136:137]
	v_add_f64 v[2:3], v[2:3], v[140:141]
	v_add_f64 v[4:5], v[4:5], v[138:139]
	s_andn2_b64 exec, exec, s[8:9]
	s_cbranch_execnz .LBB41_636
; %bb.637:
	s_or_b64 exec, exec, s[8:9]
.LBB41_638:
	s_or_b64 exec, exec, s[6:7]
	v_mov_b32_e32 v6, 0
	ds_read_b128 v[136:139], v6 offset:624
	s_waitcnt lgkmcnt(0)
	v_mul_f64 v[6:7], v[4:5], v[138:139]
	v_mul_f64 v[140:141], v[2:3], v[138:139]
	v_fma_f64 v[138:139], v[2:3], v[136:137], -v[6:7]
	v_fmac_f64_e32 v[140:141], v[4:5], v[136:137]
	scratch_store_dwordx4 off, v[138:141], off offset:624
.LBB41_639:
	s_or_b64 exec, exec, s[2:3]
	scratch_load_dwordx4 v[2:5], v10, off
	v_cmp_gt_u32_e64 s[2:3], 40, v0
	s_waitcnt vmcnt(0)
	ds_write_b128 v9, v[2:5]
	s_waitcnt lgkmcnt(0)
	; wave barrier
	s_waitcnt lgkmcnt(0)
	s_and_saveexec_b64 s[6:7], s[2:3]
	s_cbranch_execz .LBB41_647
; %bb.640:
	ds_read_b128 v[2:5], v9
	s_and_b64 vcc, exec, s[0:1]
	s_cbranch_vccnz .LBB41_642
; %bb.641:
	scratch_load_dwordx4 v[136:139], v8, off
	s_waitcnt vmcnt(0) lgkmcnt(0)
	v_mul_f64 v[6:7], v[4:5], v[138:139]
	v_mul_f64 v[138:139], v[2:3], v[138:139]
	v_fmac_f64_e32 v[138:139], v[4:5], v[136:137]
	v_fma_f64 v[2:3], v[2:3], v[136:137], -v[6:7]
	v_mov_b64_e32 v[4:5], v[138:139]
.LBB41_642:
	v_cmp_ne_u32_e32 vcc, 39, v0
	s_and_saveexec_b64 s[8:9], vcc
	s_cbranch_execz .LBB41_646
; %bb.643:
	v_mov_b32_e32 v7, 0
	v_add_u32_e32 v6, 0x2b0, v64
	v_add3_u32 v7, v64, v7, 24
	s_mov_b64 s[10:11], 0
	v_mov_b32_e32 v135, v0
.LBB41_644:                             ; =>This Inner Loop Header: Depth=1
	v_add_u32_e32 v136, -8, v7
	scratch_load_dwordx4 v[136:139], v136, off
	ds_read_b128 v[140:143], v6
	v_add_u32_e32 v135, 1, v135
	v_cmp_lt_u32_e32 vcc, 38, v135
	v_add_u32_e32 v6, 16, v6
	v_add_u32_e32 v7, 16, v7
	s_or_b64 s[10:11], vcc, s[10:11]
	s_waitcnt vmcnt(0) lgkmcnt(0)
	v_mul_f64 v[144:145], v[142:143], v[138:139]
	v_mul_f64 v[138:139], v[140:141], v[138:139]
	v_fma_f64 v[140:141], v[140:141], v[136:137], -v[144:145]
	v_fmac_f64_e32 v[138:139], v[142:143], v[136:137]
	v_add_f64 v[2:3], v[2:3], v[140:141]
	v_add_f64 v[4:5], v[4:5], v[138:139]
	s_andn2_b64 exec, exec, s[10:11]
	s_cbranch_execnz .LBB41_644
; %bb.645:
	s_or_b64 exec, exec, s[10:11]
.LBB41_646:
	s_or_b64 exec, exec, s[8:9]
	v_mov_b32_e32 v6, 0
	ds_read_b128 v[136:139], v6 offset:640
	s_waitcnt lgkmcnt(0)
	v_mul_f64 v[6:7], v[4:5], v[138:139]
	v_mul_f64 v[140:141], v[2:3], v[138:139]
	v_fma_f64 v[138:139], v[2:3], v[136:137], -v[6:7]
	v_fmac_f64_e32 v[140:141], v[4:5], v[136:137]
	scratch_store_dwordx4 off, v[138:141], off offset:640
.LBB41_647:
	s_or_b64 exec, exec, s[6:7]
	scratch_load_dwordx4 v[2:5], v1, off
	v_cmp_ne_u32_e32 vcc, 41, v0
                                        ; implicit-def: $vgpr6_vgpr7
                                        ; implicit-def: $vgpr135
	s_waitcnt vmcnt(0)
	ds_write_b128 v9, v[2:5]
	s_waitcnt lgkmcnt(0)
	; wave barrier
	s_waitcnt lgkmcnt(0)
	s_and_saveexec_b64 s[6:7], vcc
	s_cbranch_execz .LBB41_655
; %bb.648:
	ds_read_b128 v[2:5], v9
	s_and_b64 vcc, exec, s[0:1]
	s_cbranch_vccnz .LBB41_650
; %bb.649:
	scratch_load_dwordx4 v[6:9], v8, off
	s_waitcnt vmcnt(0) lgkmcnt(0)
	v_mul_f64 v[136:137], v[4:5], v[8:9]
	v_mul_f64 v[8:9], v[2:3], v[8:9]
	v_fmac_f64_e32 v[8:9], v[4:5], v[6:7]
	v_fma_f64 v[2:3], v[2:3], v[6:7], -v[136:137]
	v_mov_b64_e32 v[4:5], v[8:9]
.LBB41_650:
	s_and_saveexec_b64 s[0:1], s[2:3]
	s_cbranch_execz .LBB41_654
; %bb.651:
	v_mov_b32_e32 v7, 0
	v_add_u32_e32 v6, 0x2b0, v64
	v_add3_u32 v7, v64, v7, 24
	s_mov_b64 s[2:3], 0
.LBB41_652:                             ; =>This Inner Loop Header: Depth=1
	v_add_u32_e32 v8, -8, v7
	scratch_load_dwordx4 v[136:139], v8, off
	ds_read_b128 v[140:143], v6
	v_add_u32_e32 v0, 1, v0
	v_cmp_lt_u32_e32 vcc, 39, v0
	v_add_u32_e32 v6, 16, v6
	v_add_u32_e32 v7, 16, v7
	s_or_b64 s[2:3], vcc, s[2:3]
	s_waitcnt vmcnt(0) lgkmcnt(0)
	v_mul_f64 v[8:9], v[142:143], v[138:139]
	v_mul_f64 v[138:139], v[140:141], v[138:139]
	v_fma_f64 v[8:9], v[140:141], v[136:137], -v[8:9]
	v_fmac_f64_e32 v[138:139], v[142:143], v[136:137]
	v_add_f64 v[2:3], v[2:3], v[8:9]
	v_add_f64 v[4:5], v[4:5], v[138:139]
	s_andn2_b64 exec, exec, s[2:3]
	s_cbranch_execnz .LBB41_652
; %bb.653:
	s_or_b64 exec, exec, s[2:3]
.LBB41_654:
	s_or_b64 exec, exec, s[0:1]
	v_mov_b32_e32 v0, 0
	ds_read_b128 v[136:139], v0 offset:656
	v_mov_b32_e32 v0, 0
	v_add_u32_e32 v135, 0x298, v0
	s_or_b64 s[4:5], s[4:5], exec
	s_waitcnt lgkmcnt(0)
	v_mul_f64 v[8:9], v[4:5], v[138:139]
	v_mul_f64 v[6:7], v[2:3], v[138:139]
	v_fma_f64 v[2:3], v[2:3], v[136:137], -v[8:9]
	v_fmac_f64_e32 v[6:7], v[4:5], v[136:137]
	scratch_store_dwordx2 off, v[2:3], off offset:656
.LBB41_655:
	s_or_b64 exec, exec, s[6:7]
.LBB41_656:
	s_and_saveexec_b64 s[0:1], s[4:5]
	s_cbranch_execz .LBB41_658
; %bb.657:
	scratch_store_dwordx2 v135, v[6:7], off
.LBB41_658:
	s_or_b64 exec, exec, s[0:1]
	scratch_load_dwordx4 v[2:5], off, off
	scratch_load_dwordx4 v[6:9], v134, off
	s_nop 0
	scratch_load_dwordx4 v[134:137], v133, off
	scratch_load_dwordx4 v[138:141], v132, off
	;; [unrolled: 1-line block ×3, first 2 shown]
	s_nop 0
	scratch_load_dwordx4 v[130:133], v130, off
	s_nop 0
	scratch_load_dwordx4 v[146:149], v129, off
	scratch_load_dwordx4 v[150:153], v128, off
	;; [unrolled: 1-line block ×3, first 2 shown]
	s_nop 0
	scratch_load_dwordx4 v[126:129], v126, off
	s_nop 0
	scratch_load_dwordx4 v[158:161], v125, off
	scratch_load_dwordx4 v[162:165], v124, off
	s_waitcnt vmcnt(11)
	global_store_dwordx4 v[42:43], v[2:5], off
	scratch_load_dwordx4 v[2:5], v123, off
	s_nop 0
	scratch_load_dwordx4 v[122:125], v122, off
	s_waitcnt vmcnt(13)
	global_store_dwordx4 v[44:45], v[6:9], off
	scratch_load_dwordx4 v[6:9], v121, off
	s_nop 0
	;; [unrolled: 5-line block ×15, first 2 shown]
	scratch_load_dwordx4 v[170:173], v1, off
	s_waitcnt vmcnt(39)
	global_store_dwordx4 v[12:13], v[42:45], off
	s_waitcnt vmcnt(38)
	global_store_dwordx4 v[16:17], v[134:137], off
	;; [unrolled: 2-line block ×27, first 2 shown]
.LBB41_659:
	s_endpgm
	.section	.rodata,"a",@progbits
	.p2align	6, 0x0
	.amdhsa_kernel _ZN9rocsolver6v33100L18trti2_kernel_smallILi42E19rocblas_complex_numIdEPS3_EEv13rocblas_fill_17rocblas_diagonal_T1_iil
		.amdhsa_group_segment_fixed_size 1344
		.amdhsa_private_segment_fixed_size 688
		.amdhsa_kernarg_size 32
		.amdhsa_user_sgpr_count 2
		.amdhsa_user_sgpr_dispatch_ptr 0
		.amdhsa_user_sgpr_queue_ptr 0
		.amdhsa_user_sgpr_kernarg_segment_ptr 1
		.amdhsa_user_sgpr_dispatch_id 0
		.amdhsa_user_sgpr_kernarg_preload_length 0
		.amdhsa_user_sgpr_kernarg_preload_offset 0
		.amdhsa_user_sgpr_private_segment_size 0
		.amdhsa_uses_dynamic_stack 0
		.amdhsa_enable_private_segment 1
		.amdhsa_system_sgpr_workgroup_id_x 1
		.amdhsa_system_sgpr_workgroup_id_y 0
		.amdhsa_system_sgpr_workgroup_id_z 0
		.amdhsa_system_sgpr_workgroup_info 0
		.amdhsa_system_vgpr_workitem_id 0
		.amdhsa_next_free_vgpr 174
		.amdhsa_next_free_sgpr 12
		.amdhsa_accum_offset 176
		.amdhsa_reserve_vcc 1
		.amdhsa_float_round_mode_32 0
		.amdhsa_float_round_mode_16_64 0
		.amdhsa_float_denorm_mode_32 3
		.amdhsa_float_denorm_mode_16_64 3
		.amdhsa_dx10_clamp 1
		.amdhsa_ieee_mode 1
		.amdhsa_fp16_overflow 0
		.amdhsa_tg_split 0
		.amdhsa_exception_fp_ieee_invalid_op 0
		.amdhsa_exception_fp_denorm_src 0
		.amdhsa_exception_fp_ieee_div_zero 0
		.amdhsa_exception_fp_ieee_overflow 0
		.amdhsa_exception_fp_ieee_underflow 0
		.amdhsa_exception_fp_ieee_inexact 0
		.amdhsa_exception_int_div_zero 0
	.end_amdhsa_kernel
	.section	.text._ZN9rocsolver6v33100L18trti2_kernel_smallILi42E19rocblas_complex_numIdEPS3_EEv13rocblas_fill_17rocblas_diagonal_T1_iil,"axG",@progbits,_ZN9rocsolver6v33100L18trti2_kernel_smallILi42E19rocblas_complex_numIdEPS3_EEv13rocblas_fill_17rocblas_diagonal_T1_iil,comdat
.Lfunc_end41:
	.size	_ZN9rocsolver6v33100L18trti2_kernel_smallILi42E19rocblas_complex_numIdEPS3_EEv13rocblas_fill_17rocblas_diagonal_T1_iil, .Lfunc_end41-_ZN9rocsolver6v33100L18trti2_kernel_smallILi42E19rocblas_complex_numIdEPS3_EEv13rocblas_fill_17rocblas_diagonal_T1_iil
                                        ; -- End function
	.section	.AMDGPU.csdata,"",@progbits
; Kernel info:
; codeLenInByte = 27672
; NumSgprs: 18
; NumVgprs: 174
; NumAgprs: 0
; TotalNumVgprs: 174
; ScratchSize: 688
; MemoryBound: 0
; FloatMode: 240
; IeeeMode: 1
; LDSByteSize: 1344 bytes/workgroup (compile time only)
; SGPRBlocks: 2
; VGPRBlocks: 21
; NumSGPRsForWavesPerEU: 18
; NumVGPRsForWavesPerEU: 174
; AccumOffset: 176
; Occupancy: 2
; WaveLimiterHint : 0
; COMPUTE_PGM_RSRC2:SCRATCH_EN: 1
; COMPUTE_PGM_RSRC2:USER_SGPR: 2
; COMPUTE_PGM_RSRC2:TRAP_HANDLER: 0
; COMPUTE_PGM_RSRC2:TGID_X_EN: 1
; COMPUTE_PGM_RSRC2:TGID_Y_EN: 0
; COMPUTE_PGM_RSRC2:TGID_Z_EN: 0
; COMPUTE_PGM_RSRC2:TIDIG_COMP_CNT: 0
; COMPUTE_PGM_RSRC3_GFX90A:ACCUM_OFFSET: 43
; COMPUTE_PGM_RSRC3_GFX90A:TG_SPLIT: 0
	.section	.text._ZN9rocsolver6v33100L18trti2_kernel_smallILi43E19rocblas_complex_numIdEPS3_EEv13rocblas_fill_17rocblas_diagonal_T1_iil,"axG",@progbits,_ZN9rocsolver6v33100L18trti2_kernel_smallILi43E19rocblas_complex_numIdEPS3_EEv13rocblas_fill_17rocblas_diagonal_T1_iil,comdat
	.globl	_ZN9rocsolver6v33100L18trti2_kernel_smallILi43E19rocblas_complex_numIdEPS3_EEv13rocblas_fill_17rocblas_diagonal_T1_iil ; -- Begin function _ZN9rocsolver6v33100L18trti2_kernel_smallILi43E19rocblas_complex_numIdEPS3_EEv13rocblas_fill_17rocblas_diagonal_T1_iil
	.p2align	8
	.type	_ZN9rocsolver6v33100L18trti2_kernel_smallILi43E19rocblas_complex_numIdEPS3_EEv13rocblas_fill_17rocblas_diagonal_T1_iil,@function
_ZN9rocsolver6v33100L18trti2_kernel_smallILi43E19rocblas_complex_numIdEPS3_EEv13rocblas_fill_17rocblas_diagonal_T1_iil: ; @_ZN9rocsolver6v33100L18trti2_kernel_smallILi43E19rocblas_complex_numIdEPS3_EEv13rocblas_fill_17rocblas_diagonal_T1_iil
; %bb.0:
	v_cmp_gt_u32_e32 vcc, 43, v0
	s_and_saveexec_b64 s[4:5], vcc
	s_cbranch_execz .LBB42_675
; %bb.1:
	s_load_dwordx8 s[4:11], s[0:1], 0x0
	s_ashr_i32 s3, s2, 31
	v_lshlrev_b32_e32 v62, 4, v0
	v_mov_b32_e32 v63, 0
	v_mov_b32_e32 v1, 0
	s_waitcnt lgkmcnt(0)
	s_ashr_i32 s1, s8, 31
	s_mov_b32 s0, s8
	s_mul_i32 s8, s2, s11
	s_mul_hi_u32 s11, s2, s10
	s_add_i32 s8, s11, s8
	s_mul_i32 s3, s3, s10
	s_add_i32 s3, s8, s3
	s_mul_i32 s2, s2, s10
	s_lshl_b64 s[2:3], s[2:3], 4
	s_add_u32 s2, s6, s2
	s_addc_u32 s3, s7, s3
	s_lshl_b64 s[0:1], s[0:1], 4
	s_add_u32 s0, s2, s0
	s_addc_u32 s1, s3, s1
	v_lshl_add_u64 v[12:13], s[0:1], 0, v[62:63]
	s_ashr_i32 s3, s9, 31
	s_mov_b32 s2, s9
	v_lshl_add_u64 v[14:15], s[2:3], 4, v[12:13]
	s_add_i32 s2, s9, s9
	v_add_u32_e32 v10, s2, v0
	v_ashrrev_i32_e32 v11, 31, v10
	v_lshl_add_u64 v[16:17], v[10:11], 4, s[0:1]
	v_add_u32_e32 v10, s9, v10
	v_ashrrev_i32_e32 v11, 31, v10
	v_lshl_add_u64 v[18:19], v[10:11], 4, s[0:1]
	;; [unrolled: 3-line block ×6, first 2 shown]
	v_add_u32_e32 v10, s9, v10
	v_ashrrev_i32_e32 v11, 31, v10
	v_add_u32_e32 v30, s9, v10
	v_lshl_add_u64 v[28:29], v[10:11], 4, s[0:1]
	v_add_u32_e32 v10, s9, v30
	v_ashrrev_i32_e32 v11, 31, v10
	v_add_u32_e32 v34, s9, v10
	v_lshl_add_u64 v[32:33], v[10:11], 4, s[0:1]
	;; [unrolled: 4-line block ×3, first 2 shown]
	v_add_u32_e32 v10, s9, v40
	v_ashrrev_i32_e32 v41, 31, v40
	v_ashrrev_i32_e32 v11, 31, v10
	v_add_u32_e32 v42, s9, v10
	v_lshl_add_u64 v[38:39], v[40:41], 4, s[0:1]
	v_lshl_add_u64 v[40:41], v[10:11], 4, s[0:1]
	v_add_u32_e32 v10, s9, v42
	v_ashrrev_i32_e32 v11, 31, v10
	v_add_u32_e32 v48, s9, v10
	v_lshl_add_u64 v[44:45], v[10:11], 4, s[0:1]
	v_add_u32_e32 v10, s9, v48
	v_ashrrev_i32_e32 v49, 31, v48
	v_ashrrev_i32_e32 v11, 31, v10
	v_add_u32_e32 v52, s9, v10
	v_lshl_add_u64 v[46:47], v[48:49], 4, s[0:1]
	v_lshl_add_u64 v[48:49], v[10:11], 4, s[0:1]
	v_add_u32_e32 v10, s9, v52
	v_ashrrev_i32_e32 v53, 31, v52
	v_ashrrev_i32_e32 v11, 31, v10
	v_lshl_add_u64 v[50:51], v[52:53], 4, s[0:1]
	v_lshl_add_u64 v[52:53], v[10:11], 4, s[0:1]
	v_add_u32_e32 v10, s9, v10
	v_ashrrev_i32_e32 v11, 31, v10
	v_lshl_add_u64 v[54:55], v[10:11], 4, s[0:1]
	v_add_u32_e32 v10, s9, v10
	v_ashrrev_i32_e32 v11, 31, v10
	;; [unrolled: 3-line block ×3, first 2 shown]
	v_ashrrev_i32_e32 v31, 31, v30
	v_ashrrev_i32_e32 v35, 31, v34
	;; [unrolled: 1-line block ×3, first 2 shown]
	v_lshl_add_u64 v[58:59], v[10:11], 4, s[0:1]
	v_add_u32_e32 v10, s9, v10
	v_lshl_add_u64 v[30:31], v[30:31], 4, s[0:1]
	v_lshl_add_u64 v[34:35], v[34:35], 4, s[0:1]
	;; [unrolled: 1-line block ×3, first 2 shown]
	v_ashrrev_i32_e32 v11, 31, v10
	global_load_dwordx4 v[2:5], v62, s[0:1]
	global_load_dwordx4 v[6:9], v[14:15], off
	global_load_dwordx4 v[64:67], v[16:17], off
	;; [unrolled: 1-line block ×22, first 2 shown]
	v_lshl_add_u64 v[60:61], v[10:11], 4, s[0:1]
	global_load_dwordx4 v[148:151], v[58:59], off
	global_load_dwordx4 v[152:155], v[60:61], off
	s_cmpk_lg_i32 s5, 0x84
	s_cselect_b64 s[6:7], -1, 0
	s_cmpk_eq_i32 s5, 0x84
	s_waitcnt vmcnt(24)
	scratch_store_dwordx4 off, v[2:5], off
	s_waitcnt vmcnt(24)
	scratch_store_dwordx4 off, v[6:9], off offset:16
	s_waitcnt vmcnt(24)
	scratch_store_dwordx4 off, v[64:67], off offset:32
	;; [unrolled: 2-line block ×24, first 2 shown]
	v_add_u32_e32 v2, s9, v10
	v_add_u32_e32 v10, s9, v2
	v_ashrrev_i32_e32 v11, 31, v10
	v_lshl_add_u64 v[66:67], v[10:11], 4, s[0:1]
	v_add_u32_e32 v10, s9, v10
	v_ashrrev_i32_e32 v11, 31, v10
	v_lshl_add_u64 v[68:69], v[10:11], 4, s[0:1]
	;; [unrolled: 3-line block ×15, first 2 shown]
	v_add_u32_e32 v10, s9, v10
	v_ashrrev_i32_e32 v11, 31, v10
	v_ashrrev_i32_e32 v3, 31, v2
	v_lshl_add_u64 v[96:97], v[10:11], 4, s[0:1]
	v_add_u32_e32 v10, s9, v10
	v_lshl_add_u64 v[64:65], v[2:3], 4, s[0:1]
	v_ashrrev_i32_e32 v11, 31, v10
	global_load_dwordx4 v[2:5], v[64:65], off
	global_load_dwordx4 v[6:9], v[66:67], off
	;; [unrolled: 1-line block ×16, first 2 shown]
	v_lshl_add_u64 v[98:99], v[10:11], 4, s[0:1]
	global_load_dwordx4 v[156:159], v[96:97], off
	global_load_dwordx4 v[160:163], v[98:99], off
	s_waitcnt vmcnt(17)
	scratch_store_dwordx4 off, v[2:5], off offset:400
	s_waitcnt vmcnt(17)
	scratch_store_dwordx4 off, v[6:9], off offset:416
	;; [unrolled: 2-line block ×18, first 2 shown]
	s_cbranch_scc1 .LBB42_7
; %bb.2:
	scratch_load_dwordx4 v[8:11], v62, off
                                        ; implicit-def: $vgpr6_vgpr7
	s_waitcnt vmcnt(0)
	v_xor_b32_e32 v3, 0x80000000, v9
	v_cmp_gt_f64_e32 vcc, 0, v[8:9]
	v_xor_b32_e32 v4, 0x80000000, v11
	v_mov_b32_e32 v2, v8
	v_cndmask_b32_e32 v3, v9, v3, vcc
	v_cmp_gt_f64_e32 vcc, 0, v[10:11]
	s_nop 1
	v_cndmask_b32_e32 v5, v11, v4, vcc
	v_mov_b32_e32 v4, v10
	v_cmp_ngt_f64_e32 vcc, v[2:3], v[4:5]
                                        ; implicit-def: $vgpr2_vgpr3
	s_and_saveexec_b64 s[0:1], vcc
	s_xor_b64 s[0:1], exec, s[0:1]
	s_cbranch_execz .LBB42_4
; %bb.3:
	v_div_scale_f64 v[2:3], s[2:3], v[10:11], v[10:11], v[8:9]
	v_rcp_f64_e32 v[4:5], v[2:3]
	v_div_scale_f64 v[6:7], vcc, v[8:9], v[10:11], v[8:9]
	v_fma_f64 v[100:101], -v[2:3], v[4:5], 1.0
	v_fmac_f64_e32 v[4:5], v[4:5], v[100:101]
	v_fma_f64 v[100:101], -v[2:3], v[4:5], 1.0
	v_fmac_f64_e32 v[4:5], v[4:5], v[100:101]
	v_mul_f64 v[100:101], v[6:7], v[4:5]
	v_fma_f64 v[2:3], -v[2:3], v[100:101], v[6:7]
	v_div_fmas_f64 v[2:3], v[2:3], v[4:5], v[100:101]
	v_div_fixup_f64 v[2:3], v[2:3], v[10:11], v[8:9]
	v_fmac_f64_e32 v[10:11], v[8:9], v[2:3]
	v_div_scale_f64 v[4:5], s[2:3], v[10:11], v[10:11], 1.0
	v_rcp_f64_e32 v[6:7], v[4:5]
	s_nop 0
	v_fma_f64 v[8:9], -v[4:5], v[6:7], 1.0
	v_fmac_f64_e32 v[6:7], v[6:7], v[8:9]
	v_fma_f64 v[8:9], -v[4:5], v[6:7], 1.0
	v_fmac_f64_e32 v[6:7], v[6:7], v[8:9]
	v_div_scale_f64 v[8:9], vcc, 1.0, v[10:11], 1.0
	v_mul_f64 v[100:101], v[8:9], v[6:7]
	v_fma_f64 v[4:5], -v[4:5], v[100:101], v[8:9]
                                        ; implicit-def: $vgpr8_vgpr9
	s_nop 1
	v_div_fmas_f64 v[4:5], v[4:5], v[6:7], v[100:101]
	v_div_fixup_f64 v[4:5], v[4:5], v[10:11], 1.0
	v_mul_f64 v[2:3], v[2:3], v[4:5]
	v_xor_b32_e32 v5, 0x80000000, v5
	v_xor_b32_e32 v7, 0x80000000, v3
	v_mov_b32_e32 v6, v2
.LBB42_4:
	s_or_saveexec_b64 s[0:1], s[0:1]
	v_add_u32_e32 v63, 0, v62
	s_xor_b64 exec, exec, s[0:1]
	s_cbranch_execz .LBB42_6
; %bb.5:
	v_div_scale_f64 v[2:3], s[2:3], v[8:9], v[8:9], v[10:11]
	v_rcp_f64_e32 v[4:5], v[2:3]
	v_div_scale_f64 v[6:7], vcc, v[10:11], v[8:9], v[10:11]
	v_fma_f64 v[100:101], -v[2:3], v[4:5], 1.0
	v_fmac_f64_e32 v[4:5], v[4:5], v[100:101]
	v_fma_f64 v[100:101], -v[2:3], v[4:5], 1.0
	v_fmac_f64_e32 v[4:5], v[4:5], v[100:101]
	v_mul_f64 v[100:101], v[6:7], v[4:5]
	v_fma_f64 v[2:3], -v[2:3], v[100:101], v[6:7]
	v_div_fmas_f64 v[2:3], v[2:3], v[4:5], v[100:101]
	v_div_fixup_f64 v[4:5], v[2:3], v[8:9], v[10:11]
	v_fmac_f64_e32 v[8:9], v[10:11], v[4:5]
	v_div_scale_f64 v[2:3], s[2:3], v[8:9], v[8:9], 1.0
	v_rcp_f64_e32 v[6:7], v[2:3]
	s_nop 0
	v_fma_f64 v[10:11], -v[2:3], v[6:7], 1.0
	v_fmac_f64_e32 v[6:7], v[6:7], v[10:11]
	v_fma_f64 v[10:11], -v[2:3], v[6:7], 1.0
	v_fmac_f64_e32 v[6:7], v[6:7], v[10:11]
	v_div_scale_f64 v[10:11], vcc, 1.0, v[8:9], 1.0
	v_mul_f64 v[100:101], v[10:11], v[6:7]
	v_fma_f64 v[2:3], -v[2:3], v[100:101], v[10:11]
	s_nop 1
	v_div_fmas_f64 v[2:3], v[2:3], v[6:7], v[100:101]
	v_div_fixup_f64 v[2:3], v[2:3], v[8:9], 1.0
	v_xor_b32_e32 v7, 0x80000000, v3
	v_mov_b32_e32 v6, v2
	v_mul_f64 v[4:5], v[4:5], -v[2:3]
.LBB42_6:
	s_or_b64 exec, exec, s[0:1]
	scratch_store_dwordx4 v63, v[2:5], off
	s_nop 1
	v_xor_b32_e32 v5, 0x80000000, v5
	s_branch .LBB42_8
.LBB42_7:
	v_mov_b64_e32 v[4:5], 0
	v_mov_b64_e32 v[6:7], -1.0
.LBB42_8:
	v_mov_b32_e32 v8, v4
	v_mov_b32_e32 v9, v5
	v_add_u32_e32 v137, 16, v1
	v_add_u32_e32 v136, 32, v1
	;; [unrolled: 1-line block ×42, first 2 shown]
	ds_write_b128 v62, v[6:9]
	s_cmpk_eq_i32 s4, 0x79
	v_add_u32_e32 v9, 0x2b0, v62
	v_add_u32_e32 v8, 0, v62
	s_cbranch_scc1 .LBB42_340
; %bb.9:
	scratch_load_dwordx4 v[2:5], v10, off
	v_cmp_eq_u32_e64 s[0:1], 42, v0
	s_waitcnt vmcnt(0)
	ds_write_b128 v9, v[2:5]
	s_waitcnt lgkmcnt(0)
	; wave barrier
	s_waitcnt lgkmcnt(0)
	s_and_saveexec_b64 s[2:3], s[0:1]
	s_cbranch_execz .LBB42_13
; %bb.10:
	ds_read_b128 v[2:5], v9
	s_andn2_b64 vcc, exec, s[6:7]
	s_cbranch_vccnz .LBB42_12
; %bb.11:
	scratch_load_dwordx4 v[138:141], v8, off
	s_waitcnt vmcnt(0) lgkmcnt(0)
	v_mul_f64 v[6:7], v[4:5], v[140:141]
	v_mul_f64 v[140:141], v[2:3], v[140:141]
	v_fmac_f64_e32 v[140:141], v[4:5], v[138:139]
	v_fma_f64 v[2:3], v[2:3], v[138:139], -v[6:7]
	v_mov_b64_e32 v[4:5], v[140:141]
.LBB42_12:
	v_mov_b32_e32 v6, 0
	ds_read_b128 v[138:141], v6 offset:656
	s_waitcnt lgkmcnt(0)
	v_mul_f64 v[6:7], v[4:5], v[140:141]
	v_mul_f64 v[142:143], v[2:3], v[140:141]
	v_fma_f64 v[140:141], v[2:3], v[138:139], -v[6:7]
	v_fmac_f64_e32 v[142:143], v[4:5], v[138:139]
	scratch_store_dwordx4 off, v[140:143], off offset:656
.LBB42_13:
	s_or_b64 exec, exec, s[2:3]
	scratch_load_dwordx4 v[2:5], v11, off
	v_cmp_lt_u32_e64 s[2:3], 40, v0
	s_waitcnt vmcnt(0)
	ds_write_b128 v9, v[2:5]
	s_waitcnt lgkmcnt(0)
	; wave barrier
	s_waitcnt lgkmcnt(0)
	s_and_saveexec_b64 s[4:5], s[2:3]
	s_cbranch_execz .LBB42_19
; %bb.14:
	ds_read_b128 v[2:5], v9
	s_andn2_b64 vcc, exec, s[6:7]
	s_cbranch_vccnz .LBB42_16
; %bb.15:
	scratch_load_dwordx4 v[138:141], v8, off
	s_waitcnt vmcnt(0) lgkmcnt(0)
	v_mul_f64 v[6:7], v[4:5], v[140:141]
	v_mul_f64 v[140:141], v[2:3], v[140:141]
	v_fmac_f64_e32 v[140:141], v[4:5], v[138:139]
	v_fma_f64 v[2:3], v[2:3], v[138:139], -v[6:7]
	v_mov_b64_e32 v[4:5], v[140:141]
.LBB42_16:
	s_and_saveexec_b64 s[8:9], s[0:1]
	s_cbranch_execz .LBB42_18
; %bb.17:
	scratch_load_dwordx4 v[138:141], off, off offset:656
	v_mov_b32_e32 v6, 0
	ds_read_b128 v[142:145], v6 offset:1344
	s_waitcnt vmcnt(0) lgkmcnt(0)
	v_mul_f64 v[6:7], v[142:143], v[140:141]
	v_mul_f64 v[140:141], v[144:145], v[140:141]
	v_fmac_f64_e32 v[6:7], v[144:145], v[138:139]
	v_fma_f64 v[138:139], v[142:143], v[138:139], -v[140:141]
	v_add_f64 v[4:5], v[4:5], v[6:7]
	v_add_f64 v[2:3], v[2:3], v[138:139]
.LBB42_18:
	s_or_b64 exec, exec, s[8:9]
	v_mov_b32_e32 v6, 0
	ds_read_b128 v[138:141], v6 offset:640
	s_waitcnt lgkmcnt(0)
	v_mul_f64 v[6:7], v[4:5], v[140:141]
	v_mul_f64 v[142:143], v[2:3], v[140:141]
	v_fma_f64 v[140:141], v[2:3], v[138:139], -v[6:7]
	v_fmac_f64_e32 v[142:143], v[4:5], v[138:139]
	scratch_store_dwordx4 off, v[140:143], off offset:640
.LBB42_19:
	s_or_b64 exec, exec, s[4:5]
	scratch_load_dwordx4 v[2:5], v63, off
	v_cmp_lt_u32_e64 s[0:1], 39, v0
	s_waitcnt vmcnt(0)
	ds_write_b128 v9, v[2:5]
	s_waitcnt lgkmcnt(0)
	; wave barrier
	s_waitcnt lgkmcnt(0)
	s_and_saveexec_b64 s[4:5], s[0:1]
	s_cbranch_execz .LBB42_27
; %bb.20:
	ds_read_b128 v[2:5], v9
	s_andn2_b64 vcc, exec, s[6:7]
	s_cbranch_vccnz .LBB42_22
; %bb.21:
	scratch_load_dwordx4 v[138:141], v8, off
	s_waitcnt vmcnt(0) lgkmcnt(0)
	v_mul_f64 v[6:7], v[4:5], v[140:141]
	v_mul_f64 v[140:141], v[2:3], v[140:141]
	v_fmac_f64_e32 v[140:141], v[4:5], v[138:139]
	v_fma_f64 v[2:3], v[2:3], v[138:139], -v[6:7]
	v_mov_b64_e32 v[4:5], v[140:141]
.LBB42_22:
	s_and_saveexec_b64 s[8:9], s[2:3]
	s_cbranch_execz .LBB42_26
; %bb.23:
	v_mov_b32_e32 v7, 0
	v_subrev_u32_e32 v6, 40, v0
	v_add_u32_e32 v7, 0x288, v7
	s_movk_i32 s10, 0x530
	s_mov_b64 s[2:3], 0
.LBB42_24:                              ; =>This Inner Loop Header: Depth=1
	v_add_u32_e32 v138, -8, v7
	scratch_load_dwordx4 v[138:141], v138, off
	v_mov_b32_e32 v142, s10
	ds_read_b128 v[142:145], v142
	v_add_u32_e32 v6, -1, v6
	s_add_i32 s10, s10, 16
	v_cmp_eq_u32_e32 vcc, 0, v6
	v_add_u32_e32 v7, 16, v7
	s_or_b64 s[2:3], vcc, s[2:3]
	s_waitcnt vmcnt(0) lgkmcnt(0)
	v_mul_f64 v[146:147], v[144:145], v[140:141]
	v_mul_f64 v[140:141], v[142:143], v[140:141]
	v_fma_f64 v[142:143], v[142:143], v[138:139], -v[146:147]
	v_fmac_f64_e32 v[140:141], v[144:145], v[138:139]
	v_add_f64 v[2:3], v[2:3], v[142:143]
	v_add_f64 v[4:5], v[4:5], v[140:141]
	s_andn2_b64 exec, exec, s[2:3]
	s_cbranch_execnz .LBB42_24
; %bb.25:
	s_or_b64 exec, exec, s[2:3]
.LBB42_26:
	s_or_b64 exec, exec, s[8:9]
	v_mov_b32_e32 v6, 0
	ds_read_b128 v[138:141], v6 offset:624
	s_waitcnt lgkmcnt(0)
	v_mul_f64 v[6:7], v[4:5], v[140:141]
	v_mul_f64 v[142:143], v[2:3], v[140:141]
	v_fma_f64 v[140:141], v[2:3], v[138:139], -v[6:7]
	v_fmac_f64_e32 v[142:143], v[4:5], v[138:139]
	scratch_store_dwordx4 off, v[140:143], off offset:624
.LBB42_27:
	s_or_b64 exec, exec, s[4:5]
	scratch_load_dwordx4 v[2:5], v100, off
	v_cmp_lt_u32_e64 s[2:3], 38, v0
	s_waitcnt vmcnt(0)
	ds_write_b128 v9, v[2:5]
	s_waitcnt lgkmcnt(0)
	; wave barrier
	s_waitcnt lgkmcnt(0)
	s_and_saveexec_b64 s[4:5], s[2:3]
	s_cbranch_execz .LBB42_35
; %bb.28:
	ds_read_b128 v[2:5], v9
	s_andn2_b64 vcc, exec, s[6:7]
	s_cbranch_vccnz .LBB42_30
; %bb.29:
	scratch_load_dwordx4 v[138:141], v8, off
	s_waitcnt vmcnt(0) lgkmcnt(0)
	v_mul_f64 v[6:7], v[4:5], v[140:141]
	v_mul_f64 v[140:141], v[2:3], v[140:141]
	v_fmac_f64_e32 v[140:141], v[4:5], v[138:139]
	v_fma_f64 v[2:3], v[2:3], v[138:139], -v[6:7]
	v_mov_b64_e32 v[4:5], v[140:141]
.LBB42_30:
	s_and_saveexec_b64 s[8:9], s[0:1]
	s_cbranch_execz .LBB42_34
; %bb.31:
	v_mov_b32_e32 v7, 0
	v_subrev_u32_e32 v6, 39, v0
	v_add_u32_e32 v7, 0x278, v7
	s_movk_i32 s10, 0x520
	s_mov_b64 s[0:1], 0
.LBB42_32:                              ; =>This Inner Loop Header: Depth=1
	v_add_u32_e32 v138, -8, v7
	scratch_load_dwordx4 v[138:141], v138, off
	v_mov_b32_e32 v142, s10
	ds_read_b128 v[142:145], v142
	v_add_u32_e32 v6, -1, v6
	s_add_i32 s10, s10, 16
	v_cmp_eq_u32_e32 vcc, 0, v6
	v_add_u32_e32 v7, 16, v7
	s_or_b64 s[0:1], vcc, s[0:1]
	s_waitcnt vmcnt(0) lgkmcnt(0)
	v_mul_f64 v[146:147], v[144:145], v[140:141]
	v_mul_f64 v[140:141], v[142:143], v[140:141]
	v_fma_f64 v[142:143], v[142:143], v[138:139], -v[146:147]
	v_fmac_f64_e32 v[140:141], v[144:145], v[138:139]
	v_add_f64 v[2:3], v[2:3], v[142:143]
	v_add_f64 v[4:5], v[4:5], v[140:141]
	s_andn2_b64 exec, exec, s[0:1]
	s_cbranch_execnz .LBB42_32
; %bb.33:
	s_or_b64 exec, exec, s[0:1]
.LBB42_34:
	s_or_b64 exec, exec, s[8:9]
	v_mov_b32_e32 v6, 0
	ds_read_b128 v[138:141], v6 offset:608
	s_waitcnt lgkmcnt(0)
	v_mul_f64 v[6:7], v[4:5], v[140:141]
	v_mul_f64 v[142:143], v[2:3], v[140:141]
	v_fma_f64 v[140:141], v[2:3], v[138:139], -v[6:7]
	v_fmac_f64_e32 v[142:143], v[4:5], v[138:139]
	scratch_store_dwordx4 off, v[140:143], off offset:608
.LBB42_35:
	;; [unrolled: 63-line block ×10, first 2 shown]
	s_or_b64 exec, exec, s[4:5]
	scratch_load_dwordx4 v[2:5], v109, off
	v_cmp_lt_u32_e64 s[0:1], 29, v0
	s_waitcnt vmcnt(0)
	ds_write_b128 v9, v[2:5]
	s_waitcnt lgkmcnt(0)
	; wave barrier
	s_waitcnt lgkmcnt(0)
	s_and_saveexec_b64 s[4:5], s[0:1]
	s_cbranch_execz .LBB42_107
; %bb.100:
	ds_read_b128 v[2:5], v9
	s_andn2_b64 vcc, exec, s[6:7]
	s_cbranch_vccnz .LBB42_102
; %bb.101:
	scratch_load_dwordx4 v[138:141], v8, off
	s_waitcnt vmcnt(0) lgkmcnt(0)
	v_mul_f64 v[6:7], v[4:5], v[140:141]
	v_mul_f64 v[140:141], v[2:3], v[140:141]
	v_fmac_f64_e32 v[140:141], v[4:5], v[138:139]
	v_fma_f64 v[2:3], v[2:3], v[138:139], -v[6:7]
	v_mov_b64_e32 v[4:5], v[140:141]
.LBB42_102:
	s_and_saveexec_b64 s[8:9], s[2:3]
	s_cbranch_execz .LBB42_106
; %bb.103:
	v_mov_b32_e32 v7, 0
	v_subrev_u32_e32 v6, 30, v0
	v_add_u32_e32 v7, 0x1e8, v7
	s_movk_i32 s10, 0x490
	s_mov_b64 s[2:3], 0
.LBB42_104:                             ; =>This Inner Loop Header: Depth=1
	v_add_u32_e32 v138, -8, v7
	scratch_load_dwordx4 v[138:141], v138, off
	v_mov_b32_e32 v142, s10
	ds_read_b128 v[142:145], v142
	v_add_u32_e32 v6, -1, v6
	s_add_i32 s10, s10, 16
	v_cmp_eq_u32_e32 vcc, 0, v6
	v_add_u32_e32 v7, 16, v7
	s_or_b64 s[2:3], vcc, s[2:3]
	s_waitcnt vmcnt(0) lgkmcnt(0)
	v_mul_f64 v[146:147], v[144:145], v[140:141]
	v_mul_f64 v[140:141], v[142:143], v[140:141]
	v_fma_f64 v[142:143], v[142:143], v[138:139], -v[146:147]
	v_fmac_f64_e32 v[140:141], v[144:145], v[138:139]
	v_add_f64 v[2:3], v[2:3], v[142:143]
	v_add_f64 v[4:5], v[4:5], v[140:141]
	s_andn2_b64 exec, exec, s[2:3]
	s_cbranch_execnz .LBB42_104
; %bb.105:
	s_or_b64 exec, exec, s[2:3]
.LBB42_106:
	s_or_b64 exec, exec, s[8:9]
	v_mov_b32_e32 v6, 0
	ds_read_b128 v[138:141], v6 offset:464
	s_waitcnt lgkmcnt(0)
	v_mul_f64 v[6:7], v[4:5], v[140:141]
	v_mul_f64 v[142:143], v[2:3], v[140:141]
	v_fma_f64 v[140:141], v[2:3], v[138:139], -v[6:7]
	v_fmac_f64_e32 v[142:143], v[4:5], v[138:139]
	scratch_store_dwordx4 off, v[140:143], off offset:464
.LBB42_107:
	s_or_b64 exec, exec, s[4:5]
	scratch_load_dwordx4 v[2:5], v110, off
	v_cmp_lt_u32_e64 s[2:3], 28, v0
	s_waitcnt vmcnt(0)
	ds_write_b128 v9, v[2:5]
	s_waitcnt lgkmcnt(0)
	; wave barrier
	s_waitcnt lgkmcnt(0)
	s_and_saveexec_b64 s[4:5], s[2:3]
	s_cbranch_execz .LBB42_115
; %bb.108:
	ds_read_b128 v[2:5], v9
	s_andn2_b64 vcc, exec, s[6:7]
	s_cbranch_vccnz .LBB42_110
; %bb.109:
	scratch_load_dwordx4 v[138:141], v8, off
	s_waitcnt vmcnt(0) lgkmcnt(0)
	v_mul_f64 v[6:7], v[4:5], v[140:141]
	v_mul_f64 v[140:141], v[2:3], v[140:141]
	v_fmac_f64_e32 v[140:141], v[4:5], v[138:139]
	v_fma_f64 v[2:3], v[2:3], v[138:139], -v[6:7]
	v_mov_b64_e32 v[4:5], v[140:141]
.LBB42_110:
	s_and_saveexec_b64 s[8:9], s[0:1]
	s_cbranch_execz .LBB42_114
; %bb.111:
	v_mov_b32_e32 v7, 0
	v_subrev_u32_e32 v6, 29, v0
	v_add_u32_e32 v7, 0x1d8, v7
	s_movk_i32 s10, 0x480
	s_mov_b64 s[0:1], 0
.LBB42_112:                             ; =>This Inner Loop Header: Depth=1
	v_add_u32_e32 v138, -8, v7
	scratch_load_dwordx4 v[138:141], v138, off
	v_mov_b32_e32 v142, s10
	ds_read_b128 v[142:145], v142
	v_add_u32_e32 v6, -1, v6
	s_add_i32 s10, s10, 16
	v_cmp_eq_u32_e32 vcc, 0, v6
	v_add_u32_e32 v7, 16, v7
	s_or_b64 s[0:1], vcc, s[0:1]
	s_waitcnt vmcnt(0) lgkmcnt(0)
	v_mul_f64 v[146:147], v[144:145], v[140:141]
	v_mul_f64 v[140:141], v[142:143], v[140:141]
	v_fma_f64 v[142:143], v[142:143], v[138:139], -v[146:147]
	v_fmac_f64_e32 v[140:141], v[144:145], v[138:139]
	v_add_f64 v[2:3], v[2:3], v[142:143]
	v_add_f64 v[4:5], v[4:5], v[140:141]
	s_andn2_b64 exec, exec, s[0:1]
	s_cbranch_execnz .LBB42_112
; %bb.113:
	s_or_b64 exec, exec, s[0:1]
.LBB42_114:
	s_or_b64 exec, exec, s[8:9]
	v_mov_b32_e32 v6, 0
	ds_read_b128 v[138:141], v6 offset:448
	s_waitcnt lgkmcnt(0)
	v_mul_f64 v[6:7], v[4:5], v[140:141]
	v_mul_f64 v[142:143], v[2:3], v[140:141]
	v_fma_f64 v[140:141], v[2:3], v[138:139], -v[6:7]
	v_fmac_f64_e32 v[142:143], v[4:5], v[138:139]
	scratch_store_dwordx4 off, v[140:143], off offset:448
.LBB42_115:
	;; [unrolled: 63-line block ×14, first 2 shown]
	s_or_b64 exec, exec, s[4:5]
	scratch_load_dwordx4 v[2:5], v123, off
	v_cmp_lt_u32_e64 s[0:1], 15, v0
	s_waitcnt vmcnt(0)
	ds_write_b128 v9, v[2:5]
	s_waitcnt lgkmcnt(0)
	; wave barrier
	s_waitcnt lgkmcnt(0)
	s_and_saveexec_b64 s[4:5], s[0:1]
	s_cbranch_execz .LBB42_219
; %bb.212:
	ds_read_b128 v[2:5], v9
	s_andn2_b64 vcc, exec, s[6:7]
	s_cbranch_vccnz .LBB42_214
; %bb.213:
	scratch_load_dwordx4 v[138:141], v8, off
	s_waitcnt vmcnt(0) lgkmcnt(0)
	v_mul_f64 v[6:7], v[4:5], v[140:141]
	v_mul_f64 v[140:141], v[2:3], v[140:141]
	v_fmac_f64_e32 v[140:141], v[4:5], v[138:139]
	v_fma_f64 v[2:3], v[2:3], v[138:139], -v[6:7]
	v_mov_b64_e32 v[4:5], v[140:141]
.LBB42_214:
	s_and_saveexec_b64 s[8:9], s[2:3]
	s_cbranch_execz .LBB42_218
; %bb.215:
	v_mov_b32_e32 v7, 0
	v_add_u32_e32 v6, -16, v0
	v_add_u32_e32 v7, 0x108, v7
	s_movk_i32 s10, 0x3b0
	s_mov_b64 s[2:3], 0
.LBB42_216:                             ; =>This Inner Loop Header: Depth=1
	v_add_u32_e32 v138, -8, v7
	scratch_load_dwordx4 v[138:141], v138, off
	v_mov_b32_e32 v142, s10
	ds_read_b128 v[142:145], v142
	v_add_u32_e32 v6, -1, v6
	s_add_i32 s10, s10, 16
	v_cmp_eq_u32_e32 vcc, 0, v6
	v_add_u32_e32 v7, 16, v7
	s_or_b64 s[2:3], vcc, s[2:3]
	s_waitcnt vmcnt(0) lgkmcnt(0)
	v_mul_f64 v[146:147], v[144:145], v[140:141]
	v_mul_f64 v[140:141], v[142:143], v[140:141]
	v_fma_f64 v[142:143], v[142:143], v[138:139], -v[146:147]
	v_fmac_f64_e32 v[140:141], v[144:145], v[138:139]
	v_add_f64 v[2:3], v[2:3], v[142:143]
	v_add_f64 v[4:5], v[4:5], v[140:141]
	s_andn2_b64 exec, exec, s[2:3]
	s_cbranch_execnz .LBB42_216
; %bb.217:
	s_or_b64 exec, exec, s[2:3]
.LBB42_218:
	s_or_b64 exec, exec, s[8:9]
	v_mov_b32_e32 v6, 0
	ds_read_b128 v[138:141], v6 offset:240
	s_waitcnt lgkmcnt(0)
	v_mul_f64 v[6:7], v[4:5], v[140:141]
	v_mul_f64 v[142:143], v[2:3], v[140:141]
	v_fma_f64 v[140:141], v[2:3], v[138:139], -v[6:7]
	v_fmac_f64_e32 v[142:143], v[4:5], v[138:139]
	scratch_store_dwordx4 off, v[140:143], off offset:240
.LBB42_219:
	s_or_b64 exec, exec, s[4:5]
	scratch_load_dwordx4 v[2:5], v124, off
	v_cmp_lt_u32_e64 s[2:3], 14, v0
	s_waitcnt vmcnt(0)
	ds_write_b128 v9, v[2:5]
	s_waitcnt lgkmcnt(0)
	; wave barrier
	s_waitcnt lgkmcnt(0)
	s_and_saveexec_b64 s[4:5], s[2:3]
	s_cbranch_execz .LBB42_227
; %bb.220:
	ds_read_b128 v[2:5], v9
	s_andn2_b64 vcc, exec, s[6:7]
	s_cbranch_vccnz .LBB42_222
; %bb.221:
	scratch_load_dwordx4 v[138:141], v8, off
	s_waitcnt vmcnt(0) lgkmcnt(0)
	v_mul_f64 v[6:7], v[4:5], v[140:141]
	v_mul_f64 v[140:141], v[2:3], v[140:141]
	v_fmac_f64_e32 v[140:141], v[4:5], v[138:139]
	v_fma_f64 v[2:3], v[2:3], v[138:139], -v[6:7]
	v_mov_b64_e32 v[4:5], v[140:141]
.LBB42_222:
	s_and_saveexec_b64 s[8:9], s[0:1]
	s_cbranch_execz .LBB42_226
; %bb.223:
	v_mov_b32_e32 v7, 0
	v_add_u32_e32 v6, -15, v0
	v_add_u32_e32 v7, 0xf8, v7
	s_movk_i32 s10, 0x3a0
	s_mov_b64 s[0:1], 0
.LBB42_224:                             ; =>This Inner Loop Header: Depth=1
	v_add_u32_e32 v138, -8, v7
	scratch_load_dwordx4 v[138:141], v138, off
	v_mov_b32_e32 v142, s10
	ds_read_b128 v[142:145], v142
	v_add_u32_e32 v6, -1, v6
	s_add_i32 s10, s10, 16
	v_cmp_eq_u32_e32 vcc, 0, v6
	v_add_u32_e32 v7, 16, v7
	s_or_b64 s[0:1], vcc, s[0:1]
	s_waitcnt vmcnt(0) lgkmcnt(0)
	v_mul_f64 v[146:147], v[144:145], v[140:141]
	v_mul_f64 v[140:141], v[142:143], v[140:141]
	v_fma_f64 v[142:143], v[142:143], v[138:139], -v[146:147]
	v_fmac_f64_e32 v[140:141], v[144:145], v[138:139]
	v_add_f64 v[2:3], v[2:3], v[142:143]
	v_add_f64 v[4:5], v[4:5], v[140:141]
	s_andn2_b64 exec, exec, s[0:1]
	s_cbranch_execnz .LBB42_224
; %bb.225:
	s_or_b64 exec, exec, s[0:1]
.LBB42_226:
	s_or_b64 exec, exec, s[8:9]
	v_mov_b32_e32 v6, 0
	ds_read_b128 v[138:141], v6 offset:224
	s_waitcnt lgkmcnt(0)
	v_mul_f64 v[6:7], v[4:5], v[140:141]
	v_mul_f64 v[142:143], v[2:3], v[140:141]
	v_fma_f64 v[140:141], v[2:3], v[138:139], -v[6:7]
	v_fmac_f64_e32 v[142:143], v[4:5], v[138:139]
	scratch_store_dwordx4 off, v[140:143], off offset:224
.LBB42_227:
	;; [unrolled: 63-line block ×15, first 2 shown]
	s_or_b64 exec, exec, s[4:5]
	scratch_load_dwordx4 v[2:5], off, off
	v_cmp_ne_u32_e32 vcc, 0, v0
	s_mov_b64 s[2:3], 0
	s_mov_b64 s[4:5], 0
                                        ; implicit-def: $vgpr6_vgpr7
                                        ; implicit-def: $vgpr138
	s_waitcnt vmcnt(0)
	ds_write_b128 v9, v[2:5]
	s_waitcnt lgkmcnt(0)
	; wave barrier
	s_waitcnt lgkmcnt(0)
	s_and_saveexec_b64 s[8:9], vcc
	s_cbranch_execz .LBB42_339
; %bb.332:
	ds_read_b128 v[2:5], v9
	s_andn2_b64 vcc, exec, s[6:7]
	s_cbranch_vccnz .LBB42_334
; %bb.333:
	scratch_load_dwordx4 v[138:141], v8, off
	s_waitcnt vmcnt(0) lgkmcnt(0)
	v_mul_f64 v[6:7], v[4:5], v[140:141]
	v_mul_f64 v[140:141], v[2:3], v[140:141]
	v_fmac_f64_e32 v[140:141], v[4:5], v[138:139]
	v_fma_f64 v[2:3], v[2:3], v[138:139], -v[6:7]
	v_mov_b64_e32 v[4:5], v[140:141]
.LBB42_334:
	s_and_saveexec_b64 s[4:5], s[0:1]
	s_cbranch_execz .LBB42_338
; %bb.335:
	v_mov_b32_e32 v7, 0
	v_add_u32_e32 v6, -1, v0
	v_add_u32_e32 v7, 24, v7
	s_movk_i32 s10, 0x2c0
	s_mov_b64 s[0:1], 0
.LBB42_336:                             ; =>This Inner Loop Header: Depth=1
	v_add_u32_e32 v138, -8, v7
	scratch_load_dwordx4 v[138:141], v138, off
	v_mov_b32_e32 v142, s10
	ds_read_b128 v[142:145], v142
	v_add_u32_e32 v6, -1, v6
	s_add_i32 s10, s10, 16
	v_cmp_eq_u32_e32 vcc, 0, v6
	v_add_u32_e32 v7, 16, v7
	s_or_b64 s[0:1], vcc, s[0:1]
	s_waitcnt vmcnt(0) lgkmcnt(0)
	v_mul_f64 v[146:147], v[144:145], v[140:141]
	v_mul_f64 v[140:141], v[142:143], v[140:141]
	v_fma_f64 v[142:143], v[142:143], v[138:139], -v[146:147]
	v_fmac_f64_e32 v[140:141], v[144:145], v[138:139]
	v_add_f64 v[2:3], v[2:3], v[142:143]
	v_add_f64 v[4:5], v[4:5], v[140:141]
	s_andn2_b64 exec, exec, s[0:1]
	s_cbranch_execnz .LBB42_336
; %bb.337:
	s_or_b64 exec, exec, s[0:1]
.LBB42_338:
	s_or_b64 exec, exec, s[4:5]
	v_mov_b32_e32 v6, 0
	ds_read_b128 v[140:143], v6
	v_mov_b32_e32 v6, 0
	v_or_b32_e32 v138, 8, v6
	s_mov_b64 s[4:5], exec
	s_waitcnt lgkmcnt(0)
	v_mul_f64 v[144:145], v[4:5], v[142:143]
	v_mul_f64 v[6:7], v[2:3], v[142:143]
	v_fma_f64 v[2:3], v[2:3], v[140:141], -v[144:145]
	v_fmac_f64_e32 v[6:7], v[4:5], v[140:141]
	scratch_store_dwordx2 off, v[2:3], off
.LBB42_339:
	s_or_b64 exec, exec, s[8:9]
	s_and_b64 vcc, exec, s[2:3]
	s_cbranch_vccnz .LBB42_341
	s_branch .LBB42_672
.LBB42_340:
	s_mov_b64 s[4:5], 0
                                        ; implicit-def: $vgpr6_vgpr7
                                        ; implicit-def: $vgpr138
	s_cbranch_execz .LBB42_672
.LBB42_341:
	scratch_load_dwordx4 v[2:5], v137, off
	v_cndmask_b32_e64 v6, 0, 1, s[6:7]
	v_cmp_eq_u32_e64 s[2:3], 0, v0
	v_cmp_ne_u32_e64 s[0:1], 1, v6
	s_waitcnt vmcnt(0)
	ds_write_b128 v9, v[2:5]
	s_waitcnt lgkmcnt(0)
	; wave barrier
	s_waitcnt lgkmcnt(0)
	s_and_saveexec_b64 s[6:7], s[2:3]
	s_cbranch_execz .LBB42_345
; %bb.342:
	ds_read_b128 v[2:5], v9
	s_and_b64 vcc, exec, s[0:1]
	s_cbranch_vccnz .LBB42_344
; %bb.343:
	scratch_load_dwordx4 v[138:141], v8, off
	s_waitcnt vmcnt(0) lgkmcnt(0)
	v_mul_f64 v[6:7], v[4:5], v[140:141]
	v_mul_f64 v[140:141], v[2:3], v[140:141]
	v_fmac_f64_e32 v[140:141], v[4:5], v[138:139]
	v_fma_f64 v[2:3], v[2:3], v[138:139], -v[6:7]
	v_mov_b64_e32 v[4:5], v[140:141]
.LBB42_344:
	v_mov_b32_e32 v6, 0
	ds_read_b128 v[138:141], v6 offset:16
	s_waitcnt lgkmcnt(0)
	v_mul_f64 v[6:7], v[4:5], v[140:141]
	v_mul_f64 v[142:143], v[2:3], v[140:141]
	v_fma_f64 v[140:141], v[2:3], v[138:139], -v[6:7]
	v_fmac_f64_e32 v[142:143], v[4:5], v[138:139]
	scratch_store_dwordx4 off, v[140:143], off offset:16
.LBB42_345:
	s_or_b64 exec, exec, s[6:7]
	scratch_load_dwordx4 v[2:5], v136, off
	v_cmp_gt_u32_e32 vcc, 2, v0
	s_waitcnt vmcnt(0)
	ds_write_b128 v9, v[2:5]
	s_waitcnt lgkmcnt(0)
	; wave barrier
	s_waitcnt lgkmcnt(0)
	s_and_saveexec_b64 s[6:7], vcc
	s_cbranch_execz .LBB42_351
; %bb.346:
	ds_read_b128 v[2:5], v9
	s_and_b64 vcc, exec, s[0:1]
	s_cbranch_vccnz .LBB42_348
; %bb.347:
	scratch_load_dwordx4 v[138:141], v8, off
	s_waitcnt vmcnt(0) lgkmcnt(0)
	v_mul_f64 v[6:7], v[4:5], v[140:141]
	v_mul_f64 v[140:141], v[2:3], v[140:141]
	v_fmac_f64_e32 v[140:141], v[4:5], v[138:139]
	v_fma_f64 v[2:3], v[2:3], v[138:139], -v[6:7]
	v_mov_b64_e32 v[4:5], v[140:141]
.LBB42_348:
	s_and_saveexec_b64 s[8:9], s[2:3]
	s_cbranch_execz .LBB42_350
; %bb.349:
	scratch_load_dwordx4 v[138:141], v8, off offset:16
	ds_read_b128 v[142:145], v9 offset:16
	s_waitcnt vmcnt(0) lgkmcnt(0)
	v_mul_f64 v[6:7], v[144:145], v[140:141]
	v_mul_f64 v[140:141], v[142:143], v[140:141]
	v_fma_f64 v[6:7], v[142:143], v[138:139], -v[6:7]
	v_fmac_f64_e32 v[140:141], v[144:145], v[138:139]
	v_add_f64 v[2:3], v[2:3], v[6:7]
	v_add_f64 v[4:5], v[4:5], v[140:141]
.LBB42_350:
	s_or_b64 exec, exec, s[8:9]
	v_mov_b32_e32 v6, 0
	ds_read_b128 v[138:141], v6 offset:32
	s_waitcnt lgkmcnt(0)
	v_mul_f64 v[6:7], v[4:5], v[140:141]
	v_mul_f64 v[142:143], v[2:3], v[140:141]
	v_fma_f64 v[140:141], v[2:3], v[138:139], -v[6:7]
	v_fmac_f64_e32 v[142:143], v[4:5], v[138:139]
	scratch_store_dwordx4 off, v[140:143], off offset:32
.LBB42_351:
	s_or_b64 exec, exec, s[6:7]
	scratch_load_dwordx4 v[2:5], v135, off
	v_cmp_gt_u32_e32 vcc, 3, v0
	s_waitcnt vmcnt(0)
	ds_write_b128 v9, v[2:5]
	s_waitcnt lgkmcnt(0)
	; wave barrier
	s_waitcnt lgkmcnt(0)
	s_and_saveexec_b64 s[6:7], vcc
	s_cbranch_execz .LBB42_359
; %bb.352:
	ds_read_b128 v[2:5], v9
	s_and_b64 vcc, exec, s[0:1]
	s_cbranch_vccnz .LBB42_354
; %bb.353:
	scratch_load_dwordx4 v[138:141], v8, off
	s_waitcnt vmcnt(0) lgkmcnt(0)
	v_mul_f64 v[6:7], v[4:5], v[140:141]
	v_mul_f64 v[140:141], v[2:3], v[140:141]
	v_fmac_f64_e32 v[140:141], v[4:5], v[138:139]
	v_fma_f64 v[2:3], v[2:3], v[138:139], -v[6:7]
	v_mov_b64_e32 v[4:5], v[140:141]
.LBB42_354:
	v_cmp_ne_u32_e32 vcc, 2, v0
	s_and_saveexec_b64 s[8:9], vcc
	s_cbranch_execz .LBB42_358
; %bb.355:
	scratch_load_dwordx4 v[138:141], v8, off offset:16
	ds_read_b128 v[142:145], v9 offset:16
	s_waitcnt vmcnt(0) lgkmcnt(0)
	v_mul_f64 v[6:7], v[144:145], v[140:141]
	v_mul_f64 v[140:141], v[142:143], v[140:141]
	v_fma_f64 v[6:7], v[142:143], v[138:139], -v[6:7]
	v_fmac_f64_e32 v[140:141], v[144:145], v[138:139]
	v_add_f64 v[2:3], v[2:3], v[6:7]
	v_add_f64 v[4:5], v[4:5], v[140:141]
	s_and_saveexec_b64 s[10:11], s[2:3]
	s_cbranch_execz .LBB42_357
; %bb.356:
	scratch_load_dwordx4 v[138:141], off, off offset:32
	v_mov_b32_e32 v6, 0
	ds_read_b128 v[142:145], v6 offset:720
	s_waitcnt vmcnt(0) lgkmcnt(0)
	v_mul_f64 v[6:7], v[142:143], v[140:141]
	v_mul_f64 v[140:141], v[144:145], v[140:141]
	v_fmac_f64_e32 v[6:7], v[144:145], v[138:139]
	v_fma_f64 v[138:139], v[142:143], v[138:139], -v[140:141]
	v_add_f64 v[4:5], v[4:5], v[6:7]
	v_add_f64 v[2:3], v[2:3], v[138:139]
.LBB42_357:
	s_or_b64 exec, exec, s[10:11]
.LBB42_358:
	s_or_b64 exec, exec, s[8:9]
	v_mov_b32_e32 v6, 0
	ds_read_b128 v[138:141], v6 offset:48
	s_waitcnt lgkmcnt(0)
	v_mul_f64 v[6:7], v[4:5], v[140:141]
	v_mul_f64 v[142:143], v[2:3], v[140:141]
	v_fma_f64 v[140:141], v[2:3], v[138:139], -v[6:7]
	v_fmac_f64_e32 v[142:143], v[4:5], v[138:139]
	scratch_store_dwordx4 off, v[140:143], off offset:48
.LBB42_359:
	s_or_b64 exec, exec, s[6:7]
	scratch_load_dwordx4 v[2:5], v134, off
	v_cmp_gt_u32_e32 vcc, 4, v0
	s_waitcnt vmcnt(0)
	ds_write_b128 v9, v[2:5]
	s_waitcnt lgkmcnt(0)
	; wave barrier
	s_waitcnt lgkmcnt(0)
	s_and_saveexec_b64 s[2:3], vcc
	s_cbranch_execz .LBB42_367
; %bb.360:
	ds_read_b128 v[2:5], v9
	s_and_b64 vcc, exec, s[0:1]
	s_cbranch_vccnz .LBB42_362
; %bb.361:
	scratch_load_dwordx4 v[138:141], v8, off
	s_waitcnt vmcnt(0) lgkmcnt(0)
	v_mul_f64 v[6:7], v[4:5], v[140:141]
	v_mul_f64 v[140:141], v[2:3], v[140:141]
	v_fmac_f64_e32 v[140:141], v[4:5], v[138:139]
	v_fma_f64 v[2:3], v[2:3], v[138:139], -v[6:7]
	v_mov_b64_e32 v[4:5], v[140:141]
.LBB42_362:
	v_cmp_ne_u32_e32 vcc, 3, v0
	s_and_saveexec_b64 s[6:7], vcc
	s_cbranch_execz .LBB42_366
; %bb.363:
	v_mov_b32_e32 v7, 0
	v_add_u32_e32 v6, 0x2c0, v62
	v_add3_u32 v7, v62, v7, 24
	s_mov_b64 s[8:9], 0
	v_mov_b32_e32 v138, v0
.LBB42_364:                             ; =>This Inner Loop Header: Depth=1
	v_add_u32_e32 v139, -8, v7
	scratch_load_dwordx4 v[140:143], v139, off
	ds_read_b128 v[144:147], v6
	v_add_u32_e32 v138, 1, v138
	v_cmp_lt_u32_e32 vcc, 2, v138
	v_add_u32_e32 v6, 16, v6
	v_add_u32_e32 v7, 16, v7
	s_or_b64 s[8:9], vcc, s[8:9]
	s_waitcnt vmcnt(0) lgkmcnt(0)
	v_mul_f64 v[148:149], v[146:147], v[142:143]
	v_mul_f64 v[142:143], v[144:145], v[142:143]
	v_fma_f64 v[144:145], v[144:145], v[140:141], -v[148:149]
	v_fmac_f64_e32 v[142:143], v[146:147], v[140:141]
	v_add_f64 v[2:3], v[2:3], v[144:145]
	v_add_f64 v[4:5], v[4:5], v[142:143]
	s_andn2_b64 exec, exec, s[8:9]
	s_cbranch_execnz .LBB42_364
; %bb.365:
	s_or_b64 exec, exec, s[8:9]
.LBB42_366:
	s_or_b64 exec, exec, s[6:7]
	v_mov_b32_e32 v6, 0
	ds_read_b128 v[138:141], v6 offset:64
	s_waitcnt lgkmcnt(0)
	v_mul_f64 v[6:7], v[4:5], v[140:141]
	v_mul_f64 v[142:143], v[2:3], v[140:141]
	v_fma_f64 v[140:141], v[2:3], v[138:139], -v[6:7]
	v_fmac_f64_e32 v[142:143], v[4:5], v[138:139]
	scratch_store_dwordx4 off, v[140:143], off offset:64
.LBB42_367:
	s_or_b64 exec, exec, s[2:3]
	scratch_load_dwordx4 v[2:5], v133, off
	v_cmp_gt_u32_e32 vcc, 5, v0
	s_waitcnt vmcnt(0)
	ds_write_b128 v9, v[2:5]
	s_waitcnt lgkmcnt(0)
	; wave barrier
	s_waitcnt lgkmcnt(0)
	s_and_saveexec_b64 s[2:3], vcc
	s_cbranch_execz .LBB42_375
; %bb.368:
	ds_read_b128 v[2:5], v9
	s_and_b64 vcc, exec, s[0:1]
	s_cbranch_vccnz .LBB42_370
; %bb.369:
	scratch_load_dwordx4 v[138:141], v8, off
	s_waitcnt vmcnt(0) lgkmcnt(0)
	v_mul_f64 v[6:7], v[4:5], v[140:141]
	v_mul_f64 v[140:141], v[2:3], v[140:141]
	v_fmac_f64_e32 v[140:141], v[4:5], v[138:139]
	v_fma_f64 v[2:3], v[2:3], v[138:139], -v[6:7]
	v_mov_b64_e32 v[4:5], v[140:141]
.LBB42_370:
	v_cmp_ne_u32_e32 vcc, 4, v0
	s_and_saveexec_b64 s[6:7], vcc
	s_cbranch_execz .LBB42_374
; %bb.371:
	v_mov_b32_e32 v7, 0
	v_add_u32_e32 v6, 0x2c0, v62
	v_add3_u32 v7, v62, v7, 24
	s_mov_b64 s[8:9], 0
	v_mov_b32_e32 v138, v0
.LBB42_372:                             ; =>This Inner Loop Header: Depth=1
	v_add_u32_e32 v139, -8, v7
	scratch_load_dwordx4 v[140:143], v139, off
	ds_read_b128 v[144:147], v6
	v_add_u32_e32 v138, 1, v138
	v_cmp_lt_u32_e32 vcc, 3, v138
	v_add_u32_e32 v6, 16, v6
	v_add_u32_e32 v7, 16, v7
	s_or_b64 s[8:9], vcc, s[8:9]
	s_waitcnt vmcnt(0) lgkmcnt(0)
	v_mul_f64 v[148:149], v[146:147], v[142:143]
	v_mul_f64 v[142:143], v[144:145], v[142:143]
	v_fma_f64 v[144:145], v[144:145], v[140:141], -v[148:149]
	v_fmac_f64_e32 v[142:143], v[146:147], v[140:141]
	v_add_f64 v[2:3], v[2:3], v[144:145]
	v_add_f64 v[4:5], v[4:5], v[142:143]
	s_andn2_b64 exec, exec, s[8:9]
	s_cbranch_execnz .LBB42_372
; %bb.373:
	s_or_b64 exec, exec, s[8:9]
.LBB42_374:
	s_or_b64 exec, exec, s[6:7]
	v_mov_b32_e32 v6, 0
	ds_read_b128 v[138:141], v6 offset:80
	s_waitcnt lgkmcnt(0)
	v_mul_f64 v[6:7], v[4:5], v[140:141]
	v_mul_f64 v[142:143], v[2:3], v[140:141]
	v_fma_f64 v[140:141], v[2:3], v[138:139], -v[6:7]
	v_fmac_f64_e32 v[142:143], v[4:5], v[138:139]
	scratch_store_dwordx4 off, v[140:143], off offset:80
.LBB42_375:
	;; [unrolled: 63-line block ×37, first 2 shown]
	s_or_b64 exec, exec, s[2:3]
	scratch_load_dwordx4 v[2:5], v10, off
	v_cmp_gt_u32_e64 s[2:3], 41, v0
	s_waitcnt vmcnt(0)
	ds_write_b128 v9, v[2:5]
	s_waitcnt lgkmcnt(0)
	; wave barrier
	s_waitcnt lgkmcnt(0)
	s_and_saveexec_b64 s[6:7], s[2:3]
	s_cbranch_execz .LBB42_663
; %bb.656:
	ds_read_b128 v[2:5], v9
	s_and_b64 vcc, exec, s[0:1]
	s_cbranch_vccnz .LBB42_658
; %bb.657:
	scratch_load_dwordx4 v[138:141], v8, off
	s_waitcnt vmcnt(0) lgkmcnt(0)
	v_mul_f64 v[6:7], v[4:5], v[140:141]
	v_mul_f64 v[140:141], v[2:3], v[140:141]
	v_fmac_f64_e32 v[140:141], v[4:5], v[138:139]
	v_fma_f64 v[2:3], v[2:3], v[138:139], -v[6:7]
	v_mov_b64_e32 v[4:5], v[140:141]
.LBB42_658:
	v_cmp_ne_u32_e32 vcc, 40, v0
	s_and_saveexec_b64 s[8:9], vcc
	s_cbranch_execz .LBB42_662
; %bb.659:
	v_mov_b32_e32 v7, 0
	v_add_u32_e32 v6, 0x2c0, v62
	v_add3_u32 v7, v62, v7, 24
	s_mov_b64 s[10:11], 0
	v_mov_b32_e32 v138, v0
.LBB42_660:                             ; =>This Inner Loop Header: Depth=1
	v_add_u32_e32 v139, -8, v7
	scratch_load_dwordx4 v[140:143], v139, off
	ds_read_b128 v[144:147], v6
	v_add_u32_e32 v138, 1, v138
	v_cmp_lt_u32_e32 vcc, 39, v138
	v_add_u32_e32 v6, 16, v6
	v_add_u32_e32 v7, 16, v7
	s_or_b64 s[10:11], vcc, s[10:11]
	s_waitcnt vmcnt(0) lgkmcnt(0)
	v_mul_f64 v[148:149], v[146:147], v[142:143]
	v_mul_f64 v[142:143], v[144:145], v[142:143]
	v_fma_f64 v[144:145], v[144:145], v[140:141], -v[148:149]
	v_fmac_f64_e32 v[142:143], v[146:147], v[140:141]
	v_add_f64 v[2:3], v[2:3], v[144:145]
	v_add_f64 v[4:5], v[4:5], v[142:143]
	s_andn2_b64 exec, exec, s[10:11]
	s_cbranch_execnz .LBB42_660
; %bb.661:
	s_or_b64 exec, exec, s[10:11]
.LBB42_662:
	s_or_b64 exec, exec, s[8:9]
	v_mov_b32_e32 v6, 0
	ds_read_b128 v[138:141], v6 offset:656
	s_waitcnt lgkmcnt(0)
	v_mul_f64 v[6:7], v[4:5], v[140:141]
	v_mul_f64 v[142:143], v[2:3], v[140:141]
	v_fma_f64 v[140:141], v[2:3], v[138:139], -v[6:7]
	v_fmac_f64_e32 v[142:143], v[4:5], v[138:139]
	scratch_store_dwordx4 off, v[140:143], off offset:656
.LBB42_663:
	s_or_b64 exec, exec, s[6:7]
	scratch_load_dwordx4 v[2:5], v1, off
	v_cmp_ne_u32_e32 vcc, 42, v0
                                        ; implicit-def: $vgpr6_vgpr7
                                        ; implicit-def: $vgpr138
	s_waitcnt vmcnt(0)
	ds_write_b128 v9, v[2:5]
	s_waitcnt lgkmcnt(0)
	; wave barrier
	s_waitcnt lgkmcnt(0)
	s_and_saveexec_b64 s[6:7], vcc
	s_cbranch_execz .LBB42_671
; %bb.664:
	ds_read_b128 v[2:5], v9
	s_and_b64 vcc, exec, s[0:1]
	s_cbranch_vccnz .LBB42_666
; %bb.665:
	scratch_load_dwordx4 v[6:9], v8, off
	s_waitcnt vmcnt(0) lgkmcnt(0)
	v_mul_f64 v[138:139], v[4:5], v[8:9]
	v_mul_f64 v[8:9], v[2:3], v[8:9]
	v_fmac_f64_e32 v[8:9], v[4:5], v[6:7]
	v_fma_f64 v[2:3], v[2:3], v[6:7], -v[138:139]
	v_mov_b64_e32 v[4:5], v[8:9]
.LBB42_666:
	s_and_saveexec_b64 s[0:1], s[2:3]
	s_cbranch_execz .LBB42_670
; %bb.667:
	v_mov_b32_e32 v7, 0
	v_add_u32_e32 v6, 0x2c0, v62
	v_add3_u32 v7, v62, v7, 24
	s_mov_b64 s[2:3], 0
.LBB42_668:                             ; =>This Inner Loop Header: Depth=1
	v_add_u32_e32 v8, -8, v7
	scratch_load_dwordx4 v[138:141], v8, off
	ds_read_b128 v[142:145], v6
	v_add_u32_e32 v0, 1, v0
	v_cmp_lt_u32_e32 vcc, 40, v0
	v_add_u32_e32 v6, 16, v6
	v_add_u32_e32 v7, 16, v7
	s_or_b64 s[2:3], vcc, s[2:3]
	s_waitcnt vmcnt(0) lgkmcnt(0)
	v_mul_f64 v[8:9], v[144:145], v[140:141]
	v_mul_f64 v[140:141], v[142:143], v[140:141]
	v_fma_f64 v[8:9], v[142:143], v[138:139], -v[8:9]
	v_fmac_f64_e32 v[140:141], v[144:145], v[138:139]
	v_add_f64 v[2:3], v[2:3], v[8:9]
	v_add_f64 v[4:5], v[4:5], v[140:141]
	s_andn2_b64 exec, exec, s[2:3]
	s_cbranch_execnz .LBB42_668
; %bb.669:
	s_or_b64 exec, exec, s[2:3]
.LBB42_670:
	s_or_b64 exec, exec, s[0:1]
	v_mov_b32_e32 v0, 0
	ds_read_b128 v[140:143], v0 offset:672
	v_mov_b32_e32 v0, 0
	v_add_u32_e32 v138, 0x2a8, v0
	s_or_b64 s[4:5], s[4:5], exec
	s_waitcnt lgkmcnt(0)
	v_mul_f64 v[8:9], v[4:5], v[142:143]
	v_mul_f64 v[6:7], v[2:3], v[142:143]
	v_fma_f64 v[2:3], v[2:3], v[140:141], -v[8:9]
	v_fmac_f64_e32 v[6:7], v[4:5], v[140:141]
	scratch_store_dwordx2 off, v[2:3], off offset:672
.LBB42_671:
	s_or_b64 exec, exec, s[6:7]
.LBB42_672:
	s_and_saveexec_b64 s[0:1], s[4:5]
	s_cbranch_execz .LBB42_674
; %bb.673:
	scratch_store_dwordx2 v138, v[6:7], off
.LBB42_674:
	s_or_b64 exec, exec, s[0:1]
	scratch_load_dwordx4 v[2:5], off, off
	scratch_load_dwordx4 v[6:9], v137, off
	s_nop 0
	scratch_load_dwordx4 v[136:139], v136, off
	s_nop 0
	scratch_load_dwordx4 v[140:143], v135, off
	scratch_load_dwordx4 v[144:147], v134, off
	;; [unrolled: 1-line block ×3, first 2 shown]
	s_nop 0
	scratch_load_dwordx4 v[132:135], v132, off
	s_nop 0
	scratch_load_dwordx4 v[152:155], v131, off
	scratch_load_dwordx4 v[156:159], v130, off
	;; [unrolled: 1-line block ×3, first 2 shown]
	s_nop 0
	scratch_load_dwordx4 v[128:131], v128, off
	s_waitcnt vmcnt(10)
	global_store_dwordx4 v[12:13], v[2:5], off
	scratch_load_dwordx4 v[2:5], v127, off
	s_nop 0
	scratch_load_dwordx4 v[164:167], v126, off
	s_waitcnt vmcnt(12)
	global_store_dwordx4 v[14:15], v[6:9], off
	scratch_load_dwordx4 v[6:9], v125, off
	s_nop 0
	scratch_load_dwordx4 v[12:15], v124, off
	s_waitcnt vmcnt(14)
	global_store_dwordx4 v[16:17], v[136:139], off
	scratch_load_dwordx4 v[124:127], v123, off
	s_nop 0
	scratch_load_dwordx4 v[136:139], v122, off
	s_waitcnt vmcnt(16)
	global_store_dwordx4 v[18:19], v[140:143], off
	scratch_load_dwordx4 v[16:19], v121, off
	s_nop 0
	scratch_load_dwordx4 v[120:123], v120, off
	s_waitcnt vmcnt(18)
	global_store_dwordx4 v[20:21], v[144:147], off
	scratch_load_dwordx4 v[140:143], v119, off
	s_nop 0
	scratch_load_dwordx4 v[144:147], v118, off
	s_waitcnt vmcnt(20)
	global_store_dwordx4 v[22:23], v[148:151], off
	scratch_load_dwordx4 v[20:23], v117, off
	s_nop 0
	scratch_load_dwordx4 v[116:119], v116, off
	s_waitcnt vmcnt(22)
	global_store_dwordx4 v[24:25], v[132:135], off
	scratch_load_dwordx4 v[132:135], v115, off
	s_nop 0
	scratch_load_dwordx4 v[148:151], v114, off
	s_waitcnt vmcnt(24)
	global_store_dwordx4 v[26:27], v[152:155], off
	scratch_load_dwordx4 v[24:27], v113, off
	s_nop 0
	scratch_load_dwordx4 v[112:115], v112, off
	s_waitcnt vmcnt(26)
	global_store_dwordx4 v[28:29], v[156:159], off
	scratch_load_dwordx4 v[152:155], v111, off
	s_nop 0
	scratch_load_dwordx4 v[156:159], v110, off
	s_waitcnt vmcnt(28)
	global_store_dwordx4 v[30:31], v[160:163], off
	scratch_load_dwordx4 v[28:31], v109, off
	s_nop 0
	scratch_load_dwordx4 v[108:111], v108, off
	s_waitcnt vmcnt(30)
	global_store_dwordx4 v[32:33], v[128:131], off
	scratch_load_dwordx4 v[128:131], v107, off
	s_nop 0
	scratch_load_dwordx4 v[160:163], v106, off
	s_waitcnt vmcnt(31)
	global_store_dwordx4 v[34:35], v[2:5], off
	scratch_load_dwordx4 v[2:5], v105, off
	s_nop 0
	scratch_load_dwordx4 v[32:35], v104, off
	s_waitcnt vmcnt(33)
	global_store_dwordx4 v[36:37], v[164:167], off
	scratch_load_dwordx4 v[104:107], v103, off
	s_nop 0
	scratch_load_dwordx4 v[164:167], v102, off
	s_waitcnt vmcnt(34)
	global_store_dwordx4 v[38:39], v[6:9], off
	scratch_load_dwordx4 v[6:9], v101, off
	s_nop 0
	scratch_load_dwordx4 v[36:39], v100, off
	s_waitcnt vmcnt(36)
	global_store_dwordx4 v[40:41], v[12:15], off
	scratch_load_dwordx4 v[12:15], v63, off
	s_nop 0
	scratch_load_dwordx4 v[100:103], v11, off
	s_waitcnt vmcnt(37)
	global_store_dwordx4 v[42:43], v[124:127], off
	scratch_load_dwordx4 v[40:43], v10, off
	s_nop 0
	scratch_load_dwordx4 v[124:127], v1, off
	s_waitcnt vmcnt(39)
	global_store_dwordx4 v[44:45], v[136:139], off
	s_waitcnt vmcnt(38)
	global_store_dwordx4 v[46:47], v[16:19], off
	;; [unrolled: 2-line block ×27, first 2 shown]
.LBB42_675:
	s_endpgm
	.section	.rodata,"a",@progbits
	.p2align	6, 0x0
	.amdhsa_kernel _ZN9rocsolver6v33100L18trti2_kernel_smallILi43E19rocblas_complex_numIdEPS3_EEv13rocblas_fill_17rocblas_diagonal_T1_iil
		.amdhsa_group_segment_fixed_size 1376
		.amdhsa_private_segment_fixed_size 704
		.amdhsa_kernarg_size 32
		.amdhsa_user_sgpr_count 2
		.amdhsa_user_sgpr_dispatch_ptr 0
		.amdhsa_user_sgpr_queue_ptr 0
		.amdhsa_user_sgpr_kernarg_segment_ptr 1
		.amdhsa_user_sgpr_dispatch_id 0
		.amdhsa_user_sgpr_kernarg_preload_length 0
		.amdhsa_user_sgpr_kernarg_preload_offset 0
		.amdhsa_user_sgpr_private_segment_size 0
		.amdhsa_uses_dynamic_stack 0
		.amdhsa_enable_private_segment 1
		.amdhsa_system_sgpr_workgroup_id_x 1
		.amdhsa_system_sgpr_workgroup_id_y 0
		.amdhsa_system_sgpr_workgroup_id_z 0
		.amdhsa_system_sgpr_workgroup_info 0
		.amdhsa_system_vgpr_workitem_id 0
		.amdhsa_next_free_vgpr 168
		.amdhsa_next_free_sgpr 12
		.amdhsa_accum_offset 168
		.amdhsa_reserve_vcc 1
		.amdhsa_float_round_mode_32 0
		.amdhsa_float_round_mode_16_64 0
		.amdhsa_float_denorm_mode_32 3
		.amdhsa_float_denorm_mode_16_64 3
		.amdhsa_dx10_clamp 1
		.amdhsa_ieee_mode 1
		.amdhsa_fp16_overflow 0
		.amdhsa_tg_split 0
		.amdhsa_exception_fp_ieee_invalid_op 0
		.amdhsa_exception_fp_denorm_src 0
		.amdhsa_exception_fp_ieee_div_zero 0
		.amdhsa_exception_fp_ieee_overflow 0
		.amdhsa_exception_fp_ieee_underflow 0
		.amdhsa_exception_fp_ieee_inexact 0
		.amdhsa_exception_int_div_zero 0
	.end_amdhsa_kernel
	.section	.text._ZN9rocsolver6v33100L18trti2_kernel_smallILi43E19rocblas_complex_numIdEPS3_EEv13rocblas_fill_17rocblas_diagonal_T1_iil,"axG",@progbits,_ZN9rocsolver6v33100L18trti2_kernel_smallILi43E19rocblas_complex_numIdEPS3_EEv13rocblas_fill_17rocblas_diagonal_T1_iil,comdat
.Lfunc_end42:
	.size	_ZN9rocsolver6v33100L18trti2_kernel_smallILi43E19rocblas_complex_numIdEPS3_EEv13rocblas_fill_17rocblas_diagonal_T1_iil, .Lfunc_end42-_ZN9rocsolver6v33100L18trti2_kernel_smallILi43E19rocblas_complex_numIdEPS3_EEv13rocblas_fill_17rocblas_diagonal_T1_iil
                                        ; -- End function
	.section	.AMDGPU.csdata,"",@progbits
; Kernel info:
; codeLenInByte = 28340
; NumSgprs: 18
; NumVgprs: 168
; NumAgprs: 0
; TotalNumVgprs: 168
; ScratchSize: 704
; MemoryBound: 0
; FloatMode: 240
; IeeeMode: 1
; LDSByteSize: 1376 bytes/workgroup (compile time only)
; SGPRBlocks: 2
; VGPRBlocks: 20
; NumSGPRsForWavesPerEU: 18
; NumVGPRsForWavesPerEU: 168
; AccumOffset: 168
; Occupancy: 3
; WaveLimiterHint : 0
; COMPUTE_PGM_RSRC2:SCRATCH_EN: 1
; COMPUTE_PGM_RSRC2:USER_SGPR: 2
; COMPUTE_PGM_RSRC2:TRAP_HANDLER: 0
; COMPUTE_PGM_RSRC2:TGID_X_EN: 1
; COMPUTE_PGM_RSRC2:TGID_Y_EN: 0
; COMPUTE_PGM_RSRC2:TGID_Z_EN: 0
; COMPUTE_PGM_RSRC2:TIDIG_COMP_CNT: 0
; COMPUTE_PGM_RSRC3_GFX90A:ACCUM_OFFSET: 41
; COMPUTE_PGM_RSRC3_GFX90A:TG_SPLIT: 0
	.section	.text._ZN9rocsolver6v33100L18trti2_kernel_smallILi44E19rocblas_complex_numIdEPS3_EEv13rocblas_fill_17rocblas_diagonal_T1_iil,"axG",@progbits,_ZN9rocsolver6v33100L18trti2_kernel_smallILi44E19rocblas_complex_numIdEPS3_EEv13rocblas_fill_17rocblas_diagonal_T1_iil,comdat
	.globl	_ZN9rocsolver6v33100L18trti2_kernel_smallILi44E19rocblas_complex_numIdEPS3_EEv13rocblas_fill_17rocblas_diagonal_T1_iil ; -- Begin function _ZN9rocsolver6v33100L18trti2_kernel_smallILi44E19rocblas_complex_numIdEPS3_EEv13rocblas_fill_17rocblas_diagonal_T1_iil
	.p2align	8
	.type	_ZN9rocsolver6v33100L18trti2_kernel_smallILi44E19rocblas_complex_numIdEPS3_EEv13rocblas_fill_17rocblas_diagonal_T1_iil,@function
_ZN9rocsolver6v33100L18trti2_kernel_smallILi44E19rocblas_complex_numIdEPS3_EEv13rocblas_fill_17rocblas_diagonal_T1_iil: ; @_ZN9rocsolver6v33100L18trti2_kernel_smallILi44E19rocblas_complex_numIdEPS3_EEv13rocblas_fill_17rocblas_diagonal_T1_iil
; %bb.0:
	v_cmp_gt_u32_e32 vcc, 44, v0
	s_and_saveexec_b64 s[4:5], vcc
	s_cbranch_execz .LBB43_691
; %bb.1:
	s_load_dwordx8 s[4:11], s[0:1], 0x0
	s_ashr_i32 s3, s2, 31
	v_lshlrev_b32_e32 v62, 4, v0
	v_mov_b32_e32 v63, 0
	v_mov_b32_e32 v1, 0
	s_waitcnt lgkmcnt(0)
	s_ashr_i32 s1, s8, 31
	s_mov_b32 s0, s8
	s_mul_i32 s8, s2, s11
	s_mul_hi_u32 s11, s2, s10
	s_add_i32 s8, s11, s8
	s_mul_i32 s3, s3, s10
	s_add_i32 s3, s8, s3
	s_mul_i32 s2, s2, s10
	s_lshl_b64 s[2:3], s[2:3], 4
	s_add_u32 s2, s6, s2
	s_addc_u32 s3, s7, s3
	s_lshl_b64 s[0:1], s[0:1], 4
	s_add_u32 s0, s2, s0
	s_addc_u32 s1, s3, s1
	v_lshl_add_u64 v[42:43], s[0:1], 0, v[62:63]
	s_ashr_i32 s3, s9, 31
	s_mov_b32 s2, s9
	v_lshl_add_u64 v[44:45], s[2:3], 4, v[42:43]
	s_add_i32 s2, s9, s9
	v_add_u32_e32 v14, s2, v0
	v_ashrrev_i32_e32 v15, 31, v14
	v_lshl_add_u64 v[46:47], v[14:15], 4, s[0:1]
	v_add_u32_e32 v14, s9, v14
	v_add_u32_e32 v22, s9, v14
	v_ashrrev_i32_e32 v23, 31, v22
	v_lshl_add_u64 v[50:51], v[22:23], 4, s[0:1]
	v_add_u32_e32 v22, s9, v22
	v_ashrrev_i32_e32 v23, 31, v22
	v_lshl_add_u64 v[52:53], v[22:23], 4, s[0:1]
	;; [unrolled: 3-line block ×3, first 2 shown]
	v_add_u32_e32 v22, s9, v22
	v_ashrrev_i32_e32 v23, 31, v22
	v_ashrrev_i32_e32 v15, 31, v14
	v_lshl_add_u64 v[56:57], v[22:23], 4, s[0:1]
	v_add_u32_e32 v22, s9, v22
	v_lshl_add_u64 v[48:49], v[14:15], 4, s[0:1]
	v_ashrrev_i32_e32 v23, 31, v22
	global_load_dwordx4 v[2:5], v62, s[0:1]
	global_load_dwordx4 v[6:9], v[44:45], off
	global_load_dwordx4 v[10:13], v[46:47], off
	;; [unrolled: 1-line block ×6, first 2 shown]
	v_lshl_add_u64 v[58:59], v[22:23], 4, s[0:1]
	global_load_dwordx4 v[34:37], v[56:57], off
	v_add_u32_e32 v38, s9, v22
	global_load_dwordx4 v[22:25], v[58:59], off
	v_add_u32_e32 v66, s9, v38
	v_add_u32_e32 v68, s9, v66
	;; [unrolled: 1-line block ×32, first 2 shown]
	v_ashrrev_i32_e32 v39, 31, v38
	v_add_u32_e32 v172, s9, v170
	v_lshl_add_u64 v[60:61], v[38:39], 4, s[0:1]
	v_add_u32_e32 v38, s9, v172
	v_ashrrev_i32_e32 v39, 31, v38
	v_ashrrev_i32_e32 v67, 31, v66
	v_lshl_add_u64 v[64:65], v[38:39], 4, s[0:1]
	v_ashrrev_i32_e32 v69, 31, v68
	v_ashrrev_i32_e32 v75, 31, v74
	;; [unrolled: 1-line block ×7, first 2 shown]
	global_load_dwordx4 v[38:41], v[64:65], off
	v_lshl_add_u64 v[70:71], v[66:67], 4, s[0:1]
	v_lshl_add_u64 v[66:67], v[68:69], 4, s[0:1]
	v_ashrrev_i32_e32 v73, 31, v72
	v_ashrrev_i32_e32 v77, 31, v76
	;; [unrolled: 1-line block ×3, first 2 shown]
	s_waitcnt vmcnt(9)
	scratch_store_dwordx4 off, v[2:5], off
	s_waitcnt vmcnt(9)
	scratch_store_dwordx4 off, v[6:9], off offset:16
	s_waitcnt vmcnt(9)
	scratch_store_dwordx4 off, v[10:13], off offset:32
	;; [unrolled: 2-line block ×7, first 2 shown]
	v_lshl_add_u64 v[30:31], v[74:75], 4, s[0:1]
	v_lshl_add_u64 v[18:19], v[78:79], 4, s[0:1]
	;; [unrolled: 1-line block ×3, first 2 shown]
	v_ashrrev_i32_e32 v85, 31, v84
	v_lshl_add_u64 v[20:21], v[86:87], 4, s[0:1]
	v_ashrrev_i32_e32 v89, 31, v88
	v_lshl_add_u64 v[32:33], v[90:91], 4, s[0:1]
	;; [unrolled: 2-line block ×3, first 2 shown]
	v_ashrrev_i32_e32 v99, 31, v98
	v_ashrrev_i32_e32 v103, 31, v102
	global_load_dwordx4 v[2:5], v[60:61], off
	global_load_dwordx4 v[6:9], v[70:71], off
	v_lshl_add_u64 v[34:35], v[72:73], 4, s[0:1]
	global_load_dwordx4 v[104:107], v[66:67], off
	global_load_dwordx4 v[108:111], v[34:35], off
	v_lshl_add_u64 v[26:27], v[76:77], 4, s[0:1]
	;; [unrolled: 3-line block ×7, first 2 shown]
	global_load_dwordx4 v[132:135], v[68:69], off
	global_load_dwordx4 v[136:139], v[72:73], off
	v_ashrrev_i32_e32 v97, 31, v96
	s_waitcnt vmcnt(25)
	scratch_store_dwordx4 off, v[22:25], off offset:128
	v_ashrrev_i32_e32 v101, 31, v100
	v_ashrrev_i32_e32 v147, 31, v146
	v_lshl_add_u64 v[22:23], v[102:103], 4, s[0:1]
	global_load_dwordx4 v[140:143], v[22:23], off
	v_ashrrev_i32_e32 v151, 31, v150
	v_ashrrev_i32_e32 v155, 31, v154
	v_ashrrev_i32_e32 v159, 31, v158
	v_ashrrev_i32_e32 v163, 31, v162
	v_ashrrev_i32_e32 v167, 31, v166
	v_ashrrev_i32_e32 v171, 31, v170
	v_lshl_add_u64 v[24:25], v[96:97], 4, s[0:1]
	v_ashrrev_i32_e32 v145, 31, v144
	v_ashrrev_i32_e32 v149, 31, v148
	;; [unrolled: 1-line block ×5, first 2 shown]
	v_lshl_add_u64 v[94:95], v[162:163], 4, s[0:1]
	v_ashrrev_i32_e32 v165, 31, v164
	v_lshl_add_u64 v[98:99], v[166:167], 4, s[0:1]
	v_ashrrev_i32_e32 v169, 31, v168
	;; [unrolled: 2-line block ×3, first 2 shown]
	v_lshl_add_u64 v[96:97], v[164:165], 4, s[0:1]
	s_cmpk_lg_i32 s5, 0x84
	s_cselect_b64 s[6:7], -1, 0
	s_cmpk_eq_i32 s5, 0x84
	s_waitcnt vmcnt(17)
	scratch_store_dwordx4 off, v[2:5], off offset:144
	s_waitcnt vmcnt(17)
	scratch_store_dwordx4 off, v[6:9], off offset:160
	;; [unrolled: 2-line block ×16, first 2 shown]
	v_lshl_add_u64 v[74:75], v[100:101], 4, s[0:1]
	v_lshl_add_u64 v[78:79], v[146:147], 4, s[0:1]
	;; [unrolled: 1-line block ×5, first 2 shown]
	s_waitcnt vmcnt(16)
	scratch_store_dwordx4 off, v[140:143], off offset:400
	global_load_dwordx4 v[2:5], v[24:25], off
	v_lshl_add_u64 v[76:77], v[144:145], 4, s[0:1]
	global_load_dwordx4 v[6:9], v[74:75], off
	global_load_dwordx4 v[106:109], v[76:77], off
	v_lshl_add_u64 v[80:81], v[148:149], 4, s[0:1]
	global_load_dwordx4 v[110:113], v[78:79], off
	;; [unrolled: 3-line block ×5, first 2 shown]
	global_load_dwordx4 v[138:141], v[92:93], off
	global_load_dwordx4 v[142:145], v[94:95], off
	;; [unrolled: 1-line block ×3, first 2 shown]
	v_lshl_add_u64 v[100:101], v[168:169], 4, s[0:1]
	global_load_dwordx4 v[150:153], v[98:99], off
	global_load_dwordx4 v[154:157], v[100:101], off
	v_lshl_add_u64 v[104:105], v[172:173], 4, s[0:1]
	global_load_dwordx4 v[158:161], v[102:103], off
	global_load_dwordx4 v[162:165], v[104:105], off
	s_waitcnt vmcnt(16)
	scratch_store_dwordx4 off, v[2:5], off offset:416
	s_waitcnt vmcnt(16)
	scratch_store_dwordx4 off, v[6:9], off offset:432
	;; [unrolled: 2-line block ×17, first 2 shown]
	scratch_store_dwordx4 off, v[38:41], off offset:688
	s_cbranch_scc1 .LBB43_7
; %bb.2:
	scratch_load_dwordx4 v[8:11], v62, off
                                        ; implicit-def: $vgpr6_vgpr7
	s_waitcnt vmcnt(0)
	v_xor_b32_e32 v3, 0x80000000, v9
	v_cmp_gt_f64_e32 vcc, 0, v[8:9]
	v_xor_b32_e32 v4, 0x80000000, v11
	v_mov_b32_e32 v2, v8
	v_cndmask_b32_e32 v3, v9, v3, vcc
	v_cmp_gt_f64_e32 vcc, 0, v[10:11]
	s_nop 1
	v_cndmask_b32_e32 v5, v11, v4, vcc
	v_mov_b32_e32 v4, v10
	v_cmp_ngt_f64_e32 vcc, v[2:3], v[4:5]
                                        ; implicit-def: $vgpr2_vgpr3
	s_and_saveexec_b64 s[0:1], vcc
	s_xor_b64 s[0:1], exec, s[0:1]
	s_cbranch_execz .LBB43_4
; %bb.3:
	v_div_scale_f64 v[2:3], s[2:3], v[10:11], v[10:11], v[8:9]
	v_rcp_f64_e32 v[4:5], v[2:3]
	v_div_scale_f64 v[6:7], vcc, v[8:9], v[10:11], v[8:9]
	v_fma_f64 v[38:39], -v[2:3], v[4:5], 1.0
	v_fmac_f64_e32 v[4:5], v[4:5], v[38:39]
	v_fma_f64 v[38:39], -v[2:3], v[4:5], 1.0
	v_fmac_f64_e32 v[4:5], v[4:5], v[38:39]
	v_mul_f64 v[38:39], v[6:7], v[4:5]
	v_fma_f64 v[2:3], -v[2:3], v[38:39], v[6:7]
	v_div_fmas_f64 v[2:3], v[2:3], v[4:5], v[38:39]
	v_div_fixup_f64 v[2:3], v[2:3], v[10:11], v[8:9]
	v_fmac_f64_e32 v[10:11], v[8:9], v[2:3]
	v_div_scale_f64 v[4:5], s[2:3], v[10:11], v[10:11], 1.0
	v_rcp_f64_e32 v[6:7], v[4:5]
	s_nop 0
	v_fma_f64 v[8:9], -v[4:5], v[6:7], 1.0
	v_fmac_f64_e32 v[6:7], v[6:7], v[8:9]
	v_fma_f64 v[8:9], -v[4:5], v[6:7], 1.0
	v_fmac_f64_e32 v[6:7], v[6:7], v[8:9]
	v_div_scale_f64 v[8:9], vcc, 1.0, v[10:11], 1.0
	v_mul_f64 v[38:39], v[8:9], v[6:7]
	v_fma_f64 v[4:5], -v[4:5], v[38:39], v[8:9]
                                        ; implicit-def: $vgpr8_vgpr9
	s_nop 1
	v_div_fmas_f64 v[4:5], v[4:5], v[6:7], v[38:39]
	v_div_fixup_f64 v[4:5], v[4:5], v[10:11], 1.0
	v_mul_f64 v[2:3], v[2:3], v[4:5]
	v_xor_b32_e32 v5, 0x80000000, v5
	v_xor_b32_e32 v7, 0x80000000, v3
	v_mov_b32_e32 v6, v2
.LBB43_4:
	s_or_saveexec_b64 s[0:1], s[0:1]
	v_add_u32_e32 v38, 0, v62
	s_xor_b64 exec, exec, s[0:1]
	s_cbranch_execz .LBB43_6
; %bb.5:
	v_div_scale_f64 v[2:3], s[2:3], v[8:9], v[8:9], v[10:11]
	v_rcp_f64_e32 v[4:5], v[2:3]
	v_div_scale_f64 v[6:7], vcc, v[10:11], v[8:9], v[10:11]
	v_fma_f64 v[40:41], -v[2:3], v[4:5], 1.0
	v_fmac_f64_e32 v[4:5], v[4:5], v[40:41]
	v_fma_f64 v[40:41], -v[2:3], v[4:5], 1.0
	v_fmac_f64_e32 v[4:5], v[4:5], v[40:41]
	v_mul_f64 v[40:41], v[6:7], v[4:5]
	v_fma_f64 v[2:3], -v[2:3], v[40:41], v[6:7]
	v_div_fmas_f64 v[2:3], v[2:3], v[4:5], v[40:41]
	v_div_fixup_f64 v[4:5], v[2:3], v[8:9], v[10:11]
	v_fmac_f64_e32 v[8:9], v[10:11], v[4:5]
	v_div_scale_f64 v[2:3], s[2:3], v[8:9], v[8:9], 1.0
	v_rcp_f64_e32 v[6:7], v[2:3]
	s_nop 0
	v_fma_f64 v[10:11], -v[2:3], v[6:7], 1.0
	v_fmac_f64_e32 v[6:7], v[6:7], v[10:11]
	v_fma_f64 v[10:11], -v[2:3], v[6:7], 1.0
	v_fmac_f64_e32 v[6:7], v[6:7], v[10:11]
	v_div_scale_f64 v[10:11], vcc, 1.0, v[8:9], 1.0
	v_mul_f64 v[40:41], v[10:11], v[6:7]
	v_fma_f64 v[2:3], -v[2:3], v[40:41], v[10:11]
	s_nop 1
	v_div_fmas_f64 v[2:3], v[2:3], v[6:7], v[40:41]
	v_div_fixup_f64 v[2:3], v[2:3], v[8:9], 1.0
	v_xor_b32_e32 v7, 0x80000000, v3
	v_mov_b32_e32 v6, v2
	v_mul_f64 v[4:5], v[4:5], -v[2:3]
.LBB43_6:
	s_or_b64 exec, exec, s[0:1]
	scratch_store_dwordx4 v38, v[2:5], off
	s_nop 1
	v_xor_b32_e32 v5, 0x80000000, v5
	s_branch .LBB43_8
.LBB43_7:
	v_mov_b64_e32 v[4:5], 0
	v_mov_b64_e32 v[6:7], -1.0
.LBB43_8:
	v_mov_b32_e32 v8, v4
	v_mov_b32_e32 v9, v5
	v_add_u32_e32 v140, 16, v1
	v_add_u32_e32 v139, 32, v1
	;; [unrolled: 1-line block ×43, first 2 shown]
	ds_write_b128 v62, v[6:9]
	s_cmpk_eq_i32 s4, 0x79
	v_add_u32_e32 v9, 0x2c0, v62
	v_add_u32_e32 v8, 0, v62
	s_cbranch_scc1 .LBB43_348
; %bb.9:
	scratch_load_dwordx4 v[2:5], v10, off
	v_cmp_eq_u32_e64 s[0:1], 43, v0
	s_waitcnt vmcnt(0)
	ds_write_b128 v9, v[2:5]
	s_waitcnt lgkmcnt(0)
	; wave barrier
	s_waitcnt lgkmcnt(0)
	s_and_saveexec_b64 s[2:3], s[0:1]
	s_cbranch_execz .LBB43_13
; %bb.10:
	ds_read_b128 v[2:5], v9
	s_andn2_b64 vcc, exec, s[6:7]
	s_cbranch_vccnz .LBB43_12
; %bb.11:
	scratch_load_dwordx4 v[142:145], v8, off
	s_waitcnt vmcnt(0) lgkmcnt(0)
	v_mul_f64 v[6:7], v[4:5], v[144:145]
	v_mul_f64 v[144:145], v[2:3], v[144:145]
	v_fmac_f64_e32 v[144:145], v[4:5], v[142:143]
	v_fma_f64 v[2:3], v[2:3], v[142:143], -v[6:7]
	v_mov_b64_e32 v[4:5], v[144:145]
.LBB43_12:
	v_mov_b32_e32 v6, 0
	ds_read_b128 v[142:145], v6 offset:672
	s_waitcnt lgkmcnt(0)
	v_mul_f64 v[6:7], v[4:5], v[144:145]
	v_mul_f64 v[146:147], v[2:3], v[144:145]
	v_fma_f64 v[144:145], v[2:3], v[142:143], -v[6:7]
	v_fmac_f64_e32 v[146:147], v[4:5], v[142:143]
	scratch_store_dwordx4 off, v[144:147], off offset:672
.LBB43_13:
	s_or_b64 exec, exec, s[2:3]
	scratch_load_dwordx4 v[2:5], v11, off
	v_cmp_lt_u32_e64 s[2:3], 41, v0
	s_waitcnt vmcnt(0)
	ds_write_b128 v9, v[2:5]
	s_waitcnt lgkmcnt(0)
	; wave barrier
	s_waitcnt lgkmcnt(0)
	s_and_saveexec_b64 s[4:5], s[2:3]
	s_cbranch_execz .LBB43_19
; %bb.14:
	ds_read_b128 v[2:5], v9
	s_andn2_b64 vcc, exec, s[6:7]
	s_cbranch_vccnz .LBB43_16
; %bb.15:
	scratch_load_dwordx4 v[142:145], v8, off
	s_waitcnt vmcnt(0) lgkmcnt(0)
	v_mul_f64 v[6:7], v[4:5], v[144:145]
	v_mul_f64 v[144:145], v[2:3], v[144:145]
	v_fmac_f64_e32 v[144:145], v[4:5], v[142:143]
	v_fma_f64 v[2:3], v[2:3], v[142:143], -v[6:7]
	v_mov_b64_e32 v[4:5], v[144:145]
.LBB43_16:
	s_and_saveexec_b64 s[8:9], s[0:1]
	s_cbranch_execz .LBB43_18
; %bb.17:
	scratch_load_dwordx4 v[142:145], off, off offset:672
	v_mov_b32_e32 v6, 0
	ds_read_b128 v[146:149], v6 offset:1376
	s_waitcnt vmcnt(0) lgkmcnt(0)
	v_mul_f64 v[6:7], v[146:147], v[144:145]
	v_mul_f64 v[144:145], v[148:149], v[144:145]
	v_fmac_f64_e32 v[6:7], v[148:149], v[142:143]
	v_fma_f64 v[142:143], v[146:147], v[142:143], -v[144:145]
	v_add_f64 v[4:5], v[4:5], v[6:7]
	v_add_f64 v[2:3], v[2:3], v[142:143]
.LBB43_18:
	s_or_b64 exec, exec, s[8:9]
	v_mov_b32_e32 v6, 0
	ds_read_b128 v[142:145], v6 offset:656
	s_waitcnt lgkmcnt(0)
	v_mul_f64 v[6:7], v[4:5], v[144:145]
	v_mul_f64 v[146:147], v[2:3], v[144:145]
	v_fma_f64 v[144:145], v[2:3], v[142:143], -v[6:7]
	v_fmac_f64_e32 v[146:147], v[4:5], v[142:143]
	scratch_store_dwordx4 off, v[144:147], off offset:656
.LBB43_19:
	s_or_b64 exec, exec, s[4:5]
	scratch_load_dwordx4 v[2:5], v38, off
	v_cmp_lt_u32_e64 s[0:1], 40, v0
	s_waitcnt vmcnt(0)
	ds_write_b128 v9, v[2:5]
	s_waitcnt lgkmcnt(0)
	; wave barrier
	s_waitcnt lgkmcnt(0)
	s_and_saveexec_b64 s[4:5], s[0:1]
	s_cbranch_execz .LBB43_27
; %bb.20:
	ds_read_b128 v[2:5], v9
	s_andn2_b64 vcc, exec, s[6:7]
	s_cbranch_vccnz .LBB43_22
; %bb.21:
	scratch_load_dwordx4 v[142:145], v8, off
	s_waitcnt vmcnt(0) lgkmcnt(0)
	v_mul_f64 v[6:7], v[4:5], v[144:145]
	v_mul_f64 v[144:145], v[2:3], v[144:145]
	v_fmac_f64_e32 v[144:145], v[4:5], v[142:143]
	v_fma_f64 v[2:3], v[2:3], v[142:143], -v[6:7]
	v_mov_b64_e32 v[4:5], v[144:145]
.LBB43_22:
	s_and_saveexec_b64 s[8:9], s[2:3]
	s_cbranch_execz .LBB43_26
; %bb.23:
	v_mov_b32_e32 v7, 0
	v_subrev_u32_e32 v6, 41, v0
	v_add_u32_e32 v7, 0x298, v7
	s_movk_i32 s10, 0x550
	s_mov_b64 s[2:3], 0
.LBB43_24:                              ; =>This Inner Loop Header: Depth=1
	v_add_u32_e32 v141, -8, v7
	scratch_load_dwordx4 v[142:145], v141, off
	v_mov_b32_e32 v141, s10
	ds_read_b128 v[146:149], v141
	v_add_u32_e32 v6, -1, v6
	s_add_i32 s10, s10, 16
	v_cmp_eq_u32_e32 vcc, 0, v6
	v_add_u32_e32 v7, 16, v7
	s_or_b64 s[2:3], vcc, s[2:3]
	s_waitcnt vmcnt(0) lgkmcnt(0)
	v_mul_f64 v[150:151], v[148:149], v[144:145]
	v_mul_f64 v[144:145], v[146:147], v[144:145]
	v_fma_f64 v[146:147], v[146:147], v[142:143], -v[150:151]
	v_fmac_f64_e32 v[144:145], v[148:149], v[142:143]
	v_add_f64 v[2:3], v[2:3], v[146:147]
	v_add_f64 v[4:5], v[4:5], v[144:145]
	s_andn2_b64 exec, exec, s[2:3]
	s_cbranch_execnz .LBB43_24
; %bb.25:
	s_or_b64 exec, exec, s[2:3]
.LBB43_26:
	s_or_b64 exec, exec, s[8:9]
	v_mov_b32_e32 v6, 0
	ds_read_b128 v[142:145], v6 offset:640
	s_waitcnt lgkmcnt(0)
	v_mul_f64 v[6:7], v[4:5], v[144:145]
	v_mul_f64 v[146:147], v[2:3], v[144:145]
	v_fma_f64 v[144:145], v[2:3], v[142:143], -v[6:7]
	v_fmac_f64_e32 v[146:147], v[4:5], v[142:143]
	scratch_store_dwordx4 off, v[144:147], off offset:640
.LBB43_27:
	s_or_b64 exec, exec, s[4:5]
	scratch_load_dwordx4 v[2:5], v39, off
	v_cmp_lt_u32_e64 s[2:3], 39, v0
	s_waitcnt vmcnt(0)
	ds_write_b128 v9, v[2:5]
	s_waitcnt lgkmcnt(0)
	; wave barrier
	s_waitcnt lgkmcnt(0)
	s_and_saveexec_b64 s[4:5], s[2:3]
	s_cbranch_execz .LBB43_35
; %bb.28:
	ds_read_b128 v[2:5], v9
	s_andn2_b64 vcc, exec, s[6:7]
	s_cbranch_vccnz .LBB43_30
; %bb.29:
	scratch_load_dwordx4 v[142:145], v8, off
	s_waitcnt vmcnt(0) lgkmcnt(0)
	v_mul_f64 v[6:7], v[4:5], v[144:145]
	v_mul_f64 v[144:145], v[2:3], v[144:145]
	v_fmac_f64_e32 v[144:145], v[4:5], v[142:143]
	v_fma_f64 v[2:3], v[2:3], v[142:143], -v[6:7]
	v_mov_b64_e32 v[4:5], v[144:145]
.LBB43_30:
	s_and_saveexec_b64 s[8:9], s[0:1]
	s_cbranch_execz .LBB43_34
; %bb.31:
	v_mov_b32_e32 v7, 0
	v_subrev_u32_e32 v6, 40, v0
	v_add_u32_e32 v7, 0x288, v7
	s_movk_i32 s10, 0x540
	s_mov_b64 s[0:1], 0
.LBB43_32:                              ; =>This Inner Loop Header: Depth=1
	v_add_u32_e32 v141, -8, v7
	scratch_load_dwordx4 v[142:145], v141, off
	v_mov_b32_e32 v141, s10
	ds_read_b128 v[146:149], v141
	v_add_u32_e32 v6, -1, v6
	s_add_i32 s10, s10, 16
	v_cmp_eq_u32_e32 vcc, 0, v6
	v_add_u32_e32 v7, 16, v7
	s_or_b64 s[0:1], vcc, s[0:1]
	s_waitcnt vmcnt(0) lgkmcnt(0)
	v_mul_f64 v[150:151], v[148:149], v[144:145]
	v_mul_f64 v[144:145], v[146:147], v[144:145]
	v_fma_f64 v[146:147], v[146:147], v[142:143], -v[150:151]
	v_fmac_f64_e32 v[144:145], v[148:149], v[142:143]
	v_add_f64 v[2:3], v[2:3], v[146:147]
	v_add_f64 v[4:5], v[4:5], v[144:145]
	s_andn2_b64 exec, exec, s[0:1]
	s_cbranch_execnz .LBB43_32
; %bb.33:
	s_or_b64 exec, exec, s[0:1]
.LBB43_34:
	s_or_b64 exec, exec, s[8:9]
	v_mov_b32_e32 v6, 0
	ds_read_b128 v[142:145], v6 offset:624
	s_waitcnt lgkmcnt(0)
	v_mul_f64 v[6:7], v[4:5], v[144:145]
	v_mul_f64 v[146:147], v[2:3], v[144:145]
	v_fma_f64 v[144:145], v[2:3], v[142:143], -v[6:7]
	v_fmac_f64_e32 v[146:147], v[4:5], v[142:143]
	scratch_store_dwordx4 off, v[144:147], off offset:624
.LBB43_35:
	;; [unrolled: 63-line block ×10, first 2 shown]
	s_or_b64 exec, exec, s[4:5]
	scratch_load_dwordx4 v[2:5], v111, off
	v_cmp_lt_u32_e64 s[0:1], 30, v0
	s_waitcnt vmcnt(0)
	ds_write_b128 v9, v[2:5]
	s_waitcnt lgkmcnt(0)
	; wave barrier
	s_waitcnt lgkmcnt(0)
	s_and_saveexec_b64 s[4:5], s[0:1]
	s_cbranch_execz .LBB43_107
; %bb.100:
	ds_read_b128 v[2:5], v9
	s_andn2_b64 vcc, exec, s[6:7]
	s_cbranch_vccnz .LBB43_102
; %bb.101:
	scratch_load_dwordx4 v[142:145], v8, off
	s_waitcnt vmcnt(0) lgkmcnt(0)
	v_mul_f64 v[6:7], v[4:5], v[144:145]
	v_mul_f64 v[144:145], v[2:3], v[144:145]
	v_fmac_f64_e32 v[144:145], v[4:5], v[142:143]
	v_fma_f64 v[2:3], v[2:3], v[142:143], -v[6:7]
	v_mov_b64_e32 v[4:5], v[144:145]
.LBB43_102:
	s_and_saveexec_b64 s[8:9], s[2:3]
	s_cbranch_execz .LBB43_106
; %bb.103:
	v_mov_b32_e32 v7, 0
	v_subrev_u32_e32 v6, 31, v0
	v_add_u32_e32 v7, 0x1f8, v7
	s_movk_i32 s10, 0x4b0
	s_mov_b64 s[2:3], 0
.LBB43_104:                             ; =>This Inner Loop Header: Depth=1
	v_add_u32_e32 v141, -8, v7
	scratch_load_dwordx4 v[142:145], v141, off
	v_mov_b32_e32 v141, s10
	ds_read_b128 v[146:149], v141
	v_add_u32_e32 v6, -1, v6
	s_add_i32 s10, s10, 16
	v_cmp_eq_u32_e32 vcc, 0, v6
	v_add_u32_e32 v7, 16, v7
	s_or_b64 s[2:3], vcc, s[2:3]
	s_waitcnt vmcnt(0) lgkmcnt(0)
	v_mul_f64 v[150:151], v[148:149], v[144:145]
	v_mul_f64 v[144:145], v[146:147], v[144:145]
	v_fma_f64 v[146:147], v[146:147], v[142:143], -v[150:151]
	v_fmac_f64_e32 v[144:145], v[148:149], v[142:143]
	v_add_f64 v[2:3], v[2:3], v[146:147]
	v_add_f64 v[4:5], v[4:5], v[144:145]
	s_andn2_b64 exec, exec, s[2:3]
	s_cbranch_execnz .LBB43_104
; %bb.105:
	s_or_b64 exec, exec, s[2:3]
.LBB43_106:
	s_or_b64 exec, exec, s[8:9]
	v_mov_b32_e32 v6, 0
	ds_read_b128 v[142:145], v6 offset:480
	s_waitcnt lgkmcnt(0)
	v_mul_f64 v[6:7], v[4:5], v[144:145]
	v_mul_f64 v[146:147], v[2:3], v[144:145]
	v_fma_f64 v[144:145], v[2:3], v[142:143], -v[6:7]
	v_fmac_f64_e32 v[146:147], v[4:5], v[142:143]
	scratch_store_dwordx4 off, v[144:147], off offset:480
.LBB43_107:
	s_or_b64 exec, exec, s[4:5]
	scratch_load_dwordx4 v[2:5], v112, off
	v_cmp_lt_u32_e64 s[2:3], 29, v0
	s_waitcnt vmcnt(0)
	ds_write_b128 v9, v[2:5]
	s_waitcnt lgkmcnt(0)
	; wave barrier
	s_waitcnt lgkmcnt(0)
	s_and_saveexec_b64 s[4:5], s[2:3]
	s_cbranch_execz .LBB43_115
; %bb.108:
	ds_read_b128 v[2:5], v9
	s_andn2_b64 vcc, exec, s[6:7]
	s_cbranch_vccnz .LBB43_110
; %bb.109:
	scratch_load_dwordx4 v[142:145], v8, off
	s_waitcnt vmcnt(0) lgkmcnt(0)
	v_mul_f64 v[6:7], v[4:5], v[144:145]
	v_mul_f64 v[144:145], v[2:3], v[144:145]
	v_fmac_f64_e32 v[144:145], v[4:5], v[142:143]
	v_fma_f64 v[2:3], v[2:3], v[142:143], -v[6:7]
	v_mov_b64_e32 v[4:5], v[144:145]
.LBB43_110:
	s_and_saveexec_b64 s[8:9], s[0:1]
	s_cbranch_execz .LBB43_114
; %bb.111:
	v_mov_b32_e32 v7, 0
	v_subrev_u32_e32 v6, 30, v0
	v_add_u32_e32 v7, 0x1e8, v7
	s_movk_i32 s10, 0x4a0
	s_mov_b64 s[0:1], 0
.LBB43_112:                             ; =>This Inner Loop Header: Depth=1
	v_add_u32_e32 v141, -8, v7
	scratch_load_dwordx4 v[142:145], v141, off
	v_mov_b32_e32 v141, s10
	ds_read_b128 v[146:149], v141
	v_add_u32_e32 v6, -1, v6
	s_add_i32 s10, s10, 16
	v_cmp_eq_u32_e32 vcc, 0, v6
	v_add_u32_e32 v7, 16, v7
	s_or_b64 s[0:1], vcc, s[0:1]
	s_waitcnt vmcnt(0) lgkmcnt(0)
	v_mul_f64 v[150:151], v[148:149], v[144:145]
	v_mul_f64 v[144:145], v[146:147], v[144:145]
	v_fma_f64 v[146:147], v[146:147], v[142:143], -v[150:151]
	v_fmac_f64_e32 v[144:145], v[148:149], v[142:143]
	v_add_f64 v[2:3], v[2:3], v[146:147]
	v_add_f64 v[4:5], v[4:5], v[144:145]
	s_andn2_b64 exec, exec, s[0:1]
	s_cbranch_execnz .LBB43_112
; %bb.113:
	s_or_b64 exec, exec, s[0:1]
.LBB43_114:
	s_or_b64 exec, exec, s[8:9]
	v_mov_b32_e32 v6, 0
	ds_read_b128 v[142:145], v6 offset:464
	s_waitcnt lgkmcnt(0)
	v_mul_f64 v[6:7], v[4:5], v[144:145]
	v_mul_f64 v[146:147], v[2:3], v[144:145]
	v_fma_f64 v[144:145], v[2:3], v[142:143], -v[6:7]
	v_fmac_f64_e32 v[146:147], v[4:5], v[142:143]
	scratch_store_dwordx4 off, v[144:147], off offset:464
.LBB43_115:
	;; [unrolled: 63-line block ×15, first 2 shown]
	s_or_b64 exec, exec, s[4:5]
	scratch_load_dwordx4 v[2:5], v126, off
	v_cmp_lt_u32_e64 s[2:3], 15, v0
	s_waitcnt vmcnt(0)
	ds_write_b128 v9, v[2:5]
	s_waitcnt lgkmcnt(0)
	; wave barrier
	s_waitcnt lgkmcnt(0)
	s_and_saveexec_b64 s[4:5], s[2:3]
	s_cbranch_execz .LBB43_227
; %bb.220:
	ds_read_b128 v[2:5], v9
	s_andn2_b64 vcc, exec, s[6:7]
	s_cbranch_vccnz .LBB43_222
; %bb.221:
	scratch_load_dwordx4 v[142:145], v8, off
	s_waitcnt vmcnt(0) lgkmcnt(0)
	v_mul_f64 v[6:7], v[4:5], v[144:145]
	v_mul_f64 v[144:145], v[2:3], v[144:145]
	v_fmac_f64_e32 v[144:145], v[4:5], v[142:143]
	v_fma_f64 v[2:3], v[2:3], v[142:143], -v[6:7]
	v_mov_b64_e32 v[4:5], v[144:145]
.LBB43_222:
	s_and_saveexec_b64 s[8:9], s[0:1]
	s_cbranch_execz .LBB43_226
; %bb.223:
	v_mov_b32_e32 v7, 0
	v_add_u32_e32 v6, -16, v0
	v_add_u32_e32 v7, 0x108, v7
	s_movk_i32 s10, 0x3c0
	s_mov_b64 s[0:1], 0
.LBB43_224:                             ; =>This Inner Loop Header: Depth=1
	v_add_u32_e32 v141, -8, v7
	scratch_load_dwordx4 v[142:145], v141, off
	v_mov_b32_e32 v141, s10
	ds_read_b128 v[146:149], v141
	v_add_u32_e32 v6, -1, v6
	s_add_i32 s10, s10, 16
	v_cmp_eq_u32_e32 vcc, 0, v6
	v_add_u32_e32 v7, 16, v7
	s_or_b64 s[0:1], vcc, s[0:1]
	s_waitcnt vmcnt(0) lgkmcnt(0)
	v_mul_f64 v[150:151], v[148:149], v[144:145]
	v_mul_f64 v[144:145], v[146:147], v[144:145]
	v_fma_f64 v[146:147], v[146:147], v[142:143], -v[150:151]
	v_fmac_f64_e32 v[144:145], v[148:149], v[142:143]
	v_add_f64 v[2:3], v[2:3], v[146:147]
	v_add_f64 v[4:5], v[4:5], v[144:145]
	s_andn2_b64 exec, exec, s[0:1]
	s_cbranch_execnz .LBB43_224
; %bb.225:
	s_or_b64 exec, exec, s[0:1]
.LBB43_226:
	s_or_b64 exec, exec, s[8:9]
	v_mov_b32_e32 v6, 0
	ds_read_b128 v[142:145], v6 offset:240
	s_waitcnt lgkmcnt(0)
	v_mul_f64 v[6:7], v[4:5], v[144:145]
	v_mul_f64 v[146:147], v[2:3], v[144:145]
	v_fma_f64 v[144:145], v[2:3], v[142:143], -v[6:7]
	v_fmac_f64_e32 v[146:147], v[4:5], v[142:143]
	scratch_store_dwordx4 off, v[144:147], off offset:240
.LBB43_227:
	s_or_b64 exec, exec, s[4:5]
	scratch_load_dwordx4 v[2:5], v127, off
	v_cmp_lt_u32_e64 s[0:1], 14, v0
	s_waitcnt vmcnt(0)
	ds_write_b128 v9, v[2:5]
	s_waitcnt lgkmcnt(0)
	; wave barrier
	s_waitcnt lgkmcnt(0)
	s_and_saveexec_b64 s[4:5], s[0:1]
	s_cbranch_execz .LBB43_235
; %bb.228:
	ds_read_b128 v[2:5], v9
	s_andn2_b64 vcc, exec, s[6:7]
	s_cbranch_vccnz .LBB43_230
; %bb.229:
	scratch_load_dwordx4 v[142:145], v8, off
	s_waitcnt vmcnt(0) lgkmcnt(0)
	v_mul_f64 v[6:7], v[4:5], v[144:145]
	v_mul_f64 v[144:145], v[2:3], v[144:145]
	v_fmac_f64_e32 v[144:145], v[4:5], v[142:143]
	v_fma_f64 v[2:3], v[2:3], v[142:143], -v[6:7]
	v_mov_b64_e32 v[4:5], v[144:145]
.LBB43_230:
	s_and_saveexec_b64 s[8:9], s[2:3]
	s_cbranch_execz .LBB43_234
; %bb.231:
	v_mov_b32_e32 v7, 0
	v_add_u32_e32 v6, -15, v0
	v_add_u32_e32 v7, 0xf8, v7
	s_movk_i32 s10, 0x3b0
	s_mov_b64 s[2:3], 0
.LBB43_232:                             ; =>This Inner Loop Header: Depth=1
	v_add_u32_e32 v141, -8, v7
	scratch_load_dwordx4 v[142:145], v141, off
	v_mov_b32_e32 v141, s10
	ds_read_b128 v[146:149], v141
	v_add_u32_e32 v6, -1, v6
	s_add_i32 s10, s10, 16
	v_cmp_eq_u32_e32 vcc, 0, v6
	v_add_u32_e32 v7, 16, v7
	s_or_b64 s[2:3], vcc, s[2:3]
	s_waitcnt vmcnt(0) lgkmcnt(0)
	v_mul_f64 v[150:151], v[148:149], v[144:145]
	v_mul_f64 v[144:145], v[146:147], v[144:145]
	v_fma_f64 v[146:147], v[146:147], v[142:143], -v[150:151]
	v_fmac_f64_e32 v[144:145], v[148:149], v[142:143]
	v_add_f64 v[2:3], v[2:3], v[146:147]
	v_add_f64 v[4:5], v[4:5], v[144:145]
	s_andn2_b64 exec, exec, s[2:3]
	s_cbranch_execnz .LBB43_232
; %bb.233:
	s_or_b64 exec, exec, s[2:3]
.LBB43_234:
	s_or_b64 exec, exec, s[8:9]
	v_mov_b32_e32 v6, 0
	ds_read_b128 v[142:145], v6 offset:224
	s_waitcnt lgkmcnt(0)
	v_mul_f64 v[6:7], v[4:5], v[144:145]
	v_mul_f64 v[146:147], v[2:3], v[144:145]
	v_fma_f64 v[144:145], v[2:3], v[142:143], -v[6:7]
	v_fmac_f64_e32 v[146:147], v[4:5], v[142:143]
	scratch_store_dwordx4 off, v[144:147], off offset:224
.LBB43_235:
	;; [unrolled: 63-line block ×15, first 2 shown]
	s_or_b64 exec, exec, s[2:3]
	scratch_load_dwordx4 v[2:5], off, off
	v_cmp_ne_u32_e32 vcc, 0, v0
	s_mov_b64 s[2:3], 0
	s_mov_b64 s[4:5], 0
                                        ; implicit-def: $vgpr6_vgpr7
                                        ; implicit-def: $vgpr141
	s_waitcnt vmcnt(0)
	ds_write_b128 v9, v[2:5]
	s_waitcnt lgkmcnt(0)
	; wave barrier
	s_waitcnt lgkmcnt(0)
	s_and_saveexec_b64 s[8:9], vcc
	s_cbranch_execz .LBB43_347
; %bb.340:
	ds_read_b128 v[2:5], v9
	s_andn2_b64 vcc, exec, s[6:7]
	s_cbranch_vccnz .LBB43_342
; %bb.341:
	scratch_load_dwordx4 v[142:145], v8, off
	s_waitcnt vmcnt(0) lgkmcnt(0)
	v_mul_f64 v[6:7], v[4:5], v[144:145]
	v_mul_f64 v[144:145], v[2:3], v[144:145]
	v_fmac_f64_e32 v[144:145], v[4:5], v[142:143]
	v_fma_f64 v[2:3], v[2:3], v[142:143], -v[6:7]
	v_mov_b64_e32 v[4:5], v[144:145]
.LBB43_342:
	s_and_saveexec_b64 s[4:5], s[0:1]
	s_cbranch_execz .LBB43_346
; %bb.343:
	v_mov_b32_e32 v7, 0
	v_add_u32_e32 v6, -1, v0
	v_add_u32_e32 v7, 24, v7
	s_movk_i32 s10, 0x2d0
	s_mov_b64 s[0:1], 0
.LBB43_344:                             ; =>This Inner Loop Header: Depth=1
	v_add_u32_e32 v141, -8, v7
	scratch_load_dwordx4 v[142:145], v141, off
	v_mov_b32_e32 v141, s10
	ds_read_b128 v[146:149], v141
	v_add_u32_e32 v6, -1, v6
	s_add_i32 s10, s10, 16
	v_cmp_eq_u32_e32 vcc, 0, v6
	v_add_u32_e32 v7, 16, v7
	s_or_b64 s[0:1], vcc, s[0:1]
	s_waitcnt vmcnt(0) lgkmcnt(0)
	v_mul_f64 v[150:151], v[148:149], v[144:145]
	v_mul_f64 v[144:145], v[146:147], v[144:145]
	v_fma_f64 v[146:147], v[146:147], v[142:143], -v[150:151]
	v_fmac_f64_e32 v[144:145], v[148:149], v[142:143]
	v_add_f64 v[2:3], v[2:3], v[146:147]
	v_add_f64 v[4:5], v[4:5], v[144:145]
	s_andn2_b64 exec, exec, s[0:1]
	s_cbranch_execnz .LBB43_344
; %bb.345:
	s_or_b64 exec, exec, s[0:1]
.LBB43_346:
	s_or_b64 exec, exec, s[4:5]
	v_mov_b32_e32 v6, 0
	ds_read_b128 v[142:145], v6
	v_mov_b32_e32 v6, 0
	v_or_b32_e32 v141, 8, v6
	s_mov_b64 s[4:5], exec
	s_waitcnt lgkmcnt(0)
	v_mul_f64 v[146:147], v[4:5], v[144:145]
	v_mul_f64 v[6:7], v[2:3], v[144:145]
	v_fma_f64 v[2:3], v[2:3], v[142:143], -v[146:147]
	v_fmac_f64_e32 v[6:7], v[4:5], v[142:143]
	scratch_store_dwordx2 off, v[2:3], off
.LBB43_347:
	s_or_b64 exec, exec, s[8:9]
	s_and_b64 vcc, exec, s[2:3]
	s_cbranch_vccnz .LBB43_349
	s_branch .LBB43_688
.LBB43_348:
	s_mov_b64 s[4:5], 0
                                        ; implicit-def: $vgpr6_vgpr7
                                        ; implicit-def: $vgpr141
	s_cbranch_execz .LBB43_688
.LBB43_349:
	scratch_load_dwordx4 v[2:5], v140, off
	v_cndmask_b32_e64 v6, 0, 1, s[6:7]
	v_cmp_eq_u32_e64 s[2:3], 0, v0
	v_cmp_ne_u32_e64 s[0:1], 1, v6
	s_waitcnt vmcnt(0)
	ds_write_b128 v9, v[2:5]
	s_waitcnt lgkmcnt(0)
	; wave barrier
	s_waitcnt lgkmcnt(0)
	s_and_saveexec_b64 s[6:7], s[2:3]
	s_cbranch_execz .LBB43_353
; %bb.350:
	ds_read_b128 v[2:5], v9
	s_and_b64 vcc, exec, s[0:1]
	s_cbranch_vccnz .LBB43_352
; %bb.351:
	scratch_load_dwordx4 v[142:145], v8, off
	s_waitcnt vmcnt(0) lgkmcnt(0)
	v_mul_f64 v[6:7], v[4:5], v[144:145]
	v_mul_f64 v[144:145], v[2:3], v[144:145]
	v_fmac_f64_e32 v[144:145], v[4:5], v[142:143]
	v_fma_f64 v[2:3], v[2:3], v[142:143], -v[6:7]
	v_mov_b64_e32 v[4:5], v[144:145]
.LBB43_352:
	v_mov_b32_e32 v6, 0
	ds_read_b128 v[142:145], v6 offset:16
	s_waitcnt lgkmcnt(0)
	v_mul_f64 v[6:7], v[4:5], v[144:145]
	v_mul_f64 v[146:147], v[2:3], v[144:145]
	v_fma_f64 v[144:145], v[2:3], v[142:143], -v[6:7]
	v_fmac_f64_e32 v[146:147], v[4:5], v[142:143]
	scratch_store_dwordx4 off, v[144:147], off offset:16
.LBB43_353:
	s_or_b64 exec, exec, s[6:7]
	scratch_load_dwordx4 v[2:5], v139, off
	v_cmp_gt_u32_e32 vcc, 2, v0
	s_waitcnt vmcnt(0)
	ds_write_b128 v9, v[2:5]
	s_waitcnt lgkmcnt(0)
	; wave barrier
	s_waitcnt lgkmcnt(0)
	s_and_saveexec_b64 s[6:7], vcc
	s_cbranch_execz .LBB43_359
; %bb.354:
	ds_read_b128 v[2:5], v9
	s_and_b64 vcc, exec, s[0:1]
	s_cbranch_vccnz .LBB43_356
; %bb.355:
	scratch_load_dwordx4 v[142:145], v8, off
	s_waitcnt vmcnt(0) lgkmcnt(0)
	v_mul_f64 v[6:7], v[4:5], v[144:145]
	v_mul_f64 v[144:145], v[2:3], v[144:145]
	v_fmac_f64_e32 v[144:145], v[4:5], v[142:143]
	v_fma_f64 v[2:3], v[2:3], v[142:143], -v[6:7]
	v_mov_b64_e32 v[4:5], v[144:145]
.LBB43_356:
	s_and_saveexec_b64 s[8:9], s[2:3]
	s_cbranch_execz .LBB43_358
; %bb.357:
	scratch_load_dwordx4 v[142:145], v8, off offset:16
	ds_read_b128 v[146:149], v9 offset:16
	s_waitcnt vmcnt(0) lgkmcnt(0)
	v_mul_f64 v[6:7], v[148:149], v[144:145]
	v_mul_f64 v[144:145], v[146:147], v[144:145]
	v_fma_f64 v[6:7], v[146:147], v[142:143], -v[6:7]
	v_fmac_f64_e32 v[144:145], v[148:149], v[142:143]
	v_add_f64 v[2:3], v[2:3], v[6:7]
	v_add_f64 v[4:5], v[4:5], v[144:145]
.LBB43_358:
	s_or_b64 exec, exec, s[8:9]
	v_mov_b32_e32 v6, 0
	ds_read_b128 v[142:145], v6 offset:32
	s_waitcnt lgkmcnt(0)
	v_mul_f64 v[6:7], v[4:5], v[144:145]
	v_mul_f64 v[146:147], v[2:3], v[144:145]
	v_fma_f64 v[144:145], v[2:3], v[142:143], -v[6:7]
	v_fmac_f64_e32 v[146:147], v[4:5], v[142:143]
	scratch_store_dwordx4 off, v[144:147], off offset:32
.LBB43_359:
	s_or_b64 exec, exec, s[6:7]
	scratch_load_dwordx4 v[2:5], v138, off
	v_cmp_gt_u32_e32 vcc, 3, v0
	s_waitcnt vmcnt(0)
	ds_write_b128 v9, v[2:5]
	s_waitcnt lgkmcnt(0)
	; wave barrier
	s_waitcnt lgkmcnt(0)
	s_and_saveexec_b64 s[6:7], vcc
	s_cbranch_execz .LBB43_367
; %bb.360:
	ds_read_b128 v[2:5], v9
	s_and_b64 vcc, exec, s[0:1]
	s_cbranch_vccnz .LBB43_362
; %bb.361:
	scratch_load_dwordx4 v[142:145], v8, off
	s_waitcnt vmcnt(0) lgkmcnt(0)
	v_mul_f64 v[6:7], v[4:5], v[144:145]
	v_mul_f64 v[144:145], v[2:3], v[144:145]
	v_fmac_f64_e32 v[144:145], v[4:5], v[142:143]
	v_fma_f64 v[2:3], v[2:3], v[142:143], -v[6:7]
	v_mov_b64_e32 v[4:5], v[144:145]
.LBB43_362:
	v_cmp_ne_u32_e32 vcc, 2, v0
	s_and_saveexec_b64 s[8:9], vcc
	s_cbranch_execz .LBB43_366
; %bb.363:
	scratch_load_dwordx4 v[142:145], v8, off offset:16
	ds_read_b128 v[146:149], v9 offset:16
	s_waitcnt vmcnt(0) lgkmcnt(0)
	v_mul_f64 v[6:7], v[148:149], v[144:145]
	v_mul_f64 v[144:145], v[146:147], v[144:145]
	v_fma_f64 v[6:7], v[146:147], v[142:143], -v[6:7]
	v_fmac_f64_e32 v[144:145], v[148:149], v[142:143]
	v_add_f64 v[2:3], v[2:3], v[6:7]
	v_add_f64 v[4:5], v[4:5], v[144:145]
	s_and_saveexec_b64 s[10:11], s[2:3]
	s_cbranch_execz .LBB43_365
; %bb.364:
	scratch_load_dwordx4 v[142:145], off, off offset:32
	v_mov_b32_e32 v6, 0
	ds_read_b128 v[146:149], v6 offset:736
	s_waitcnt vmcnt(0) lgkmcnt(0)
	v_mul_f64 v[6:7], v[146:147], v[144:145]
	v_mul_f64 v[144:145], v[148:149], v[144:145]
	v_fmac_f64_e32 v[6:7], v[148:149], v[142:143]
	v_fma_f64 v[142:143], v[146:147], v[142:143], -v[144:145]
	v_add_f64 v[4:5], v[4:5], v[6:7]
	v_add_f64 v[2:3], v[2:3], v[142:143]
.LBB43_365:
	s_or_b64 exec, exec, s[10:11]
.LBB43_366:
	s_or_b64 exec, exec, s[8:9]
	v_mov_b32_e32 v6, 0
	ds_read_b128 v[142:145], v6 offset:48
	s_waitcnt lgkmcnt(0)
	v_mul_f64 v[6:7], v[4:5], v[144:145]
	v_mul_f64 v[146:147], v[2:3], v[144:145]
	v_fma_f64 v[144:145], v[2:3], v[142:143], -v[6:7]
	v_fmac_f64_e32 v[146:147], v[4:5], v[142:143]
	scratch_store_dwordx4 off, v[144:147], off offset:48
.LBB43_367:
	s_or_b64 exec, exec, s[6:7]
	scratch_load_dwordx4 v[2:5], v137, off
	v_cmp_gt_u32_e32 vcc, 4, v0
	s_waitcnt vmcnt(0)
	ds_write_b128 v9, v[2:5]
	s_waitcnt lgkmcnt(0)
	; wave barrier
	s_waitcnt lgkmcnt(0)
	s_and_saveexec_b64 s[2:3], vcc
	s_cbranch_execz .LBB43_375
; %bb.368:
	ds_read_b128 v[2:5], v9
	s_and_b64 vcc, exec, s[0:1]
	s_cbranch_vccnz .LBB43_370
; %bb.369:
	scratch_load_dwordx4 v[142:145], v8, off
	s_waitcnt vmcnt(0) lgkmcnt(0)
	v_mul_f64 v[6:7], v[4:5], v[144:145]
	v_mul_f64 v[144:145], v[2:3], v[144:145]
	v_fmac_f64_e32 v[144:145], v[4:5], v[142:143]
	v_fma_f64 v[2:3], v[2:3], v[142:143], -v[6:7]
	v_mov_b64_e32 v[4:5], v[144:145]
.LBB43_370:
	v_cmp_ne_u32_e32 vcc, 3, v0
	s_and_saveexec_b64 s[6:7], vcc
	s_cbranch_execz .LBB43_374
; %bb.371:
	v_mov_b32_e32 v7, 0
	v_add_u32_e32 v6, 0x2d0, v62
	v_add3_u32 v7, v62, v7, 24
	s_mov_b64 s[8:9], 0
	v_mov_b32_e32 v141, v0
.LBB43_372:                             ; =>This Inner Loop Header: Depth=1
	v_add_u32_e32 v142, -8, v7
	scratch_load_dwordx4 v[142:145], v142, off
	ds_read_b128 v[146:149], v6
	v_add_u32_e32 v141, 1, v141
	v_cmp_lt_u32_e32 vcc, 2, v141
	v_add_u32_e32 v6, 16, v6
	v_add_u32_e32 v7, 16, v7
	s_or_b64 s[8:9], vcc, s[8:9]
	s_waitcnt vmcnt(0) lgkmcnt(0)
	v_mul_f64 v[150:151], v[148:149], v[144:145]
	v_mul_f64 v[144:145], v[146:147], v[144:145]
	v_fma_f64 v[146:147], v[146:147], v[142:143], -v[150:151]
	v_fmac_f64_e32 v[144:145], v[148:149], v[142:143]
	v_add_f64 v[2:3], v[2:3], v[146:147]
	v_add_f64 v[4:5], v[4:5], v[144:145]
	s_andn2_b64 exec, exec, s[8:9]
	s_cbranch_execnz .LBB43_372
; %bb.373:
	s_or_b64 exec, exec, s[8:9]
.LBB43_374:
	s_or_b64 exec, exec, s[6:7]
	v_mov_b32_e32 v6, 0
	ds_read_b128 v[142:145], v6 offset:64
	s_waitcnt lgkmcnt(0)
	v_mul_f64 v[6:7], v[4:5], v[144:145]
	v_mul_f64 v[146:147], v[2:3], v[144:145]
	v_fma_f64 v[144:145], v[2:3], v[142:143], -v[6:7]
	v_fmac_f64_e32 v[146:147], v[4:5], v[142:143]
	scratch_store_dwordx4 off, v[144:147], off offset:64
.LBB43_375:
	s_or_b64 exec, exec, s[2:3]
	scratch_load_dwordx4 v[2:5], v136, off
	v_cmp_gt_u32_e32 vcc, 5, v0
	s_waitcnt vmcnt(0)
	ds_write_b128 v9, v[2:5]
	s_waitcnt lgkmcnt(0)
	; wave barrier
	s_waitcnt lgkmcnt(0)
	s_and_saveexec_b64 s[2:3], vcc
	s_cbranch_execz .LBB43_383
; %bb.376:
	ds_read_b128 v[2:5], v9
	s_and_b64 vcc, exec, s[0:1]
	s_cbranch_vccnz .LBB43_378
; %bb.377:
	scratch_load_dwordx4 v[142:145], v8, off
	s_waitcnt vmcnt(0) lgkmcnt(0)
	v_mul_f64 v[6:7], v[4:5], v[144:145]
	v_mul_f64 v[144:145], v[2:3], v[144:145]
	v_fmac_f64_e32 v[144:145], v[4:5], v[142:143]
	v_fma_f64 v[2:3], v[2:3], v[142:143], -v[6:7]
	v_mov_b64_e32 v[4:5], v[144:145]
.LBB43_378:
	v_cmp_ne_u32_e32 vcc, 4, v0
	s_and_saveexec_b64 s[6:7], vcc
	s_cbranch_execz .LBB43_382
; %bb.379:
	v_mov_b32_e32 v7, 0
	v_add_u32_e32 v6, 0x2d0, v62
	v_add3_u32 v7, v62, v7, 24
	s_mov_b64 s[8:9], 0
	v_mov_b32_e32 v141, v0
.LBB43_380:                             ; =>This Inner Loop Header: Depth=1
	v_add_u32_e32 v142, -8, v7
	scratch_load_dwordx4 v[142:145], v142, off
	ds_read_b128 v[146:149], v6
	v_add_u32_e32 v141, 1, v141
	v_cmp_lt_u32_e32 vcc, 3, v141
	v_add_u32_e32 v6, 16, v6
	v_add_u32_e32 v7, 16, v7
	s_or_b64 s[8:9], vcc, s[8:9]
	s_waitcnt vmcnt(0) lgkmcnt(0)
	v_mul_f64 v[150:151], v[148:149], v[144:145]
	v_mul_f64 v[144:145], v[146:147], v[144:145]
	v_fma_f64 v[146:147], v[146:147], v[142:143], -v[150:151]
	v_fmac_f64_e32 v[144:145], v[148:149], v[142:143]
	v_add_f64 v[2:3], v[2:3], v[146:147]
	v_add_f64 v[4:5], v[4:5], v[144:145]
	s_andn2_b64 exec, exec, s[8:9]
	s_cbranch_execnz .LBB43_380
; %bb.381:
	s_or_b64 exec, exec, s[8:9]
.LBB43_382:
	s_or_b64 exec, exec, s[6:7]
	v_mov_b32_e32 v6, 0
	ds_read_b128 v[142:145], v6 offset:80
	s_waitcnt lgkmcnt(0)
	v_mul_f64 v[6:7], v[4:5], v[144:145]
	v_mul_f64 v[146:147], v[2:3], v[144:145]
	v_fma_f64 v[144:145], v[2:3], v[142:143], -v[6:7]
	v_fmac_f64_e32 v[146:147], v[4:5], v[142:143]
	scratch_store_dwordx4 off, v[144:147], off offset:80
.LBB43_383:
	s_or_b64 exec, exec, s[2:3]
	scratch_load_dwordx4 v[2:5], v135, off
	v_cmp_gt_u32_e32 vcc, 6, v0
	s_waitcnt vmcnt(0)
	ds_write_b128 v9, v[2:5]
	s_waitcnt lgkmcnt(0)
	; wave barrier
	s_waitcnt lgkmcnt(0)
	s_and_saveexec_b64 s[2:3], vcc
	s_cbranch_execz .LBB43_391
; %bb.384:
	ds_read_b128 v[2:5], v9
	s_and_b64 vcc, exec, s[0:1]
	s_cbranch_vccnz .LBB43_386
; %bb.385:
	scratch_load_dwordx4 v[142:145], v8, off
	s_waitcnt vmcnt(0) lgkmcnt(0)
	v_mul_f64 v[6:7], v[4:5], v[144:145]
	v_mul_f64 v[144:145], v[2:3], v[144:145]
	v_fmac_f64_e32 v[144:145], v[4:5], v[142:143]
	v_fma_f64 v[2:3], v[2:3], v[142:143], -v[6:7]
	v_mov_b64_e32 v[4:5], v[144:145]
.LBB43_386:
	v_cmp_ne_u32_e32 vcc, 5, v0
	s_and_saveexec_b64 s[6:7], vcc
	s_cbranch_execz .LBB43_390
; %bb.387:
	v_mov_b32_e32 v7, 0
	v_add_u32_e32 v6, 0x2d0, v62
	v_add3_u32 v7, v62, v7, 24
	s_mov_b64 s[8:9], 0
	v_mov_b32_e32 v141, v0
.LBB43_388:                             ; =>This Inner Loop Header: Depth=1
	v_add_u32_e32 v142, -8, v7
	scratch_load_dwordx4 v[142:145], v142, off
	ds_read_b128 v[146:149], v6
	v_add_u32_e32 v141, 1, v141
	v_cmp_lt_u32_e32 vcc, 4, v141
	v_add_u32_e32 v6, 16, v6
	v_add_u32_e32 v7, 16, v7
	s_or_b64 s[8:9], vcc, s[8:9]
	s_waitcnt vmcnt(0) lgkmcnt(0)
	v_mul_f64 v[150:151], v[148:149], v[144:145]
	v_mul_f64 v[144:145], v[146:147], v[144:145]
	v_fma_f64 v[146:147], v[146:147], v[142:143], -v[150:151]
	v_fmac_f64_e32 v[144:145], v[148:149], v[142:143]
	v_add_f64 v[2:3], v[2:3], v[146:147]
	v_add_f64 v[4:5], v[4:5], v[144:145]
	s_andn2_b64 exec, exec, s[8:9]
	s_cbranch_execnz .LBB43_388
; %bb.389:
	s_or_b64 exec, exec, s[8:9]
.LBB43_390:
	s_or_b64 exec, exec, s[6:7]
	v_mov_b32_e32 v6, 0
	ds_read_b128 v[142:145], v6 offset:96
	s_waitcnt lgkmcnt(0)
	v_mul_f64 v[6:7], v[4:5], v[144:145]
	v_mul_f64 v[146:147], v[2:3], v[144:145]
	v_fma_f64 v[144:145], v[2:3], v[142:143], -v[6:7]
	v_fmac_f64_e32 v[146:147], v[4:5], v[142:143]
	scratch_store_dwordx4 off, v[144:147], off offset:96
.LBB43_391:
	s_or_b64 exec, exec, s[2:3]
	scratch_load_dwordx4 v[2:5], v134, off
	v_cmp_gt_u32_e32 vcc, 7, v0
	s_waitcnt vmcnt(0)
	ds_write_b128 v9, v[2:5]
	s_waitcnt lgkmcnt(0)
	; wave barrier
	s_waitcnt lgkmcnt(0)
	s_and_saveexec_b64 s[2:3], vcc
	s_cbranch_execz .LBB43_399
; %bb.392:
	ds_read_b128 v[2:5], v9
	s_and_b64 vcc, exec, s[0:1]
	s_cbranch_vccnz .LBB43_394
; %bb.393:
	scratch_load_dwordx4 v[142:145], v8, off
	s_waitcnt vmcnt(0) lgkmcnt(0)
	v_mul_f64 v[6:7], v[4:5], v[144:145]
	v_mul_f64 v[144:145], v[2:3], v[144:145]
	v_fmac_f64_e32 v[144:145], v[4:5], v[142:143]
	v_fma_f64 v[2:3], v[2:3], v[142:143], -v[6:7]
	v_mov_b64_e32 v[4:5], v[144:145]
.LBB43_394:
	v_cmp_ne_u32_e32 vcc, 6, v0
	s_and_saveexec_b64 s[6:7], vcc
	s_cbranch_execz .LBB43_398
; %bb.395:
	v_mov_b32_e32 v7, 0
	v_add_u32_e32 v6, 0x2d0, v62
	v_add3_u32 v7, v62, v7, 24
	s_mov_b64 s[8:9], 0
	v_mov_b32_e32 v141, v0
.LBB43_396:                             ; =>This Inner Loop Header: Depth=1
	v_add_u32_e32 v142, -8, v7
	scratch_load_dwordx4 v[142:145], v142, off
	ds_read_b128 v[146:149], v6
	v_add_u32_e32 v141, 1, v141
	v_cmp_lt_u32_e32 vcc, 5, v141
	v_add_u32_e32 v6, 16, v6
	v_add_u32_e32 v7, 16, v7
	s_or_b64 s[8:9], vcc, s[8:9]
	s_waitcnt vmcnt(0) lgkmcnt(0)
	v_mul_f64 v[150:151], v[148:149], v[144:145]
	v_mul_f64 v[144:145], v[146:147], v[144:145]
	v_fma_f64 v[146:147], v[146:147], v[142:143], -v[150:151]
	v_fmac_f64_e32 v[144:145], v[148:149], v[142:143]
	v_add_f64 v[2:3], v[2:3], v[146:147]
	v_add_f64 v[4:5], v[4:5], v[144:145]
	s_andn2_b64 exec, exec, s[8:9]
	s_cbranch_execnz .LBB43_396
; %bb.397:
	s_or_b64 exec, exec, s[8:9]
.LBB43_398:
	s_or_b64 exec, exec, s[6:7]
	v_mov_b32_e32 v6, 0
	ds_read_b128 v[142:145], v6 offset:112
	s_waitcnt lgkmcnt(0)
	v_mul_f64 v[6:7], v[4:5], v[144:145]
	v_mul_f64 v[146:147], v[2:3], v[144:145]
	v_fma_f64 v[144:145], v[2:3], v[142:143], -v[6:7]
	v_fmac_f64_e32 v[146:147], v[4:5], v[142:143]
	scratch_store_dwordx4 off, v[144:147], off offset:112
.LBB43_399:
	s_or_b64 exec, exec, s[2:3]
	scratch_load_dwordx4 v[2:5], v133, off
	v_cmp_gt_u32_e32 vcc, 8, v0
	s_waitcnt vmcnt(0)
	ds_write_b128 v9, v[2:5]
	s_waitcnt lgkmcnt(0)
	; wave barrier
	s_waitcnt lgkmcnt(0)
	s_and_saveexec_b64 s[2:3], vcc
	s_cbranch_execz .LBB43_407
; %bb.400:
	ds_read_b128 v[2:5], v9
	s_and_b64 vcc, exec, s[0:1]
	s_cbranch_vccnz .LBB43_402
; %bb.401:
	scratch_load_dwordx4 v[142:145], v8, off
	s_waitcnt vmcnt(0) lgkmcnt(0)
	v_mul_f64 v[6:7], v[4:5], v[144:145]
	v_mul_f64 v[144:145], v[2:3], v[144:145]
	v_fmac_f64_e32 v[144:145], v[4:5], v[142:143]
	v_fma_f64 v[2:3], v[2:3], v[142:143], -v[6:7]
	v_mov_b64_e32 v[4:5], v[144:145]
.LBB43_402:
	v_cmp_ne_u32_e32 vcc, 7, v0
	s_and_saveexec_b64 s[6:7], vcc
	s_cbranch_execz .LBB43_406
; %bb.403:
	v_mov_b32_e32 v7, 0
	v_add_u32_e32 v6, 0x2d0, v62
	v_add3_u32 v7, v62, v7, 24
	s_mov_b64 s[8:9], 0
	v_mov_b32_e32 v141, v0
.LBB43_404:                             ; =>This Inner Loop Header: Depth=1
	v_add_u32_e32 v142, -8, v7
	scratch_load_dwordx4 v[142:145], v142, off
	ds_read_b128 v[146:149], v6
	v_add_u32_e32 v141, 1, v141
	v_cmp_lt_u32_e32 vcc, 6, v141
	v_add_u32_e32 v6, 16, v6
	v_add_u32_e32 v7, 16, v7
	s_or_b64 s[8:9], vcc, s[8:9]
	s_waitcnt vmcnt(0) lgkmcnt(0)
	v_mul_f64 v[150:151], v[148:149], v[144:145]
	v_mul_f64 v[144:145], v[146:147], v[144:145]
	v_fma_f64 v[146:147], v[146:147], v[142:143], -v[150:151]
	v_fmac_f64_e32 v[144:145], v[148:149], v[142:143]
	v_add_f64 v[2:3], v[2:3], v[146:147]
	v_add_f64 v[4:5], v[4:5], v[144:145]
	s_andn2_b64 exec, exec, s[8:9]
	s_cbranch_execnz .LBB43_404
; %bb.405:
	s_or_b64 exec, exec, s[8:9]
.LBB43_406:
	s_or_b64 exec, exec, s[6:7]
	v_mov_b32_e32 v6, 0
	ds_read_b128 v[142:145], v6 offset:128
	s_waitcnt lgkmcnt(0)
	v_mul_f64 v[6:7], v[4:5], v[144:145]
	v_mul_f64 v[146:147], v[2:3], v[144:145]
	v_fma_f64 v[144:145], v[2:3], v[142:143], -v[6:7]
	v_fmac_f64_e32 v[146:147], v[4:5], v[142:143]
	scratch_store_dwordx4 off, v[144:147], off offset:128
.LBB43_407:
	s_or_b64 exec, exec, s[2:3]
	scratch_load_dwordx4 v[2:5], v132, off
	v_cmp_gt_u32_e32 vcc, 9, v0
	s_waitcnt vmcnt(0)
	ds_write_b128 v9, v[2:5]
	s_waitcnt lgkmcnt(0)
	; wave barrier
	s_waitcnt lgkmcnt(0)
	s_and_saveexec_b64 s[2:3], vcc
	s_cbranch_execz .LBB43_415
; %bb.408:
	ds_read_b128 v[2:5], v9
	s_and_b64 vcc, exec, s[0:1]
	s_cbranch_vccnz .LBB43_410
; %bb.409:
	scratch_load_dwordx4 v[142:145], v8, off
	s_waitcnt vmcnt(0) lgkmcnt(0)
	v_mul_f64 v[6:7], v[4:5], v[144:145]
	v_mul_f64 v[144:145], v[2:3], v[144:145]
	v_fmac_f64_e32 v[144:145], v[4:5], v[142:143]
	v_fma_f64 v[2:3], v[2:3], v[142:143], -v[6:7]
	v_mov_b64_e32 v[4:5], v[144:145]
.LBB43_410:
	v_cmp_ne_u32_e32 vcc, 8, v0
	s_and_saveexec_b64 s[6:7], vcc
	s_cbranch_execz .LBB43_414
; %bb.411:
	v_mov_b32_e32 v7, 0
	v_add_u32_e32 v6, 0x2d0, v62
	v_add3_u32 v7, v62, v7, 24
	s_mov_b64 s[8:9], 0
	v_mov_b32_e32 v141, v0
.LBB43_412:                             ; =>This Inner Loop Header: Depth=1
	v_add_u32_e32 v142, -8, v7
	scratch_load_dwordx4 v[142:145], v142, off
	ds_read_b128 v[146:149], v6
	v_add_u32_e32 v141, 1, v141
	v_cmp_lt_u32_e32 vcc, 7, v141
	v_add_u32_e32 v6, 16, v6
	v_add_u32_e32 v7, 16, v7
	s_or_b64 s[8:9], vcc, s[8:9]
	s_waitcnt vmcnt(0) lgkmcnt(0)
	v_mul_f64 v[150:151], v[148:149], v[144:145]
	v_mul_f64 v[144:145], v[146:147], v[144:145]
	v_fma_f64 v[146:147], v[146:147], v[142:143], -v[150:151]
	v_fmac_f64_e32 v[144:145], v[148:149], v[142:143]
	v_add_f64 v[2:3], v[2:3], v[146:147]
	v_add_f64 v[4:5], v[4:5], v[144:145]
	s_andn2_b64 exec, exec, s[8:9]
	s_cbranch_execnz .LBB43_412
; %bb.413:
	s_or_b64 exec, exec, s[8:9]
.LBB43_414:
	s_or_b64 exec, exec, s[6:7]
	v_mov_b32_e32 v6, 0
	ds_read_b128 v[142:145], v6 offset:144
	s_waitcnt lgkmcnt(0)
	v_mul_f64 v[6:7], v[4:5], v[144:145]
	v_mul_f64 v[146:147], v[2:3], v[144:145]
	v_fma_f64 v[144:145], v[2:3], v[142:143], -v[6:7]
	v_fmac_f64_e32 v[146:147], v[4:5], v[142:143]
	scratch_store_dwordx4 off, v[144:147], off offset:144
.LBB43_415:
	s_or_b64 exec, exec, s[2:3]
	scratch_load_dwordx4 v[2:5], v131, off
	v_cmp_gt_u32_e32 vcc, 10, v0
	s_waitcnt vmcnt(0)
	ds_write_b128 v9, v[2:5]
	s_waitcnt lgkmcnt(0)
	; wave barrier
	s_waitcnt lgkmcnt(0)
	s_and_saveexec_b64 s[2:3], vcc
	s_cbranch_execz .LBB43_423
; %bb.416:
	ds_read_b128 v[2:5], v9
	s_and_b64 vcc, exec, s[0:1]
	s_cbranch_vccnz .LBB43_418
; %bb.417:
	scratch_load_dwordx4 v[142:145], v8, off
	s_waitcnt vmcnt(0) lgkmcnt(0)
	v_mul_f64 v[6:7], v[4:5], v[144:145]
	v_mul_f64 v[144:145], v[2:3], v[144:145]
	v_fmac_f64_e32 v[144:145], v[4:5], v[142:143]
	v_fma_f64 v[2:3], v[2:3], v[142:143], -v[6:7]
	v_mov_b64_e32 v[4:5], v[144:145]
.LBB43_418:
	v_cmp_ne_u32_e32 vcc, 9, v0
	s_and_saveexec_b64 s[6:7], vcc
	s_cbranch_execz .LBB43_422
; %bb.419:
	v_mov_b32_e32 v7, 0
	v_add_u32_e32 v6, 0x2d0, v62
	v_add3_u32 v7, v62, v7, 24
	s_mov_b64 s[8:9], 0
	v_mov_b32_e32 v141, v0
.LBB43_420:                             ; =>This Inner Loop Header: Depth=1
	v_add_u32_e32 v142, -8, v7
	scratch_load_dwordx4 v[142:145], v142, off
	ds_read_b128 v[146:149], v6
	v_add_u32_e32 v141, 1, v141
	v_cmp_lt_u32_e32 vcc, 8, v141
	v_add_u32_e32 v6, 16, v6
	v_add_u32_e32 v7, 16, v7
	s_or_b64 s[8:9], vcc, s[8:9]
	s_waitcnt vmcnt(0) lgkmcnt(0)
	v_mul_f64 v[150:151], v[148:149], v[144:145]
	v_mul_f64 v[144:145], v[146:147], v[144:145]
	v_fma_f64 v[146:147], v[146:147], v[142:143], -v[150:151]
	v_fmac_f64_e32 v[144:145], v[148:149], v[142:143]
	v_add_f64 v[2:3], v[2:3], v[146:147]
	v_add_f64 v[4:5], v[4:5], v[144:145]
	s_andn2_b64 exec, exec, s[8:9]
	s_cbranch_execnz .LBB43_420
; %bb.421:
	s_or_b64 exec, exec, s[8:9]
.LBB43_422:
	s_or_b64 exec, exec, s[6:7]
	v_mov_b32_e32 v6, 0
	ds_read_b128 v[142:145], v6 offset:160
	s_waitcnt lgkmcnt(0)
	v_mul_f64 v[6:7], v[4:5], v[144:145]
	v_mul_f64 v[146:147], v[2:3], v[144:145]
	v_fma_f64 v[144:145], v[2:3], v[142:143], -v[6:7]
	v_fmac_f64_e32 v[146:147], v[4:5], v[142:143]
	scratch_store_dwordx4 off, v[144:147], off offset:160
.LBB43_423:
	s_or_b64 exec, exec, s[2:3]
	scratch_load_dwordx4 v[2:5], v130, off
	v_cmp_gt_u32_e32 vcc, 11, v0
	s_waitcnt vmcnt(0)
	ds_write_b128 v9, v[2:5]
	s_waitcnt lgkmcnt(0)
	; wave barrier
	s_waitcnt lgkmcnt(0)
	s_and_saveexec_b64 s[2:3], vcc
	s_cbranch_execz .LBB43_431
; %bb.424:
	ds_read_b128 v[2:5], v9
	s_and_b64 vcc, exec, s[0:1]
	s_cbranch_vccnz .LBB43_426
; %bb.425:
	scratch_load_dwordx4 v[142:145], v8, off
	s_waitcnt vmcnt(0) lgkmcnt(0)
	v_mul_f64 v[6:7], v[4:5], v[144:145]
	v_mul_f64 v[144:145], v[2:3], v[144:145]
	v_fmac_f64_e32 v[144:145], v[4:5], v[142:143]
	v_fma_f64 v[2:3], v[2:3], v[142:143], -v[6:7]
	v_mov_b64_e32 v[4:5], v[144:145]
.LBB43_426:
	v_cmp_ne_u32_e32 vcc, 10, v0
	s_and_saveexec_b64 s[6:7], vcc
	s_cbranch_execz .LBB43_430
; %bb.427:
	v_mov_b32_e32 v7, 0
	v_add_u32_e32 v6, 0x2d0, v62
	v_add3_u32 v7, v62, v7, 24
	s_mov_b64 s[8:9], 0
	v_mov_b32_e32 v141, v0
.LBB43_428:                             ; =>This Inner Loop Header: Depth=1
	v_add_u32_e32 v142, -8, v7
	scratch_load_dwordx4 v[142:145], v142, off
	ds_read_b128 v[146:149], v6
	v_add_u32_e32 v141, 1, v141
	v_cmp_lt_u32_e32 vcc, 9, v141
	v_add_u32_e32 v6, 16, v6
	v_add_u32_e32 v7, 16, v7
	s_or_b64 s[8:9], vcc, s[8:9]
	s_waitcnt vmcnt(0) lgkmcnt(0)
	v_mul_f64 v[150:151], v[148:149], v[144:145]
	v_mul_f64 v[144:145], v[146:147], v[144:145]
	v_fma_f64 v[146:147], v[146:147], v[142:143], -v[150:151]
	v_fmac_f64_e32 v[144:145], v[148:149], v[142:143]
	v_add_f64 v[2:3], v[2:3], v[146:147]
	v_add_f64 v[4:5], v[4:5], v[144:145]
	s_andn2_b64 exec, exec, s[8:9]
	s_cbranch_execnz .LBB43_428
; %bb.429:
	s_or_b64 exec, exec, s[8:9]
.LBB43_430:
	s_or_b64 exec, exec, s[6:7]
	v_mov_b32_e32 v6, 0
	ds_read_b128 v[142:145], v6 offset:176
	s_waitcnt lgkmcnt(0)
	v_mul_f64 v[6:7], v[4:5], v[144:145]
	v_mul_f64 v[146:147], v[2:3], v[144:145]
	v_fma_f64 v[144:145], v[2:3], v[142:143], -v[6:7]
	v_fmac_f64_e32 v[146:147], v[4:5], v[142:143]
	scratch_store_dwordx4 off, v[144:147], off offset:176
.LBB43_431:
	s_or_b64 exec, exec, s[2:3]
	scratch_load_dwordx4 v[2:5], v129, off
	v_cmp_gt_u32_e32 vcc, 12, v0
	s_waitcnt vmcnt(0)
	ds_write_b128 v9, v[2:5]
	s_waitcnt lgkmcnt(0)
	; wave barrier
	s_waitcnt lgkmcnt(0)
	s_and_saveexec_b64 s[2:3], vcc
	s_cbranch_execz .LBB43_439
; %bb.432:
	ds_read_b128 v[2:5], v9
	s_and_b64 vcc, exec, s[0:1]
	s_cbranch_vccnz .LBB43_434
; %bb.433:
	scratch_load_dwordx4 v[142:145], v8, off
	s_waitcnt vmcnt(0) lgkmcnt(0)
	v_mul_f64 v[6:7], v[4:5], v[144:145]
	v_mul_f64 v[144:145], v[2:3], v[144:145]
	v_fmac_f64_e32 v[144:145], v[4:5], v[142:143]
	v_fma_f64 v[2:3], v[2:3], v[142:143], -v[6:7]
	v_mov_b64_e32 v[4:5], v[144:145]
.LBB43_434:
	v_cmp_ne_u32_e32 vcc, 11, v0
	s_and_saveexec_b64 s[6:7], vcc
	s_cbranch_execz .LBB43_438
; %bb.435:
	v_mov_b32_e32 v7, 0
	v_add_u32_e32 v6, 0x2d0, v62
	v_add3_u32 v7, v62, v7, 24
	s_mov_b64 s[8:9], 0
	v_mov_b32_e32 v141, v0
.LBB43_436:                             ; =>This Inner Loop Header: Depth=1
	v_add_u32_e32 v142, -8, v7
	scratch_load_dwordx4 v[142:145], v142, off
	ds_read_b128 v[146:149], v6
	v_add_u32_e32 v141, 1, v141
	v_cmp_lt_u32_e32 vcc, 10, v141
	v_add_u32_e32 v6, 16, v6
	v_add_u32_e32 v7, 16, v7
	s_or_b64 s[8:9], vcc, s[8:9]
	s_waitcnt vmcnt(0) lgkmcnt(0)
	v_mul_f64 v[150:151], v[148:149], v[144:145]
	v_mul_f64 v[144:145], v[146:147], v[144:145]
	v_fma_f64 v[146:147], v[146:147], v[142:143], -v[150:151]
	v_fmac_f64_e32 v[144:145], v[148:149], v[142:143]
	v_add_f64 v[2:3], v[2:3], v[146:147]
	v_add_f64 v[4:5], v[4:5], v[144:145]
	s_andn2_b64 exec, exec, s[8:9]
	s_cbranch_execnz .LBB43_436
; %bb.437:
	s_or_b64 exec, exec, s[8:9]
.LBB43_438:
	s_or_b64 exec, exec, s[6:7]
	v_mov_b32_e32 v6, 0
	ds_read_b128 v[142:145], v6 offset:192
	s_waitcnt lgkmcnt(0)
	v_mul_f64 v[6:7], v[4:5], v[144:145]
	v_mul_f64 v[146:147], v[2:3], v[144:145]
	v_fma_f64 v[144:145], v[2:3], v[142:143], -v[6:7]
	v_fmac_f64_e32 v[146:147], v[4:5], v[142:143]
	scratch_store_dwordx4 off, v[144:147], off offset:192
.LBB43_439:
	s_or_b64 exec, exec, s[2:3]
	scratch_load_dwordx4 v[2:5], v128, off
	v_cmp_gt_u32_e32 vcc, 13, v0
	s_waitcnt vmcnt(0)
	ds_write_b128 v9, v[2:5]
	s_waitcnt lgkmcnt(0)
	; wave barrier
	s_waitcnt lgkmcnt(0)
	s_and_saveexec_b64 s[2:3], vcc
	s_cbranch_execz .LBB43_447
; %bb.440:
	ds_read_b128 v[2:5], v9
	s_and_b64 vcc, exec, s[0:1]
	s_cbranch_vccnz .LBB43_442
; %bb.441:
	scratch_load_dwordx4 v[142:145], v8, off
	s_waitcnt vmcnt(0) lgkmcnt(0)
	v_mul_f64 v[6:7], v[4:5], v[144:145]
	v_mul_f64 v[144:145], v[2:3], v[144:145]
	v_fmac_f64_e32 v[144:145], v[4:5], v[142:143]
	v_fma_f64 v[2:3], v[2:3], v[142:143], -v[6:7]
	v_mov_b64_e32 v[4:5], v[144:145]
.LBB43_442:
	v_cmp_ne_u32_e32 vcc, 12, v0
	s_and_saveexec_b64 s[6:7], vcc
	s_cbranch_execz .LBB43_446
; %bb.443:
	v_mov_b32_e32 v7, 0
	v_add_u32_e32 v6, 0x2d0, v62
	v_add3_u32 v7, v62, v7, 24
	s_mov_b64 s[8:9], 0
	v_mov_b32_e32 v141, v0
.LBB43_444:                             ; =>This Inner Loop Header: Depth=1
	v_add_u32_e32 v142, -8, v7
	scratch_load_dwordx4 v[142:145], v142, off
	ds_read_b128 v[146:149], v6
	v_add_u32_e32 v141, 1, v141
	v_cmp_lt_u32_e32 vcc, 11, v141
	v_add_u32_e32 v6, 16, v6
	v_add_u32_e32 v7, 16, v7
	s_or_b64 s[8:9], vcc, s[8:9]
	s_waitcnt vmcnt(0) lgkmcnt(0)
	v_mul_f64 v[150:151], v[148:149], v[144:145]
	v_mul_f64 v[144:145], v[146:147], v[144:145]
	v_fma_f64 v[146:147], v[146:147], v[142:143], -v[150:151]
	v_fmac_f64_e32 v[144:145], v[148:149], v[142:143]
	v_add_f64 v[2:3], v[2:3], v[146:147]
	v_add_f64 v[4:5], v[4:5], v[144:145]
	s_andn2_b64 exec, exec, s[8:9]
	s_cbranch_execnz .LBB43_444
; %bb.445:
	s_or_b64 exec, exec, s[8:9]
.LBB43_446:
	s_or_b64 exec, exec, s[6:7]
	v_mov_b32_e32 v6, 0
	ds_read_b128 v[142:145], v6 offset:208
	s_waitcnt lgkmcnt(0)
	v_mul_f64 v[6:7], v[4:5], v[144:145]
	v_mul_f64 v[146:147], v[2:3], v[144:145]
	v_fma_f64 v[144:145], v[2:3], v[142:143], -v[6:7]
	v_fmac_f64_e32 v[146:147], v[4:5], v[142:143]
	scratch_store_dwordx4 off, v[144:147], off offset:208
.LBB43_447:
	s_or_b64 exec, exec, s[2:3]
	scratch_load_dwordx4 v[2:5], v127, off
	v_cmp_gt_u32_e32 vcc, 14, v0
	s_waitcnt vmcnt(0)
	ds_write_b128 v9, v[2:5]
	s_waitcnt lgkmcnt(0)
	; wave barrier
	s_waitcnt lgkmcnt(0)
	s_and_saveexec_b64 s[2:3], vcc
	s_cbranch_execz .LBB43_455
; %bb.448:
	ds_read_b128 v[2:5], v9
	s_and_b64 vcc, exec, s[0:1]
	s_cbranch_vccnz .LBB43_450
; %bb.449:
	scratch_load_dwordx4 v[142:145], v8, off
	s_waitcnt vmcnt(0) lgkmcnt(0)
	v_mul_f64 v[6:7], v[4:5], v[144:145]
	v_mul_f64 v[144:145], v[2:3], v[144:145]
	v_fmac_f64_e32 v[144:145], v[4:5], v[142:143]
	v_fma_f64 v[2:3], v[2:3], v[142:143], -v[6:7]
	v_mov_b64_e32 v[4:5], v[144:145]
.LBB43_450:
	v_cmp_ne_u32_e32 vcc, 13, v0
	s_and_saveexec_b64 s[6:7], vcc
	s_cbranch_execz .LBB43_454
; %bb.451:
	v_mov_b32_e32 v7, 0
	v_add_u32_e32 v6, 0x2d0, v62
	v_add3_u32 v7, v62, v7, 24
	s_mov_b64 s[8:9], 0
	v_mov_b32_e32 v141, v0
.LBB43_452:                             ; =>This Inner Loop Header: Depth=1
	v_add_u32_e32 v142, -8, v7
	scratch_load_dwordx4 v[142:145], v142, off
	ds_read_b128 v[146:149], v6
	v_add_u32_e32 v141, 1, v141
	v_cmp_lt_u32_e32 vcc, 12, v141
	v_add_u32_e32 v6, 16, v6
	v_add_u32_e32 v7, 16, v7
	s_or_b64 s[8:9], vcc, s[8:9]
	s_waitcnt vmcnt(0) lgkmcnt(0)
	v_mul_f64 v[150:151], v[148:149], v[144:145]
	v_mul_f64 v[144:145], v[146:147], v[144:145]
	v_fma_f64 v[146:147], v[146:147], v[142:143], -v[150:151]
	v_fmac_f64_e32 v[144:145], v[148:149], v[142:143]
	v_add_f64 v[2:3], v[2:3], v[146:147]
	v_add_f64 v[4:5], v[4:5], v[144:145]
	s_andn2_b64 exec, exec, s[8:9]
	s_cbranch_execnz .LBB43_452
; %bb.453:
	s_or_b64 exec, exec, s[8:9]
.LBB43_454:
	s_or_b64 exec, exec, s[6:7]
	v_mov_b32_e32 v6, 0
	ds_read_b128 v[142:145], v6 offset:224
	s_waitcnt lgkmcnt(0)
	v_mul_f64 v[6:7], v[4:5], v[144:145]
	v_mul_f64 v[146:147], v[2:3], v[144:145]
	v_fma_f64 v[144:145], v[2:3], v[142:143], -v[6:7]
	v_fmac_f64_e32 v[146:147], v[4:5], v[142:143]
	scratch_store_dwordx4 off, v[144:147], off offset:224
.LBB43_455:
	s_or_b64 exec, exec, s[2:3]
	scratch_load_dwordx4 v[2:5], v126, off
	v_cmp_gt_u32_e32 vcc, 15, v0
	s_waitcnt vmcnt(0)
	ds_write_b128 v9, v[2:5]
	s_waitcnt lgkmcnt(0)
	; wave barrier
	s_waitcnt lgkmcnt(0)
	s_and_saveexec_b64 s[2:3], vcc
	s_cbranch_execz .LBB43_463
; %bb.456:
	ds_read_b128 v[2:5], v9
	s_and_b64 vcc, exec, s[0:1]
	s_cbranch_vccnz .LBB43_458
; %bb.457:
	scratch_load_dwordx4 v[142:145], v8, off
	s_waitcnt vmcnt(0) lgkmcnt(0)
	v_mul_f64 v[6:7], v[4:5], v[144:145]
	v_mul_f64 v[144:145], v[2:3], v[144:145]
	v_fmac_f64_e32 v[144:145], v[4:5], v[142:143]
	v_fma_f64 v[2:3], v[2:3], v[142:143], -v[6:7]
	v_mov_b64_e32 v[4:5], v[144:145]
.LBB43_458:
	v_cmp_ne_u32_e32 vcc, 14, v0
	s_and_saveexec_b64 s[6:7], vcc
	s_cbranch_execz .LBB43_462
; %bb.459:
	v_mov_b32_e32 v7, 0
	v_add_u32_e32 v6, 0x2d0, v62
	v_add3_u32 v7, v62, v7, 24
	s_mov_b64 s[8:9], 0
	v_mov_b32_e32 v141, v0
.LBB43_460:                             ; =>This Inner Loop Header: Depth=1
	v_add_u32_e32 v142, -8, v7
	scratch_load_dwordx4 v[142:145], v142, off
	ds_read_b128 v[146:149], v6
	v_add_u32_e32 v141, 1, v141
	v_cmp_lt_u32_e32 vcc, 13, v141
	v_add_u32_e32 v6, 16, v6
	v_add_u32_e32 v7, 16, v7
	s_or_b64 s[8:9], vcc, s[8:9]
	s_waitcnt vmcnt(0) lgkmcnt(0)
	v_mul_f64 v[150:151], v[148:149], v[144:145]
	v_mul_f64 v[144:145], v[146:147], v[144:145]
	v_fma_f64 v[146:147], v[146:147], v[142:143], -v[150:151]
	v_fmac_f64_e32 v[144:145], v[148:149], v[142:143]
	v_add_f64 v[2:3], v[2:3], v[146:147]
	v_add_f64 v[4:5], v[4:5], v[144:145]
	s_andn2_b64 exec, exec, s[8:9]
	s_cbranch_execnz .LBB43_460
; %bb.461:
	s_or_b64 exec, exec, s[8:9]
.LBB43_462:
	s_or_b64 exec, exec, s[6:7]
	v_mov_b32_e32 v6, 0
	ds_read_b128 v[142:145], v6 offset:240
	s_waitcnt lgkmcnt(0)
	v_mul_f64 v[6:7], v[4:5], v[144:145]
	v_mul_f64 v[146:147], v[2:3], v[144:145]
	v_fma_f64 v[144:145], v[2:3], v[142:143], -v[6:7]
	v_fmac_f64_e32 v[146:147], v[4:5], v[142:143]
	scratch_store_dwordx4 off, v[144:147], off offset:240
.LBB43_463:
	s_or_b64 exec, exec, s[2:3]
	scratch_load_dwordx4 v[2:5], v125, off
	v_cmp_gt_u32_e32 vcc, 16, v0
	s_waitcnt vmcnt(0)
	ds_write_b128 v9, v[2:5]
	s_waitcnt lgkmcnt(0)
	; wave barrier
	s_waitcnt lgkmcnt(0)
	s_and_saveexec_b64 s[2:3], vcc
	s_cbranch_execz .LBB43_471
; %bb.464:
	ds_read_b128 v[2:5], v9
	s_and_b64 vcc, exec, s[0:1]
	s_cbranch_vccnz .LBB43_466
; %bb.465:
	scratch_load_dwordx4 v[142:145], v8, off
	s_waitcnt vmcnt(0) lgkmcnt(0)
	v_mul_f64 v[6:7], v[4:5], v[144:145]
	v_mul_f64 v[144:145], v[2:3], v[144:145]
	v_fmac_f64_e32 v[144:145], v[4:5], v[142:143]
	v_fma_f64 v[2:3], v[2:3], v[142:143], -v[6:7]
	v_mov_b64_e32 v[4:5], v[144:145]
.LBB43_466:
	v_cmp_ne_u32_e32 vcc, 15, v0
	s_and_saveexec_b64 s[6:7], vcc
	s_cbranch_execz .LBB43_470
; %bb.467:
	v_mov_b32_e32 v7, 0
	v_add_u32_e32 v6, 0x2d0, v62
	v_add3_u32 v7, v62, v7, 24
	s_mov_b64 s[8:9], 0
	v_mov_b32_e32 v141, v0
.LBB43_468:                             ; =>This Inner Loop Header: Depth=1
	v_add_u32_e32 v142, -8, v7
	scratch_load_dwordx4 v[142:145], v142, off
	ds_read_b128 v[146:149], v6
	v_add_u32_e32 v141, 1, v141
	v_cmp_lt_u32_e32 vcc, 14, v141
	v_add_u32_e32 v6, 16, v6
	v_add_u32_e32 v7, 16, v7
	s_or_b64 s[8:9], vcc, s[8:9]
	s_waitcnt vmcnt(0) lgkmcnt(0)
	v_mul_f64 v[150:151], v[148:149], v[144:145]
	v_mul_f64 v[144:145], v[146:147], v[144:145]
	v_fma_f64 v[146:147], v[146:147], v[142:143], -v[150:151]
	v_fmac_f64_e32 v[144:145], v[148:149], v[142:143]
	v_add_f64 v[2:3], v[2:3], v[146:147]
	v_add_f64 v[4:5], v[4:5], v[144:145]
	s_andn2_b64 exec, exec, s[8:9]
	s_cbranch_execnz .LBB43_468
; %bb.469:
	s_or_b64 exec, exec, s[8:9]
.LBB43_470:
	s_or_b64 exec, exec, s[6:7]
	v_mov_b32_e32 v6, 0
	ds_read_b128 v[142:145], v6 offset:256
	s_waitcnt lgkmcnt(0)
	v_mul_f64 v[6:7], v[4:5], v[144:145]
	v_mul_f64 v[146:147], v[2:3], v[144:145]
	v_fma_f64 v[144:145], v[2:3], v[142:143], -v[6:7]
	v_fmac_f64_e32 v[146:147], v[4:5], v[142:143]
	scratch_store_dwordx4 off, v[144:147], off offset:256
.LBB43_471:
	s_or_b64 exec, exec, s[2:3]
	scratch_load_dwordx4 v[2:5], v124, off
	v_cmp_gt_u32_e32 vcc, 17, v0
	s_waitcnt vmcnt(0)
	ds_write_b128 v9, v[2:5]
	s_waitcnt lgkmcnt(0)
	; wave barrier
	s_waitcnt lgkmcnt(0)
	s_and_saveexec_b64 s[2:3], vcc
	s_cbranch_execz .LBB43_479
; %bb.472:
	ds_read_b128 v[2:5], v9
	s_and_b64 vcc, exec, s[0:1]
	s_cbranch_vccnz .LBB43_474
; %bb.473:
	scratch_load_dwordx4 v[142:145], v8, off
	s_waitcnt vmcnt(0) lgkmcnt(0)
	v_mul_f64 v[6:7], v[4:5], v[144:145]
	v_mul_f64 v[144:145], v[2:3], v[144:145]
	v_fmac_f64_e32 v[144:145], v[4:5], v[142:143]
	v_fma_f64 v[2:3], v[2:3], v[142:143], -v[6:7]
	v_mov_b64_e32 v[4:5], v[144:145]
.LBB43_474:
	v_cmp_ne_u32_e32 vcc, 16, v0
	s_and_saveexec_b64 s[6:7], vcc
	s_cbranch_execz .LBB43_478
; %bb.475:
	v_mov_b32_e32 v7, 0
	v_add_u32_e32 v6, 0x2d0, v62
	v_add3_u32 v7, v62, v7, 24
	s_mov_b64 s[8:9], 0
	v_mov_b32_e32 v141, v0
.LBB43_476:                             ; =>This Inner Loop Header: Depth=1
	v_add_u32_e32 v142, -8, v7
	scratch_load_dwordx4 v[142:145], v142, off
	ds_read_b128 v[146:149], v6
	v_add_u32_e32 v141, 1, v141
	v_cmp_lt_u32_e32 vcc, 15, v141
	v_add_u32_e32 v6, 16, v6
	v_add_u32_e32 v7, 16, v7
	s_or_b64 s[8:9], vcc, s[8:9]
	s_waitcnt vmcnt(0) lgkmcnt(0)
	v_mul_f64 v[150:151], v[148:149], v[144:145]
	v_mul_f64 v[144:145], v[146:147], v[144:145]
	v_fma_f64 v[146:147], v[146:147], v[142:143], -v[150:151]
	v_fmac_f64_e32 v[144:145], v[148:149], v[142:143]
	v_add_f64 v[2:3], v[2:3], v[146:147]
	v_add_f64 v[4:5], v[4:5], v[144:145]
	s_andn2_b64 exec, exec, s[8:9]
	s_cbranch_execnz .LBB43_476
; %bb.477:
	s_or_b64 exec, exec, s[8:9]
.LBB43_478:
	s_or_b64 exec, exec, s[6:7]
	v_mov_b32_e32 v6, 0
	ds_read_b128 v[142:145], v6 offset:272
	s_waitcnt lgkmcnt(0)
	v_mul_f64 v[6:7], v[4:5], v[144:145]
	v_mul_f64 v[146:147], v[2:3], v[144:145]
	v_fma_f64 v[144:145], v[2:3], v[142:143], -v[6:7]
	v_fmac_f64_e32 v[146:147], v[4:5], v[142:143]
	scratch_store_dwordx4 off, v[144:147], off offset:272
.LBB43_479:
	s_or_b64 exec, exec, s[2:3]
	scratch_load_dwordx4 v[2:5], v123, off
	v_cmp_gt_u32_e32 vcc, 18, v0
	s_waitcnt vmcnt(0)
	ds_write_b128 v9, v[2:5]
	s_waitcnt lgkmcnt(0)
	; wave barrier
	s_waitcnt lgkmcnt(0)
	s_and_saveexec_b64 s[2:3], vcc
	s_cbranch_execz .LBB43_487
; %bb.480:
	ds_read_b128 v[2:5], v9
	s_and_b64 vcc, exec, s[0:1]
	s_cbranch_vccnz .LBB43_482
; %bb.481:
	scratch_load_dwordx4 v[142:145], v8, off
	s_waitcnt vmcnt(0) lgkmcnt(0)
	v_mul_f64 v[6:7], v[4:5], v[144:145]
	v_mul_f64 v[144:145], v[2:3], v[144:145]
	v_fmac_f64_e32 v[144:145], v[4:5], v[142:143]
	v_fma_f64 v[2:3], v[2:3], v[142:143], -v[6:7]
	v_mov_b64_e32 v[4:5], v[144:145]
.LBB43_482:
	v_cmp_ne_u32_e32 vcc, 17, v0
	s_and_saveexec_b64 s[6:7], vcc
	s_cbranch_execz .LBB43_486
; %bb.483:
	v_mov_b32_e32 v7, 0
	v_add_u32_e32 v6, 0x2d0, v62
	v_add3_u32 v7, v62, v7, 24
	s_mov_b64 s[8:9], 0
	v_mov_b32_e32 v141, v0
.LBB43_484:                             ; =>This Inner Loop Header: Depth=1
	v_add_u32_e32 v142, -8, v7
	scratch_load_dwordx4 v[142:145], v142, off
	ds_read_b128 v[146:149], v6
	v_add_u32_e32 v141, 1, v141
	v_cmp_lt_u32_e32 vcc, 16, v141
	v_add_u32_e32 v6, 16, v6
	v_add_u32_e32 v7, 16, v7
	s_or_b64 s[8:9], vcc, s[8:9]
	s_waitcnt vmcnt(0) lgkmcnt(0)
	v_mul_f64 v[150:151], v[148:149], v[144:145]
	v_mul_f64 v[144:145], v[146:147], v[144:145]
	v_fma_f64 v[146:147], v[146:147], v[142:143], -v[150:151]
	v_fmac_f64_e32 v[144:145], v[148:149], v[142:143]
	v_add_f64 v[2:3], v[2:3], v[146:147]
	v_add_f64 v[4:5], v[4:5], v[144:145]
	s_andn2_b64 exec, exec, s[8:9]
	s_cbranch_execnz .LBB43_484
; %bb.485:
	s_or_b64 exec, exec, s[8:9]
.LBB43_486:
	s_or_b64 exec, exec, s[6:7]
	v_mov_b32_e32 v6, 0
	ds_read_b128 v[142:145], v6 offset:288
	s_waitcnt lgkmcnt(0)
	v_mul_f64 v[6:7], v[4:5], v[144:145]
	v_mul_f64 v[146:147], v[2:3], v[144:145]
	v_fma_f64 v[144:145], v[2:3], v[142:143], -v[6:7]
	v_fmac_f64_e32 v[146:147], v[4:5], v[142:143]
	scratch_store_dwordx4 off, v[144:147], off offset:288
.LBB43_487:
	s_or_b64 exec, exec, s[2:3]
	scratch_load_dwordx4 v[2:5], v122, off
	v_cmp_gt_u32_e32 vcc, 19, v0
	s_waitcnt vmcnt(0)
	ds_write_b128 v9, v[2:5]
	s_waitcnt lgkmcnt(0)
	; wave barrier
	s_waitcnt lgkmcnt(0)
	s_and_saveexec_b64 s[2:3], vcc
	s_cbranch_execz .LBB43_495
; %bb.488:
	ds_read_b128 v[2:5], v9
	s_and_b64 vcc, exec, s[0:1]
	s_cbranch_vccnz .LBB43_490
; %bb.489:
	scratch_load_dwordx4 v[142:145], v8, off
	s_waitcnt vmcnt(0) lgkmcnt(0)
	v_mul_f64 v[6:7], v[4:5], v[144:145]
	v_mul_f64 v[144:145], v[2:3], v[144:145]
	v_fmac_f64_e32 v[144:145], v[4:5], v[142:143]
	v_fma_f64 v[2:3], v[2:3], v[142:143], -v[6:7]
	v_mov_b64_e32 v[4:5], v[144:145]
.LBB43_490:
	v_cmp_ne_u32_e32 vcc, 18, v0
	s_and_saveexec_b64 s[6:7], vcc
	s_cbranch_execz .LBB43_494
; %bb.491:
	v_mov_b32_e32 v7, 0
	v_add_u32_e32 v6, 0x2d0, v62
	v_add3_u32 v7, v62, v7, 24
	s_mov_b64 s[8:9], 0
	v_mov_b32_e32 v141, v0
.LBB43_492:                             ; =>This Inner Loop Header: Depth=1
	v_add_u32_e32 v142, -8, v7
	scratch_load_dwordx4 v[142:145], v142, off
	ds_read_b128 v[146:149], v6
	v_add_u32_e32 v141, 1, v141
	v_cmp_lt_u32_e32 vcc, 17, v141
	v_add_u32_e32 v6, 16, v6
	v_add_u32_e32 v7, 16, v7
	s_or_b64 s[8:9], vcc, s[8:9]
	s_waitcnt vmcnt(0) lgkmcnt(0)
	v_mul_f64 v[150:151], v[148:149], v[144:145]
	v_mul_f64 v[144:145], v[146:147], v[144:145]
	v_fma_f64 v[146:147], v[146:147], v[142:143], -v[150:151]
	v_fmac_f64_e32 v[144:145], v[148:149], v[142:143]
	v_add_f64 v[2:3], v[2:3], v[146:147]
	v_add_f64 v[4:5], v[4:5], v[144:145]
	s_andn2_b64 exec, exec, s[8:9]
	s_cbranch_execnz .LBB43_492
; %bb.493:
	s_or_b64 exec, exec, s[8:9]
.LBB43_494:
	s_or_b64 exec, exec, s[6:7]
	v_mov_b32_e32 v6, 0
	ds_read_b128 v[142:145], v6 offset:304
	s_waitcnt lgkmcnt(0)
	v_mul_f64 v[6:7], v[4:5], v[144:145]
	v_mul_f64 v[146:147], v[2:3], v[144:145]
	v_fma_f64 v[144:145], v[2:3], v[142:143], -v[6:7]
	v_fmac_f64_e32 v[146:147], v[4:5], v[142:143]
	scratch_store_dwordx4 off, v[144:147], off offset:304
.LBB43_495:
	s_or_b64 exec, exec, s[2:3]
	scratch_load_dwordx4 v[2:5], v121, off
	v_cmp_gt_u32_e32 vcc, 20, v0
	s_waitcnt vmcnt(0)
	ds_write_b128 v9, v[2:5]
	s_waitcnt lgkmcnt(0)
	; wave barrier
	s_waitcnt lgkmcnt(0)
	s_and_saveexec_b64 s[2:3], vcc
	s_cbranch_execz .LBB43_503
; %bb.496:
	ds_read_b128 v[2:5], v9
	s_and_b64 vcc, exec, s[0:1]
	s_cbranch_vccnz .LBB43_498
; %bb.497:
	scratch_load_dwordx4 v[142:145], v8, off
	s_waitcnt vmcnt(0) lgkmcnt(0)
	v_mul_f64 v[6:7], v[4:5], v[144:145]
	v_mul_f64 v[144:145], v[2:3], v[144:145]
	v_fmac_f64_e32 v[144:145], v[4:5], v[142:143]
	v_fma_f64 v[2:3], v[2:3], v[142:143], -v[6:7]
	v_mov_b64_e32 v[4:5], v[144:145]
.LBB43_498:
	v_cmp_ne_u32_e32 vcc, 19, v0
	s_and_saveexec_b64 s[6:7], vcc
	s_cbranch_execz .LBB43_502
; %bb.499:
	v_mov_b32_e32 v7, 0
	v_add_u32_e32 v6, 0x2d0, v62
	v_add3_u32 v7, v62, v7, 24
	s_mov_b64 s[8:9], 0
	v_mov_b32_e32 v141, v0
.LBB43_500:                             ; =>This Inner Loop Header: Depth=1
	v_add_u32_e32 v142, -8, v7
	scratch_load_dwordx4 v[142:145], v142, off
	ds_read_b128 v[146:149], v6
	v_add_u32_e32 v141, 1, v141
	v_cmp_lt_u32_e32 vcc, 18, v141
	v_add_u32_e32 v6, 16, v6
	v_add_u32_e32 v7, 16, v7
	s_or_b64 s[8:9], vcc, s[8:9]
	s_waitcnt vmcnt(0) lgkmcnt(0)
	v_mul_f64 v[150:151], v[148:149], v[144:145]
	v_mul_f64 v[144:145], v[146:147], v[144:145]
	v_fma_f64 v[146:147], v[146:147], v[142:143], -v[150:151]
	v_fmac_f64_e32 v[144:145], v[148:149], v[142:143]
	v_add_f64 v[2:3], v[2:3], v[146:147]
	v_add_f64 v[4:5], v[4:5], v[144:145]
	s_andn2_b64 exec, exec, s[8:9]
	s_cbranch_execnz .LBB43_500
; %bb.501:
	s_or_b64 exec, exec, s[8:9]
.LBB43_502:
	s_or_b64 exec, exec, s[6:7]
	v_mov_b32_e32 v6, 0
	ds_read_b128 v[142:145], v6 offset:320
	s_waitcnt lgkmcnt(0)
	v_mul_f64 v[6:7], v[4:5], v[144:145]
	v_mul_f64 v[146:147], v[2:3], v[144:145]
	v_fma_f64 v[144:145], v[2:3], v[142:143], -v[6:7]
	v_fmac_f64_e32 v[146:147], v[4:5], v[142:143]
	scratch_store_dwordx4 off, v[144:147], off offset:320
.LBB43_503:
	s_or_b64 exec, exec, s[2:3]
	scratch_load_dwordx4 v[2:5], v120, off
	v_cmp_gt_u32_e32 vcc, 21, v0
	s_waitcnt vmcnt(0)
	ds_write_b128 v9, v[2:5]
	s_waitcnt lgkmcnt(0)
	; wave barrier
	s_waitcnt lgkmcnt(0)
	s_and_saveexec_b64 s[2:3], vcc
	s_cbranch_execz .LBB43_511
; %bb.504:
	ds_read_b128 v[2:5], v9
	s_and_b64 vcc, exec, s[0:1]
	s_cbranch_vccnz .LBB43_506
; %bb.505:
	scratch_load_dwordx4 v[142:145], v8, off
	s_waitcnt vmcnt(0) lgkmcnt(0)
	v_mul_f64 v[6:7], v[4:5], v[144:145]
	v_mul_f64 v[144:145], v[2:3], v[144:145]
	v_fmac_f64_e32 v[144:145], v[4:5], v[142:143]
	v_fma_f64 v[2:3], v[2:3], v[142:143], -v[6:7]
	v_mov_b64_e32 v[4:5], v[144:145]
.LBB43_506:
	v_cmp_ne_u32_e32 vcc, 20, v0
	s_and_saveexec_b64 s[6:7], vcc
	s_cbranch_execz .LBB43_510
; %bb.507:
	v_mov_b32_e32 v7, 0
	v_add_u32_e32 v6, 0x2d0, v62
	v_add3_u32 v7, v62, v7, 24
	s_mov_b64 s[8:9], 0
	v_mov_b32_e32 v141, v0
.LBB43_508:                             ; =>This Inner Loop Header: Depth=1
	v_add_u32_e32 v142, -8, v7
	scratch_load_dwordx4 v[142:145], v142, off
	ds_read_b128 v[146:149], v6
	v_add_u32_e32 v141, 1, v141
	v_cmp_lt_u32_e32 vcc, 19, v141
	v_add_u32_e32 v6, 16, v6
	v_add_u32_e32 v7, 16, v7
	s_or_b64 s[8:9], vcc, s[8:9]
	s_waitcnt vmcnt(0) lgkmcnt(0)
	v_mul_f64 v[150:151], v[148:149], v[144:145]
	v_mul_f64 v[144:145], v[146:147], v[144:145]
	v_fma_f64 v[146:147], v[146:147], v[142:143], -v[150:151]
	v_fmac_f64_e32 v[144:145], v[148:149], v[142:143]
	v_add_f64 v[2:3], v[2:3], v[146:147]
	v_add_f64 v[4:5], v[4:5], v[144:145]
	s_andn2_b64 exec, exec, s[8:9]
	s_cbranch_execnz .LBB43_508
; %bb.509:
	s_or_b64 exec, exec, s[8:9]
.LBB43_510:
	s_or_b64 exec, exec, s[6:7]
	v_mov_b32_e32 v6, 0
	ds_read_b128 v[142:145], v6 offset:336
	s_waitcnt lgkmcnt(0)
	v_mul_f64 v[6:7], v[4:5], v[144:145]
	v_mul_f64 v[146:147], v[2:3], v[144:145]
	v_fma_f64 v[144:145], v[2:3], v[142:143], -v[6:7]
	v_fmac_f64_e32 v[146:147], v[4:5], v[142:143]
	scratch_store_dwordx4 off, v[144:147], off offset:336
.LBB43_511:
	s_or_b64 exec, exec, s[2:3]
	scratch_load_dwordx4 v[2:5], v119, off
	v_cmp_gt_u32_e32 vcc, 22, v0
	s_waitcnt vmcnt(0)
	ds_write_b128 v9, v[2:5]
	s_waitcnt lgkmcnt(0)
	; wave barrier
	s_waitcnt lgkmcnt(0)
	s_and_saveexec_b64 s[2:3], vcc
	s_cbranch_execz .LBB43_519
; %bb.512:
	ds_read_b128 v[2:5], v9
	s_and_b64 vcc, exec, s[0:1]
	s_cbranch_vccnz .LBB43_514
; %bb.513:
	scratch_load_dwordx4 v[142:145], v8, off
	s_waitcnt vmcnt(0) lgkmcnt(0)
	v_mul_f64 v[6:7], v[4:5], v[144:145]
	v_mul_f64 v[144:145], v[2:3], v[144:145]
	v_fmac_f64_e32 v[144:145], v[4:5], v[142:143]
	v_fma_f64 v[2:3], v[2:3], v[142:143], -v[6:7]
	v_mov_b64_e32 v[4:5], v[144:145]
.LBB43_514:
	v_cmp_ne_u32_e32 vcc, 21, v0
	s_and_saveexec_b64 s[6:7], vcc
	s_cbranch_execz .LBB43_518
; %bb.515:
	v_mov_b32_e32 v7, 0
	v_add_u32_e32 v6, 0x2d0, v62
	v_add3_u32 v7, v62, v7, 24
	s_mov_b64 s[8:9], 0
	v_mov_b32_e32 v141, v0
.LBB43_516:                             ; =>This Inner Loop Header: Depth=1
	v_add_u32_e32 v142, -8, v7
	scratch_load_dwordx4 v[142:145], v142, off
	ds_read_b128 v[146:149], v6
	v_add_u32_e32 v141, 1, v141
	v_cmp_lt_u32_e32 vcc, 20, v141
	v_add_u32_e32 v6, 16, v6
	v_add_u32_e32 v7, 16, v7
	s_or_b64 s[8:9], vcc, s[8:9]
	s_waitcnt vmcnt(0) lgkmcnt(0)
	v_mul_f64 v[150:151], v[148:149], v[144:145]
	v_mul_f64 v[144:145], v[146:147], v[144:145]
	v_fma_f64 v[146:147], v[146:147], v[142:143], -v[150:151]
	v_fmac_f64_e32 v[144:145], v[148:149], v[142:143]
	v_add_f64 v[2:3], v[2:3], v[146:147]
	v_add_f64 v[4:5], v[4:5], v[144:145]
	s_andn2_b64 exec, exec, s[8:9]
	s_cbranch_execnz .LBB43_516
; %bb.517:
	s_or_b64 exec, exec, s[8:9]
.LBB43_518:
	s_or_b64 exec, exec, s[6:7]
	v_mov_b32_e32 v6, 0
	ds_read_b128 v[142:145], v6 offset:352
	s_waitcnt lgkmcnt(0)
	v_mul_f64 v[6:7], v[4:5], v[144:145]
	v_mul_f64 v[146:147], v[2:3], v[144:145]
	v_fma_f64 v[144:145], v[2:3], v[142:143], -v[6:7]
	v_fmac_f64_e32 v[146:147], v[4:5], v[142:143]
	scratch_store_dwordx4 off, v[144:147], off offset:352
.LBB43_519:
	s_or_b64 exec, exec, s[2:3]
	scratch_load_dwordx4 v[2:5], v118, off
	v_cmp_gt_u32_e32 vcc, 23, v0
	s_waitcnt vmcnt(0)
	ds_write_b128 v9, v[2:5]
	s_waitcnt lgkmcnt(0)
	; wave barrier
	s_waitcnt lgkmcnt(0)
	s_and_saveexec_b64 s[2:3], vcc
	s_cbranch_execz .LBB43_527
; %bb.520:
	ds_read_b128 v[2:5], v9
	s_and_b64 vcc, exec, s[0:1]
	s_cbranch_vccnz .LBB43_522
; %bb.521:
	scratch_load_dwordx4 v[142:145], v8, off
	s_waitcnt vmcnt(0) lgkmcnt(0)
	v_mul_f64 v[6:7], v[4:5], v[144:145]
	v_mul_f64 v[144:145], v[2:3], v[144:145]
	v_fmac_f64_e32 v[144:145], v[4:5], v[142:143]
	v_fma_f64 v[2:3], v[2:3], v[142:143], -v[6:7]
	v_mov_b64_e32 v[4:5], v[144:145]
.LBB43_522:
	v_cmp_ne_u32_e32 vcc, 22, v0
	s_and_saveexec_b64 s[6:7], vcc
	s_cbranch_execz .LBB43_526
; %bb.523:
	v_mov_b32_e32 v7, 0
	v_add_u32_e32 v6, 0x2d0, v62
	v_add3_u32 v7, v62, v7, 24
	s_mov_b64 s[8:9], 0
	v_mov_b32_e32 v141, v0
.LBB43_524:                             ; =>This Inner Loop Header: Depth=1
	v_add_u32_e32 v142, -8, v7
	scratch_load_dwordx4 v[142:145], v142, off
	ds_read_b128 v[146:149], v6
	v_add_u32_e32 v141, 1, v141
	v_cmp_lt_u32_e32 vcc, 21, v141
	v_add_u32_e32 v6, 16, v6
	v_add_u32_e32 v7, 16, v7
	s_or_b64 s[8:9], vcc, s[8:9]
	s_waitcnt vmcnt(0) lgkmcnt(0)
	v_mul_f64 v[150:151], v[148:149], v[144:145]
	v_mul_f64 v[144:145], v[146:147], v[144:145]
	v_fma_f64 v[146:147], v[146:147], v[142:143], -v[150:151]
	v_fmac_f64_e32 v[144:145], v[148:149], v[142:143]
	v_add_f64 v[2:3], v[2:3], v[146:147]
	v_add_f64 v[4:5], v[4:5], v[144:145]
	s_andn2_b64 exec, exec, s[8:9]
	s_cbranch_execnz .LBB43_524
; %bb.525:
	s_or_b64 exec, exec, s[8:9]
.LBB43_526:
	s_or_b64 exec, exec, s[6:7]
	v_mov_b32_e32 v6, 0
	ds_read_b128 v[142:145], v6 offset:368
	s_waitcnt lgkmcnt(0)
	v_mul_f64 v[6:7], v[4:5], v[144:145]
	v_mul_f64 v[146:147], v[2:3], v[144:145]
	v_fma_f64 v[144:145], v[2:3], v[142:143], -v[6:7]
	v_fmac_f64_e32 v[146:147], v[4:5], v[142:143]
	scratch_store_dwordx4 off, v[144:147], off offset:368
.LBB43_527:
	s_or_b64 exec, exec, s[2:3]
	scratch_load_dwordx4 v[2:5], v117, off
	v_cmp_gt_u32_e32 vcc, 24, v0
	s_waitcnt vmcnt(0)
	ds_write_b128 v9, v[2:5]
	s_waitcnt lgkmcnt(0)
	; wave barrier
	s_waitcnt lgkmcnt(0)
	s_and_saveexec_b64 s[2:3], vcc
	s_cbranch_execz .LBB43_535
; %bb.528:
	ds_read_b128 v[2:5], v9
	s_and_b64 vcc, exec, s[0:1]
	s_cbranch_vccnz .LBB43_530
; %bb.529:
	scratch_load_dwordx4 v[142:145], v8, off
	s_waitcnt vmcnt(0) lgkmcnt(0)
	v_mul_f64 v[6:7], v[4:5], v[144:145]
	v_mul_f64 v[144:145], v[2:3], v[144:145]
	v_fmac_f64_e32 v[144:145], v[4:5], v[142:143]
	v_fma_f64 v[2:3], v[2:3], v[142:143], -v[6:7]
	v_mov_b64_e32 v[4:5], v[144:145]
.LBB43_530:
	v_cmp_ne_u32_e32 vcc, 23, v0
	s_and_saveexec_b64 s[6:7], vcc
	s_cbranch_execz .LBB43_534
; %bb.531:
	v_mov_b32_e32 v7, 0
	v_add_u32_e32 v6, 0x2d0, v62
	v_add3_u32 v7, v62, v7, 24
	s_mov_b64 s[8:9], 0
	v_mov_b32_e32 v141, v0
.LBB43_532:                             ; =>This Inner Loop Header: Depth=1
	v_add_u32_e32 v142, -8, v7
	scratch_load_dwordx4 v[142:145], v142, off
	ds_read_b128 v[146:149], v6
	v_add_u32_e32 v141, 1, v141
	v_cmp_lt_u32_e32 vcc, 22, v141
	v_add_u32_e32 v6, 16, v6
	v_add_u32_e32 v7, 16, v7
	s_or_b64 s[8:9], vcc, s[8:9]
	s_waitcnt vmcnt(0) lgkmcnt(0)
	v_mul_f64 v[150:151], v[148:149], v[144:145]
	v_mul_f64 v[144:145], v[146:147], v[144:145]
	v_fma_f64 v[146:147], v[146:147], v[142:143], -v[150:151]
	v_fmac_f64_e32 v[144:145], v[148:149], v[142:143]
	v_add_f64 v[2:3], v[2:3], v[146:147]
	v_add_f64 v[4:5], v[4:5], v[144:145]
	s_andn2_b64 exec, exec, s[8:9]
	s_cbranch_execnz .LBB43_532
; %bb.533:
	s_or_b64 exec, exec, s[8:9]
.LBB43_534:
	s_or_b64 exec, exec, s[6:7]
	v_mov_b32_e32 v6, 0
	ds_read_b128 v[142:145], v6 offset:384
	s_waitcnt lgkmcnt(0)
	v_mul_f64 v[6:7], v[4:5], v[144:145]
	v_mul_f64 v[146:147], v[2:3], v[144:145]
	v_fma_f64 v[144:145], v[2:3], v[142:143], -v[6:7]
	v_fmac_f64_e32 v[146:147], v[4:5], v[142:143]
	scratch_store_dwordx4 off, v[144:147], off offset:384
.LBB43_535:
	s_or_b64 exec, exec, s[2:3]
	scratch_load_dwordx4 v[2:5], v116, off
	v_cmp_gt_u32_e32 vcc, 25, v0
	s_waitcnt vmcnt(0)
	ds_write_b128 v9, v[2:5]
	s_waitcnt lgkmcnt(0)
	; wave barrier
	s_waitcnt lgkmcnt(0)
	s_and_saveexec_b64 s[2:3], vcc
	s_cbranch_execz .LBB43_543
; %bb.536:
	ds_read_b128 v[2:5], v9
	s_and_b64 vcc, exec, s[0:1]
	s_cbranch_vccnz .LBB43_538
; %bb.537:
	scratch_load_dwordx4 v[142:145], v8, off
	s_waitcnt vmcnt(0) lgkmcnt(0)
	v_mul_f64 v[6:7], v[4:5], v[144:145]
	v_mul_f64 v[144:145], v[2:3], v[144:145]
	v_fmac_f64_e32 v[144:145], v[4:5], v[142:143]
	v_fma_f64 v[2:3], v[2:3], v[142:143], -v[6:7]
	v_mov_b64_e32 v[4:5], v[144:145]
.LBB43_538:
	v_cmp_ne_u32_e32 vcc, 24, v0
	s_and_saveexec_b64 s[6:7], vcc
	s_cbranch_execz .LBB43_542
; %bb.539:
	v_mov_b32_e32 v7, 0
	v_add_u32_e32 v6, 0x2d0, v62
	v_add3_u32 v7, v62, v7, 24
	s_mov_b64 s[8:9], 0
	v_mov_b32_e32 v141, v0
.LBB43_540:                             ; =>This Inner Loop Header: Depth=1
	v_add_u32_e32 v142, -8, v7
	scratch_load_dwordx4 v[142:145], v142, off
	ds_read_b128 v[146:149], v6
	v_add_u32_e32 v141, 1, v141
	v_cmp_lt_u32_e32 vcc, 23, v141
	v_add_u32_e32 v6, 16, v6
	v_add_u32_e32 v7, 16, v7
	s_or_b64 s[8:9], vcc, s[8:9]
	s_waitcnt vmcnt(0) lgkmcnt(0)
	v_mul_f64 v[150:151], v[148:149], v[144:145]
	v_mul_f64 v[144:145], v[146:147], v[144:145]
	v_fma_f64 v[146:147], v[146:147], v[142:143], -v[150:151]
	v_fmac_f64_e32 v[144:145], v[148:149], v[142:143]
	v_add_f64 v[2:3], v[2:3], v[146:147]
	v_add_f64 v[4:5], v[4:5], v[144:145]
	s_andn2_b64 exec, exec, s[8:9]
	s_cbranch_execnz .LBB43_540
; %bb.541:
	s_or_b64 exec, exec, s[8:9]
.LBB43_542:
	s_or_b64 exec, exec, s[6:7]
	v_mov_b32_e32 v6, 0
	ds_read_b128 v[142:145], v6 offset:400
	s_waitcnt lgkmcnt(0)
	v_mul_f64 v[6:7], v[4:5], v[144:145]
	v_mul_f64 v[146:147], v[2:3], v[144:145]
	v_fma_f64 v[144:145], v[2:3], v[142:143], -v[6:7]
	v_fmac_f64_e32 v[146:147], v[4:5], v[142:143]
	scratch_store_dwordx4 off, v[144:147], off offset:400
.LBB43_543:
	s_or_b64 exec, exec, s[2:3]
	scratch_load_dwordx4 v[2:5], v115, off
	v_cmp_gt_u32_e32 vcc, 26, v0
	s_waitcnt vmcnt(0)
	ds_write_b128 v9, v[2:5]
	s_waitcnt lgkmcnt(0)
	; wave barrier
	s_waitcnt lgkmcnt(0)
	s_and_saveexec_b64 s[2:3], vcc
	s_cbranch_execz .LBB43_551
; %bb.544:
	ds_read_b128 v[2:5], v9
	s_and_b64 vcc, exec, s[0:1]
	s_cbranch_vccnz .LBB43_546
; %bb.545:
	scratch_load_dwordx4 v[142:145], v8, off
	s_waitcnt vmcnt(0) lgkmcnt(0)
	v_mul_f64 v[6:7], v[4:5], v[144:145]
	v_mul_f64 v[144:145], v[2:3], v[144:145]
	v_fmac_f64_e32 v[144:145], v[4:5], v[142:143]
	v_fma_f64 v[2:3], v[2:3], v[142:143], -v[6:7]
	v_mov_b64_e32 v[4:5], v[144:145]
.LBB43_546:
	v_cmp_ne_u32_e32 vcc, 25, v0
	s_and_saveexec_b64 s[6:7], vcc
	s_cbranch_execz .LBB43_550
; %bb.547:
	v_mov_b32_e32 v7, 0
	v_add_u32_e32 v6, 0x2d0, v62
	v_add3_u32 v7, v62, v7, 24
	s_mov_b64 s[8:9], 0
	v_mov_b32_e32 v141, v0
.LBB43_548:                             ; =>This Inner Loop Header: Depth=1
	v_add_u32_e32 v142, -8, v7
	scratch_load_dwordx4 v[142:145], v142, off
	ds_read_b128 v[146:149], v6
	v_add_u32_e32 v141, 1, v141
	v_cmp_lt_u32_e32 vcc, 24, v141
	v_add_u32_e32 v6, 16, v6
	v_add_u32_e32 v7, 16, v7
	s_or_b64 s[8:9], vcc, s[8:9]
	s_waitcnt vmcnt(0) lgkmcnt(0)
	v_mul_f64 v[150:151], v[148:149], v[144:145]
	v_mul_f64 v[144:145], v[146:147], v[144:145]
	v_fma_f64 v[146:147], v[146:147], v[142:143], -v[150:151]
	v_fmac_f64_e32 v[144:145], v[148:149], v[142:143]
	v_add_f64 v[2:3], v[2:3], v[146:147]
	v_add_f64 v[4:5], v[4:5], v[144:145]
	s_andn2_b64 exec, exec, s[8:9]
	s_cbranch_execnz .LBB43_548
; %bb.549:
	s_or_b64 exec, exec, s[8:9]
.LBB43_550:
	s_or_b64 exec, exec, s[6:7]
	v_mov_b32_e32 v6, 0
	ds_read_b128 v[142:145], v6 offset:416
	s_waitcnt lgkmcnt(0)
	v_mul_f64 v[6:7], v[4:5], v[144:145]
	v_mul_f64 v[146:147], v[2:3], v[144:145]
	v_fma_f64 v[144:145], v[2:3], v[142:143], -v[6:7]
	v_fmac_f64_e32 v[146:147], v[4:5], v[142:143]
	scratch_store_dwordx4 off, v[144:147], off offset:416
.LBB43_551:
	s_or_b64 exec, exec, s[2:3]
	scratch_load_dwordx4 v[2:5], v114, off
	v_cmp_gt_u32_e32 vcc, 27, v0
	s_waitcnt vmcnt(0)
	ds_write_b128 v9, v[2:5]
	s_waitcnt lgkmcnt(0)
	; wave barrier
	s_waitcnt lgkmcnt(0)
	s_and_saveexec_b64 s[2:3], vcc
	s_cbranch_execz .LBB43_559
; %bb.552:
	ds_read_b128 v[2:5], v9
	s_and_b64 vcc, exec, s[0:1]
	s_cbranch_vccnz .LBB43_554
; %bb.553:
	scratch_load_dwordx4 v[142:145], v8, off
	s_waitcnt vmcnt(0) lgkmcnt(0)
	v_mul_f64 v[6:7], v[4:5], v[144:145]
	v_mul_f64 v[144:145], v[2:3], v[144:145]
	v_fmac_f64_e32 v[144:145], v[4:5], v[142:143]
	v_fma_f64 v[2:3], v[2:3], v[142:143], -v[6:7]
	v_mov_b64_e32 v[4:5], v[144:145]
.LBB43_554:
	v_cmp_ne_u32_e32 vcc, 26, v0
	s_and_saveexec_b64 s[6:7], vcc
	s_cbranch_execz .LBB43_558
; %bb.555:
	v_mov_b32_e32 v7, 0
	v_add_u32_e32 v6, 0x2d0, v62
	v_add3_u32 v7, v62, v7, 24
	s_mov_b64 s[8:9], 0
	v_mov_b32_e32 v141, v0
.LBB43_556:                             ; =>This Inner Loop Header: Depth=1
	v_add_u32_e32 v142, -8, v7
	scratch_load_dwordx4 v[142:145], v142, off
	ds_read_b128 v[146:149], v6
	v_add_u32_e32 v141, 1, v141
	v_cmp_lt_u32_e32 vcc, 25, v141
	v_add_u32_e32 v6, 16, v6
	v_add_u32_e32 v7, 16, v7
	s_or_b64 s[8:9], vcc, s[8:9]
	s_waitcnt vmcnt(0) lgkmcnt(0)
	v_mul_f64 v[150:151], v[148:149], v[144:145]
	v_mul_f64 v[144:145], v[146:147], v[144:145]
	v_fma_f64 v[146:147], v[146:147], v[142:143], -v[150:151]
	v_fmac_f64_e32 v[144:145], v[148:149], v[142:143]
	v_add_f64 v[2:3], v[2:3], v[146:147]
	v_add_f64 v[4:5], v[4:5], v[144:145]
	s_andn2_b64 exec, exec, s[8:9]
	s_cbranch_execnz .LBB43_556
; %bb.557:
	s_or_b64 exec, exec, s[8:9]
.LBB43_558:
	s_or_b64 exec, exec, s[6:7]
	v_mov_b32_e32 v6, 0
	ds_read_b128 v[142:145], v6 offset:432
	s_waitcnt lgkmcnt(0)
	v_mul_f64 v[6:7], v[4:5], v[144:145]
	v_mul_f64 v[146:147], v[2:3], v[144:145]
	v_fma_f64 v[144:145], v[2:3], v[142:143], -v[6:7]
	v_fmac_f64_e32 v[146:147], v[4:5], v[142:143]
	scratch_store_dwordx4 off, v[144:147], off offset:432
.LBB43_559:
	s_or_b64 exec, exec, s[2:3]
	scratch_load_dwordx4 v[2:5], v113, off
	v_cmp_gt_u32_e32 vcc, 28, v0
	s_waitcnt vmcnt(0)
	ds_write_b128 v9, v[2:5]
	s_waitcnt lgkmcnt(0)
	; wave barrier
	s_waitcnt lgkmcnt(0)
	s_and_saveexec_b64 s[2:3], vcc
	s_cbranch_execz .LBB43_567
; %bb.560:
	ds_read_b128 v[2:5], v9
	s_and_b64 vcc, exec, s[0:1]
	s_cbranch_vccnz .LBB43_562
; %bb.561:
	scratch_load_dwordx4 v[142:145], v8, off
	s_waitcnt vmcnt(0) lgkmcnt(0)
	v_mul_f64 v[6:7], v[4:5], v[144:145]
	v_mul_f64 v[144:145], v[2:3], v[144:145]
	v_fmac_f64_e32 v[144:145], v[4:5], v[142:143]
	v_fma_f64 v[2:3], v[2:3], v[142:143], -v[6:7]
	v_mov_b64_e32 v[4:5], v[144:145]
.LBB43_562:
	v_cmp_ne_u32_e32 vcc, 27, v0
	s_and_saveexec_b64 s[6:7], vcc
	s_cbranch_execz .LBB43_566
; %bb.563:
	v_mov_b32_e32 v7, 0
	v_add_u32_e32 v6, 0x2d0, v62
	v_add3_u32 v7, v62, v7, 24
	s_mov_b64 s[8:9], 0
	v_mov_b32_e32 v141, v0
.LBB43_564:                             ; =>This Inner Loop Header: Depth=1
	v_add_u32_e32 v142, -8, v7
	scratch_load_dwordx4 v[142:145], v142, off
	ds_read_b128 v[146:149], v6
	v_add_u32_e32 v141, 1, v141
	v_cmp_lt_u32_e32 vcc, 26, v141
	v_add_u32_e32 v6, 16, v6
	v_add_u32_e32 v7, 16, v7
	s_or_b64 s[8:9], vcc, s[8:9]
	s_waitcnt vmcnt(0) lgkmcnt(0)
	v_mul_f64 v[150:151], v[148:149], v[144:145]
	v_mul_f64 v[144:145], v[146:147], v[144:145]
	v_fma_f64 v[146:147], v[146:147], v[142:143], -v[150:151]
	v_fmac_f64_e32 v[144:145], v[148:149], v[142:143]
	v_add_f64 v[2:3], v[2:3], v[146:147]
	v_add_f64 v[4:5], v[4:5], v[144:145]
	s_andn2_b64 exec, exec, s[8:9]
	s_cbranch_execnz .LBB43_564
; %bb.565:
	s_or_b64 exec, exec, s[8:9]
.LBB43_566:
	s_or_b64 exec, exec, s[6:7]
	v_mov_b32_e32 v6, 0
	ds_read_b128 v[142:145], v6 offset:448
	s_waitcnt lgkmcnt(0)
	v_mul_f64 v[6:7], v[4:5], v[144:145]
	v_mul_f64 v[146:147], v[2:3], v[144:145]
	v_fma_f64 v[144:145], v[2:3], v[142:143], -v[6:7]
	v_fmac_f64_e32 v[146:147], v[4:5], v[142:143]
	scratch_store_dwordx4 off, v[144:147], off offset:448
.LBB43_567:
	s_or_b64 exec, exec, s[2:3]
	scratch_load_dwordx4 v[2:5], v112, off
	v_cmp_gt_u32_e32 vcc, 29, v0
	s_waitcnt vmcnt(0)
	ds_write_b128 v9, v[2:5]
	s_waitcnt lgkmcnt(0)
	; wave barrier
	s_waitcnt lgkmcnt(0)
	s_and_saveexec_b64 s[2:3], vcc
	s_cbranch_execz .LBB43_575
; %bb.568:
	ds_read_b128 v[2:5], v9
	s_and_b64 vcc, exec, s[0:1]
	s_cbranch_vccnz .LBB43_570
; %bb.569:
	scratch_load_dwordx4 v[142:145], v8, off
	s_waitcnt vmcnt(0) lgkmcnt(0)
	v_mul_f64 v[6:7], v[4:5], v[144:145]
	v_mul_f64 v[144:145], v[2:3], v[144:145]
	v_fmac_f64_e32 v[144:145], v[4:5], v[142:143]
	v_fma_f64 v[2:3], v[2:3], v[142:143], -v[6:7]
	v_mov_b64_e32 v[4:5], v[144:145]
.LBB43_570:
	v_cmp_ne_u32_e32 vcc, 28, v0
	s_and_saveexec_b64 s[6:7], vcc
	s_cbranch_execz .LBB43_574
; %bb.571:
	v_mov_b32_e32 v7, 0
	v_add_u32_e32 v6, 0x2d0, v62
	v_add3_u32 v7, v62, v7, 24
	s_mov_b64 s[8:9], 0
	v_mov_b32_e32 v141, v0
.LBB43_572:                             ; =>This Inner Loop Header: Depth=1
	v_add_u32_e32 v142, -8, v7
	scratch_load_dwordx4 v[142:145], v142, off
	ds_read_b128 v[146:149], v6
	v_add_u32_e32 v141, 1, v141
	v_cmp_lt_u32_e32 vcc, 27, v141
	v_add_u32_e32 v6, 16, v6
	v_add_u32_e32 v7, 16, v7
	s_or_b64 s[8:9], vcc, s[8:9]
	s_waitcnt vmcnt(0) lgkmcnt(0)
	v_mul_f64 v[150:151], v[148:149], v[144:145]
	v_mul_f64 v[144:145], v[146:147], v[144:145]
	v_fma_f64 v[146:147], v[146:147], v[142:143], -v[150:151]
	v_fmac_f64_e32 v[144:145], v[148:149], v[142:143]
	v_add_f64 v[2:3], v[2:3], v[146:147]
	v_add_f64 v[4:5], v[4:5], v[144:145]
	s_andn2_b64 exec, exec, s[8:9]
	s_cbranch_execnz .LBB43_572
; %bb.573:
	s_or_b64 exec, exec, s[8:9]
.LBB43_574:
	s_or_b64 exec, exec, s[6:7]
	v_mov_b32_e32 v6, 0
	ds_read_b128 v[142:145], v6 offset:464
	s_waitcnt lgkmcnt(0)
	v_mul_f64 v[6:7], v[4:5], v[144:145]
	v_mul_f64 v[146:147], v[2:3], v[144:145]
	v_fma_f64 v[144:145], v[2:3], v[142:143], -v[6:7]
	v_fmac_f64_e32 v[146:147], v[4:5], v[142:143]
	scratch_store_dwordx4 off, v[144:147], off offset:464
.LBB43_575:
	s_or_b64 exec, exec, s[2:3]
	scratch_load_dwordx4 v[2:5], v111, off
	v_cmp_gt_u32_e32 vcc, 30, v0
	s_waitcnt vmcnt(0)
	ds_write_b128 v9, v[2:5]
	s_waitcnt lgkmcnt(0)
	; wave barrier
	s_waitcnt lgkmcnt(0)
	s_and_saveexec_b64 s[2:3], vcc
	s_cbranch_execz .LBB43_583
; %bb.576:
	ds_read_b128 v[2:5], v9
	s_and_b64 vcc, exec, s[0:1]
	s_cbranch_vccnz .LBB43_578
; %bb.577:
	scratch_load_dwordx4 v[142:145], v8, off
	s_waitcnt vmcnt(0) lgkmcnt(0)
	v_mul_f64 v[6:7], v[4:5], v[144:145]
	v_mul_f64 v[144:145], v[2:3], v[144:145]
	v_fmac_f64_e32 v[144:145], v[4:5], v[142:143]
	v_fma_f64 v[2:3], v[2:3], v[142:143], -v[6:7]
	v_mov_b64_e32 v[4:5], v[144:145]
.LBB43_578:
	v_cmp_ne_u32_e32 vcc, 29, v0
	s_and_saveexec_b64 s[6:7], vcc
	s_cbranch_execz .LBB43_582
; %bb.579:
	v_mov_b32_e32 v7, 0
	v_add_u32_e32 v6, 0x2d0, v62
	v_add3_u32 v7, v62, v7, 24
	s_mov_b64 s[8:9], 0
	v_mov_b32_e32 v141, v0
.LBB43_580:                             ; =>This Inner Loop Header: Depth=1
	v_add_u32_e32 v142, -8, v7
	scratch_load_dwordx4 v[142:145], v142, off
	ds_read_b128 v[146:149], v6
	v_add_u32_e32 v141, 1, v141
	v_cmp_lt_u32_e32 vcc, 28, v141
	v_add_u32_e32 v6, 16, v6
	v_add_u32_e32 v7, 16, v7
	s_or_b64 s[8:9], vcc, s[8:9]
	s_waitcnt vmcnt(0) lgkmcnt(0)
	v_mul_f64 v[150:151], v[148:149], v[144:145]
	v_mul_f64 v[144:145], v[146:147], v[144:145]
	v_fma_f64 v[146:147], v[146:147], v[142:143], -v[150:151]
	v_fmac_f64_e32 v[144:145], v[148:149], v[142:143]
	v_add_f64 v[2:3], v[2:3], v[146:147]
	v_add_f64 v[4:5], v[4:5], v[144:145]
	s_andn2_b64 exec, exec, s[8:9]
	s_cbranch_execnz .LBB43_580
; %bb.581:
	s_or_b64 exec, exec, s[8:9]
.LBB43_582:
	s_or_b64 exec, exec, s[6:7]
	v_mov_b32_e32 v6, 0
	ds_read_b128 v[142:145], v6 offset:480
	s_waitcnt lgkmcnt(0)
	v_mul_f64 v[6:7], v[4:5], v[144:145]
	v_mul_f64 v[146:147], v[2:3], v[144:145]
	v_fma_f64 v[144:145], v[2:3], v[142:143], -v[6:7]
	v_fmac_f64_e32 v[146:147], v[4:5], v[142:143]
	scratch_store_dwordx4 off, v[144:147], off offset:480
.LBB43_583:
	s_or_b64 exec, exec, s[2:3]
	scratch_load_dwordx4 v[2:5], v110, off
	v_cmp_gt_u32_e32 vcc, 31, v0
	s_waitcnt vmcnt(0)
	ds_write_b128 v9, v[2:5]
	s_waitcnt lgkmcnt(0)
	; wave barrier
	s_waitcnt lgkmcnt(0)
	s_and_saveexec_b64 s[2:3], vcc
	s_cbranch_execz .LBB43_591
; %bb.584:
	ds_read_b128 v[2:5], v9
	s_and_b64 vcc, exec, s[0:1]
	s_cbranch_vccnz .LBB43_586
; %bb.585:
	scratch_load_dwordx4 v[142:145], v8, off
	s_waitcnt vmcnt(0) lgkmcnt(0)
	v_mul_f64 v[6:7], v[4:5], v[144:145]
	v_mul_f64 v[144:145], v[2:3], v[144:145]
	v_fmac_f64_e32 v[144:145], v[4:5], v[142:143]
	v_fma_f64 v[2:3], v[2:3], v[142:143], -v[6:7]
	v_mov_b64_e32 v[4:5], v[144:145]
.LBB43_586:
	v_cmp_ne_u32_e32 vcc, 30, v0
	s_and_saveexec_b64 s[6:7], vcc
	s_cbranch_execz .LBB43_590
; %bb.587:
	v_mov_b32_e32 v7, 0
	v_add_u32_e32 v6, 0x2d0, v62
	v_add3_u32 v7, v62, v7, 24
	s_mov_b64 s[8:9], 0
	v_mov_b32_e32 v141, v0
.LBB43_588:                             ; =>This Inner Loop Header: Depth=1
	v_add_u32_e32 v142, -8, v7
	scratch_load_dwordx4 v[142:145], v142, off
	ds_read_b128 v[146:149], v6
	v_add_u32_e32 v141, 1, v141
	v_cmp_lt_u32_e32 vcc, 29, v141
	v_add_u32_e32 v6, 16, v6
	v_add_u32_e32 v7, 16, v7
	s_or_b64 s[8:9], vcc, s[8:9]
	s_waitcnt vmcnt(0) lgkmcnt(0)
	v_mul_f64 v[150:151], v[148:149], v[144:145]
	v_mul_f64 v[144:145], v[146:147], v[144:145]
	v_fma_f64 v[146:147], v[146:147], v[142:143], -v[150:151]
	v_fmac_f64_e32 v[144:145], v[148:149], v[142:143]
	v_add_f64 v[2:3], v[2:3], v[146:147]
	v_add_f64 v[4:5], v[4:5], v[144:145]
	s_andn2_b64 exec, exec, s[8:9]
	s_cbranch_execnz .LBB43_588
; %bb.589:
	s_or_b64 exec, exec, s[8:9]
.LBB43_590:
	s_or_b64 exec, exec, s[6:7]
	v_mov_b32_e32 v6, 0
	ds_read_b128 v[142:145], v6 offset:496
	s_waitcnt lgkmcnt(0)
	v_mul_f64 v[6:7], v[4:5], v[144:145]
	v_mul_f64 v[146:147], v[2:3], v[144:145]
	v_fma_f64 v[144:145], v[2:3], v[142:143], -v[6:7]
	v_fmac_f64_e32 v[146:147], v[4:5], v[142:143]
	scratch_store_dwordx4 off, v[144:147], off offset:496
.LBB43_591:
	s_or_b64 exec, exec, s[2:3]
	scratch_load_dwordx4 v[2:5], v109, off
	v_cmp_gt_u32_e32 vcc, 32, v0
	s_waitcnt vmcnt(0)
	ds_write_b128 v9, v[2:5]
	s_waitcnt lgkmcnt(0)
	; wave barrier
	s_waitcnt lgkmcnt(0)
	s_and_saveexec_b64 s[2:3], vcc
	s_cbranch_execz .LBB43_599
; %bb.592:
	ds_read_b128 v[2:5], v9
	s_and_b64 vcc, exec, s[0:1]
	s_cbranch_vccnz .LBB43_594
; %bb.593:
	scratch_load_dwordx4 v[142:145], v8, off
	s_waitcnt vmcnt(0) lgkmcnt(0)
	v_mul_f64 v[6:7], v[4:5], v[144:145]
	v_mul_f64 v[144:145], v[2:3], v[144:145]
	v_fmac_f64_e32 v[144:145], v[4:5], v[142:143]
	v_fma_f64 v[2:3], v[2:3], v[142:143], -v[6:7]
	v_mov_b64_e32 v[4:5], v[144:145]
.LBB43_594:
	v_cmp_ne_u32_e32 vcc, 31, v0
	s_and_saveexec_b64 s[6:7], vcc
	s_cbranch_execz .LBB43_598
; %bb.595:
	v_mov_b32_e32 v7, 0
	v_add_u32_e32 v6, 0x2d0, v62
	v_add3_u32 v7, v62, v7, 24
	s_mov_b64 s[8:9], 0
	v_mov_b32_e32 v141, v0
.LBB43_596:                             ; =>This Inner Loop Header: Depth=1
	v_add_u32_e32 v142, -8, v7
	scratch_load_dwordx4 v[142:145], v142, off
	ds_read_b128 v[146:149], v6
	v_add_u32_e32 v141, 1, v141
	v_cmp_lt_u32_e32 vcc, 30, v141
	v_add_u32_e32 v6, 16, v6
	v_add_u32_e32 v7, 16, v7
	s_or_b64 s[8:9], vcc, s[8:9]
	s_waitcnt vmcnt(0) lgkmcnt(0)
	v_mul_f64 v[150:151], v[148:149], v[144:145]
	v_mul_f64 v[144:145], v[146:147], v[144:145]
	v_fma_f64 v[146:147], v[146:147], v[142:143], -v[150:151]
	v_fmac_f64_e32 v[144:145], v[148:149], v[142:143]
	v_add_f64 v[2:3], v[2:3], v[146:147]
	v_add_f64 v[4:5], v[4:5], v[144:145]
	s_andn2_b64 exec, exec, s[8:9]
	s_cbranch_execnz .LBB43_596
; %bb.597:
	s_or_b64 exec, exec, s[8:9]
.LBB43_598:
	s_or_b64 exec, exec, s[6:7]
	v_mov_b32_e32 v6, 0
	ds_read_b128 v[142:145], v6 offset:512
	s_waitcnt lgkmcnt(0)
	v_mul_f64 v[6:7], v[4:5], v[144:145]
	v_mul_f64 v[146:147], v[2:3], v[144:145]
	v_fma_f64 v[144:145], v[2:3], v[142:143], -v[6:7]
	v_fmac_f64_e32 v[146:147], v[4:5], v[142:143]
	scratch_store_dwordx4 off, v[144:147], off offset:512
.LBB43_599:
	s_or_b64 exec, exec, s[2:3]
	scratch_load_dwordx4 v[2:5], v108, off
	v_cmp_gt_u32_e32 vcc, 33, v0
	s_waitcnt vmcnt(0)
	ds_write_b128 v9, v[2:5]
	s_waitcnt lgkmcnt(0)
	; wave barrier
	s_waitcnt lgkmcnt(0)
	s_and_saveexec_b64 s[2:3], vcc
	s_cbranch_execz .LBB43_607
; %bb.600:
	ds_read_b128 v[2:5], v9
	s_and_b64 vcc, exec, s[0:1]
	s_cbranch_vccnz .LBB43_602
; %bb.601:
	scratch_load_dwordx4 v[142:145], v8, off
	s_waitcnt vmcnt(0) lgkmcnt(0)
	v_mul_f64 v[6:7], v[4:5], v[144:145]
	v_mul_f64 v[144:145], v[2:3], v[144:145]
	v_fmac_f64_e32 v[144:145], v[4:5], v[142:143]
	v_fma_f64 v[2:3], v[2:3], v[142:143], -v[6:7]
	v_mov_b64_e32 v[4:5], v[144:145]
.LBB43_602:
	v_cmp_ne_u32_e32 vcc, 32, v0
	s_and_saveexec_b64 s[6:7], vcc
	s_cbranch_execz .LBB43_606
; %bb.603:
	v_mov_b32_e32 v7, 0
	v_add_u32_e32 v6, 0x2d0, v62
	v_add3_u32 v7, v62, v7, 24
	s_mov_b64 s[8:9], 0
	v_mov_b32_e32 v141, v0
.LBB43_604:                             ; =>This Inner Loop Header: Depth=1
	v_add_u32_e32 v142, -8, v7
	scratch_load_dwordx4 v[142:145], v142, off
	ds_read_b128 v[146:149], v6
	v_add_u32_e32 v141, 1, v141
	v_cmp_lt_u32_e32 vcc, 31, v141
	v_add_u32_e32 v6, 16, v6
	v_add_u32_e32 v7, 16, v7
	s_or_b64 s[8:9], vcc, s[8:9]
	s_waitcnt vmcnt(0) lgkmcnt(0)
	v_mul_f64 v[150:151], v[148:149], v[144:145]
	v_mul_f64 v[144:145], v[146:147], v[144:145]
	v_fma_f64 v[146:147], v[146:147], v[142:143], -v[150:151]
	v_fmac_f64_e32 v[144:145], v[148:149], v[142:143]
	v_add_f64 v[2:3], v[2:3], v[146:147]
	v_add_f64 v[4:5], v[4:5], v[144:145]
	s_andn2_b64 exec, exec, s[8:9]
	s_cbranch_execnz .LBB43_604
; %bb.605:
	s_or_b64 exec, exec, s[8:9]
.LBB43_606:
	s_or_b64 exec, exec, s[6:7]
	v_mov_b32_e32 v6, 0
	ds_read_b128 v[142:145], v6 offset:528
	s_waitcnt lgkmcnt(0)
	v_mul_f64 v[6:7], v[4:5], v[144:145]
	v_mul_f64 v[146:147], v[2:3], v[144:145]
	v_fma_f64 v[144:145], v[2:3], v[142:143], -v[6:7]
	v_fmac_f64_e32 v[146:147], v[4:5], v[142:143]
	scratch_store_dwordx4 off, v[144:147], off offset:528
.LBB43_607:
	s_or_b64 exec, exec, s[2:3]
	scratch_load_dwordx4 v[2:5], v107, off
	v_cmp_gt_u32_e32 vcc, 34, v0
	s_waitcnt vmcnt(0)
	ds_write_b128 v9, v[2:5]
	s_waitcnt lgkmcnt(0)
	; wave barrier
	s_waitcnt lgkmcnt(0)
	s_and_saveexec_b64 s[2:3], vcc
	s_cbranch_execz .LBB43_615
; %bb.608:
	ds_read_b128 v[2:5], v9
	s_and_b64 vcc, exec, s[0:1]
	s_cbranch_vccnz .LBB43_610
; %bb.609:
	scratch_load_dwordx4 v[142:145], v8, off
	s_waitcnt vmcnt(0) lgkmcnt(0)
	v_mul_f64 v[6:7], v[4:5], v[144:145]
	v_mul_f64 v[144:145], v[2:3], v[144:145]
	v_fmac_f64_e32 v[144:145], v[4:5], v[142:143]
	v_fma_f64 v[2:3], v[2:3], v[142:143], -v[6:7]
	v_mov_b64_e32 v[4:5], v[144:145]
.LBB43_610:
	v_cmp_ne_u32_e32 vcc, 33, v0
	s_and_saveexec_b64 s[6:7], vcc
	s_cbranch_execz .LBB43_614
; %bb.611:
	v_mov_b32_e32 v7, 0
	v_add_u32_e32 v6, 0x2d0, v62
	v_add3_u32 v7, v62, v7, 24
	s_mov_b64 s[8:9], 0
	v_mov_b32_e32 v141, v0
.LBB43_612:                             ; =>This Inner Loop Header: Depth=1
	v_add_u32_e32 v142, -8, v7
	scratch_load_dwordx4 v[142:145], v142, off
	ds_read_b128 v[146:149], v6
	v_add_u32_e32 v141, 1, v141
	v_cmp_lt_u32_e32 vcc, 32, v141
	v_add_u32_e32 v6, 16, v6
	v_add_u32_e32 v7, 16, v7
	s_or_b64 s[8:9], vcc, s[8:9]
	s_waitcnt vmcnt(0) lgkmcnt(0)
	v_mul_f64 v[150:151], v[148:149], v[144:145]
	v_mul_f64 v[144:145], v[146:147], v[144:145]
	v_fma_f64 v[146:147], v[146:147], v[142:143], -v[150:151]
	v_fmac_f64_e32 v[144:145], v[148:149], v[142:143]
	v_add_f64 v[2:3], v[2:3], v[146:147]
	v_add_f64 v[4:5], v[4:5], v[144:145]
	s_andn2_b64 exec, exec, s[8:9]
	s_cbranch_execnz .LBB43_612
; %bb.613:
	s_or_b64 exec, exec, s[8:9]
.LBB43_614:
	s_or_b64 exec, exec, s[6:7]
	v_mov_b32_e32 v6, 0
	ds_read_b128 v[142:145], v6 offset:544
	s_waitcnt lgkmcnt(0)
	v_mul_f64 v[6:7], v[4:5], v[144:145]
	v_mul_f64 v[146:147], v[2:3], v[144:145]
	v_fma_f64 v[144:145], v[2:3], v[142:143], -v[6:7]
	v_fmac_f64_e32 v[146:147], v[4:5], v[142:143]
	scratch_store_dwordx4 off, v[144:147], off offset:544
.LBB43_615:
	s_or_b64 exec, exec, s[2:3]
	scratch_load_dwordx4 v[2:5], v106, off
	v_cmp_gt_u32_e32 vcc, 35, v0
	s_waitcnt vmcnt(0)
	ds_write_b128 v9, v[2:5]
	s_waitcnt lgkmcnt(0)
	; wave barrier
	s_waitcnt lgkmcnt(0)
	s_and_saveexec_b64 s[2:3], vcc
	s_cbranch_execz .LBB43_623
; %bb.616:
	ds_read_b128 v[2:5], v9
	s_and_b64 vcc, exec, s[0:1]
	s_cbranch_vccnz .LBB43_618
; %bb.617:
	scratch_load_dwordx4 v[142:145], v8, off
	s_waitcnt vmcnt(0) lgkmcnt(0)
	v_mul_f64 v[6:7], v[4:5], v[144:145]
	v_mul_f64 v[144:145], v[2:3], v[144:145]
	v_fmac_f64_e32 v[144:145], v[4:5], v[142:143]
	v_fma_f64 v[2:3], v[2:3], v[142:143], -v[6:7]
	v_mov_b64_e32 v[4:5], v[144:145]
.LBB43_618:
	v_cmp_ne_u32_e32 vcc, 34, v0
	s_and_saveexec_b64 s[6:7], vcc
	s_cbranch_execz .LBB43_622
; %bb.619:
	v_mov_b32_e32 v7, 0
	v_add_u32_e32 v6, 0x2d0, v62
	v_add3_u32 v7, v62, v7, 24
	s_mov_b64 s[8:9], 0
	v_mov_b32_e32 v141, v0
.LBB43_620:                             ; =>This Inner Loop Header: Depth=1
	v_add_u32_e32 v142, -8, v7
	scratch_load_dwordx4 v[142:145], v142, off
	ds_read_b128 v[146:149], v6
	v_add_u32_e32 v141, 1, v141
	v_cmp_lt_u32_e32 vcc, 33, v141
	v_add_u32_e32 v6, 16, v6
	v_add_u32_e32 v7, 16, v7
	s_or_b64 s[8:9], vcc, s[8:9]
	s_waitcnt vmcnt(0) lgkmcnt(0)
	v_mul_f64 v[150:151], v[148:149], v[144:145]
	v_mul_f64 v[144:145], v[146:147], v[144:145]
	v_fma_f64 v[146:147], v[146:147], v[142:143], -v[150:151]
	v_fmac_f64_e32 v[144:145], v[148:149], v[142:143]
	v_add_f64 v[2:3], v[2:3], v[146:147]
	v_add_f64 v[4:5], v[4:5], v[144:145]
	s_andn2_b64 exec, exec, s[8:9]
	s_cbranch_execnz .LBB43_620
; %bb.621:
	s_or_b64 exec, exec, s[8:9]
.LBB43_622:
	s_or_b64 exec, exec, s[6:7]
	v_mov_b32_e32 v6, 0
	ds_read_b128 v[142:145], v6 offset:560
	s_waitcnt lgkmcnt(0)
	v_mul_f64 v[6:7], v[4:5], v[144:145]
	v_mul_f64 v[146:147], v[2:3], v[144:145]
	v_fma_f64 v[144:145], v[2:3], v[142:143], -v[6:7]
	v_fmac_f64_e32 v[146:147], v[4:5], v[142:143]
	scratch_store_dwordx4 off, v[144:147], off offset:560
.LBB43_623:
	s_or_b64 exec, exec, s[2:3]
	scratch_load_dwordx4 v[2:5], v63, off
	v_cmp_gt_u32_e32 vcc, 36, v0
	s_waitcnt vmcnt(0)
	ds_write_b128 v9, v[2:5]
	s_waitcnt lgkmcnt(0)
	; wave barrier
	s_waitcnt lgkmcnt(0)
	s_and_saveexec_b64 s[2:3], vcc
	s_cbranch_execz .LBB43_631
; %bb.624:
	ds_read_b128 v[2:5], v9
	s_and_b64 vcc, exec, s[0:1]
	s_cbranch_vccnz .LBB43_626
; %bb.625:
	scratch_load_dwordx4 v[142:145], v8, off
	s_waitcnt vmcnt(0) lgkmcnt(0)
	v_mul_f64 v[6:7], v[4:5], v[144:145]
	v_mul_f64 v[144:145], v[2:3], v[144:145]
	v_fmac_f64_e32 v[144:145], v[4:5], v[142:143]
	v_fma_f64 v[2:3], v[2:3], v[142:143], -v[6:7]
	v_mov_b64_e32 v[4:5], v[144:145]
.LBB43_626:
	v_cmp_ne_u32_e32 vcc, 35, v0
	s_and_saveexec_b64 s[6:7], vcc
	s_cbranch_execz .LBB43_630
; %bb.627:
	v_mov_b32_e32 v7, 0
	v_add_u32_e32 v6, 0x2d0, v62
	v_add3_u32 v7, v62, v7, 24
	s_mov_b64 s[8:9], 0
	v_mov_b32_e32 v141, v0
.LBB43_628:                             ; =>This Inner Loop Header: Depth=1
	v_add_u32_e32 v142, -8, v7
	scratch_load_dwordx4 v[142:145], v142, off
	ds_read_b128 v[146:149], v6
	v_add_u32_e32 v141, 1, v141
	v_cmp_lt_u32_e32 vcc, 34, v141
	v_add_u32_e32 v6, 16, v6
	v_add_u32_e32 v7, 16, v7
	s_or_b64 s[8:9], vcc, s[8:9]
	s_waitcnt vmcnt(0) lgkmcnt(0)
	v_mul_f64 v[150:151], v[148:149], v[144:145]
	v_mul_f64 v[144:145], v[146:147], v[144:145]
	v_fma_f64 v[146:147], v[146:147], v[142:143], -v[150:151]
	v_fmac_f64_e32 v[144:145], v[148:149], v[142:143]
	v_add_f64 v[2:3], v[2:3], v[146:147]
	v_add_f64 v[4:5], v[4:5], v[144:145]
	s_andn2_b64 exec, exec, s[8:9]
	s_cbranch_execnz .LBB43_628
; %bb.629:
	s_or_b64 exec, exec, s[8:9]
.LBB43_630:
	s_or_b64 exec, exec, s[6:7]
	v_mov_b32_e32 v6, 0
	ds_read_b128 v[142:145], v6 offset:576
	s_waitcnt lgkmcnt(0)
	v_mul_f64 v[6:7], v[4:5], v[144:145]
	v_mul_f64 v[146:147], v[2:3], v[144:145]
	v_fma_f64 v[144:145], v[2:3], v[142:143], -v[6:7]
	v_fmac_f64_e32 v[146:147], v[4:5], v[142:143]
	scratch_store_dwordx4 off, v[144:147], off offset:576
.LBB43_631:
	s_or_b64 exec, exec, s[2:3]
	scratch_load_dwordx4 v[2:5], v41, off
	v_cmp_gt_u32_e32 vcc, 37, v0
	s_waitcnt vmcnt(0)
	ds_write_b128 v9, v[2:5]
	s_waitcnt lgkmcnt(0)
	; wave barrier
	s_waitcnt lgkmcnt(0)
	s_and_saveexec_b64 s[2:3], vcc
	s_cbranch_execz .LBB43_639
; %bb.632:
	ds_read_b128 v[2:5], v9
	s_and_b64 vcc, exec, s[0:1]
	s_cbranch_vccnz .LBB43_634
; %bb.633:
	scratch_load_dwordx4 v[142:145], v8, off
	s_waitcnt vmcnt(0) lgkmcnt(0)
	v_mul_f64 v[6:7], v[4:5], v[144:145]
	v_mul_f64 v[144:145], v[2:3], v[144:145]
	v_fmac_f64_e32 v[144:145], v[4:5], v[142:143]
	v_fma_f64 v[2:3], v[2:3], v[142:143], -v[6:7]
	v_mov_b64_e32 v[4:5], v[144:145]
.LBB43_634:
	v_cmp_ne_u32_e32 vcc, 36, v0
	s_and_saveexec_b64 s[6:7], vcc
	s_cbranch_execz .LBB43_638
; %bb.635:
	v_mov_b32_e32 v7, 0
	v_add_u32_e32 v6, 0x2d0, v62
	v_add3_u32 v7, v62, v7, 24
	s_mov_b64 s[8:9], 0
	v_mov_b32_e32 v141, v0
.LBB43_636:                             ; =>This Inner Loop Header: Depth=1
	v_add_u32_e32 v142, -8, v7
	scratch_load_dwordx4 v[142:145], v142, off
	ds_read_b128 v[146:149], v6
	v_add_u32_e32 v141, 1, v141
	v_cmp_lt_u32_e32 vcc, 35, v141
	v_add_u32_e32 v6, 16, v6
	v_add_u32_e32 v7, 16, v7
	s_or_b64 s[8:9], vcc, s[8:9]
	s_waitcnt vmcnt(0) lgkmcnt(0)
	v_mul_f64 v[150:151], v[148:149], v[144:145]
	v_mul_f64 v[144:145], v[146:147], v[144:145]
	v_fma_f64 v[146:147], v[146:147], v[142:143], -v[150:151]
	v_fmac_f64_e32 v[144:145], v[148:149], v[142:143]
	v_add_f64 v[2:3], v[2:3], v[146:147]
	v_add_f64 v[4:5], v[4:5], v[144:145]
	s_andn2_b64 exec, exec, s[8:9]
	s_cbranch_execnz .LBB43_636
; %bb.637:
	s_or_b64 exec, exec, s[8:9]
.LBB43_638:
	s_or_b64 exec, exec, s[6:7]
	v_mov_b32_e32 v6, 0
	ds_read_b128 v[142:145], v6 offset:592
	s_waitcnt lgkmcnt(0)
	v_mul_f64 v[6:7], v[4:5], v[144:145]
	v_mul_f64 v[146:147], v[2:3], v[144:145]
	v_fma_f64 v[144:145], v[2:3], v[142:143], -v[6:7]
	v_fmac_f64_e32 v[146:147], v[4:5], v[142:143]
	scratch_store_dwordx4 off, v[144:147], off offset:592
.LBB43_639:
	s_or_b64 exec, exec, s[2:3]
	scratch_load_dwordx4 v[2:5], v40, off
	v_cmp_gt_u32_e32 vcc, 38, v0
	s_waitcnt vmcnt(0)
	ds_write_b128 v9, v[2:5]
	s_waitcnt lgkmcnt(0)
	; wave barrier
	s_waitcnt lgkmcnt(0)
	s_and_saveexec_b64 s[2:3], vcc
	s_cbranch_execz .LBB43_647
; %bb.640:
	ds_read_b128 v[2:5], v9
	s_and_b64 vcc, exec, s[0:1]
	s_cbranch_vccnz .LBB43_642
; %bb.641:
	scratch_load_dwordx4 v[142:145], v8, off
	s_waitcnt vmcnt(0) lgkmcnt(0)
	v_mul_f64 v[6:7], v[4:5], v[144:145]
	v_mul_f64 v[144:145], v[2:3], v[144:145]
	v_fmac_f64_e32 v[144:145], v[4:5], v[142:143]
	v_fma_f64 v[2:3], v[2:3], v[142:143], -v[6:7]
	v_mov_b64_e32 v[4:5], v[144:145]
.LBB43_642:
	v_cmp_ne_u32_e32 vcc, 37, v0
	s_and_saveexec_b64 s[6:7], vcc
	s_cbranch_execz .LBB43_646
; %bb.643:
	v_mov_b32_e32 v7, 0
	v_add_u32_e32 v6, 0x2d0, v62
	v_add3_u32 v7, v62, v7, 24
	s_mov_b64 s[8:9], 0
	v_mov_b32_e32 v141, v0
.LBB43_644:                             ; =>This Inner Loop Header: Depth=1
	v_add_u32_e32 v142, -8, v7
	scratch_load_dwordx4 v[142:145], v142, off
	ds_read_b128 v[146:149], v6
	v_add_u32_e32 v141, 1, v141
	v_cmp_lt_u32_e32 vcc, 36, v141
	v_add_u32_e32 v6, 16, v6
	v_add_u32_e32 v7, 16, v7
	s_or_b64 s[8:9], vcc, s[8:9]
	s_waitcnt vmcnt(0) lgkmcnt(0)
	v_mul_f64 v[150:151], v[148:149], v[144:145]
	v_mul_f64 v[144:145], v[146:147], v[144:145]
	v_fma_f64 v[146:147], v[146:147], v[142:143], -v[150:151]
	v_fmac_f64_e32 v[144:145], v[148:149], v[142:143]
	v_add_f64 v[2:3], v[2:3], v[146:147]
	v_add_f64 v[4:5], v[4:5], v[144:145]
	s_andn2_b64 exec, exec, s[8:9]
	s_cbranch_execnz .LBB43_644
; %bb.645:
	s_or_b64 exec, exec, s[8:9]
.LBB43_646:
	s_or_b64 exec, exec, s[6:7]
	v_mov_b32_e32 v6, 0
	ds_read_b128 v[142:145], v6 offset:608
	s_waitcnt lgkmcnt(0)
	v_mul_f64 v[6:7], v[4:5], v[144:145]
	v_mul_f64 v[146:147], v[2:3], v[144:145]
	v_fma_f64 v[144:145], v[2:3], v[142:143], -v[6:7]
	v_fmac_f64_e32 v[146:147], v[4:5], v[142:143]
	scratch_store_dwordx4 off, v[144:147], off offset:608
.LBB43_647:
	s_or_b64 exec, exec, s[2:3]
	scratch_load_dwordx4 v[2:5], v39, off
	v_cmp_gt_u32_e32 vcc, 39, v0
	s_waitcnt vmcnt(0)
	ds_write_b128 v9, v[2:5]
	s_waitcnt lgkmcnt(0)
	; wave barrier
	s_waitcnt lgkmcnt(0)
	s_and_saveexec_b64 s[2:3], vcc
	s_cbranch_execz .LBB43_655
; %bb.648:
	ds_read_b128 v[2:5], v9
	s_and_b64 vcc, exec, s[0:1]
	s_cbranch_vccnz .LBB43_650
; %bb.649:
	scratch_load_dwordx4 v[142:145], v8, off
	s_waitcnt vmcnt(0) lgkmcnt(0)
	v_mul_f64 v[6:7], v[4:5], v[144:145]
	v_mul_f64 v[144:145], v[2:3], v[144:145]
	v_fmac_f64_e32 v[144:145], v[4:5], v[142:143]
	v_fma_f64 v[2:3], v[2:3], v[142:143], -v[6:7]
	v_mov_b64_e32 v[4:5], v[144:145]
.LBB43_650:
	v_cmp_ne_u32_e32 vcc, 38, v0
	s_and_saveexec_b64 s[6:7], vcc
	s_cbranch_execz .LBB43_654
; %bb.651:
	v_mov_b32_e32 v7, 0
	v_add_u32_e32 v6, 0x2d0, v62
	v_add3_u32 v7, v62, v7, 24
	s_mov_b64 s[8:9], 0
	v_mov_b32_e32 v141, v0
.LBB43_652:                             ; =>This Inner Loop Header: Depth=1
	v_add_u32_e32 v142, -8, v7
	scratch_load_dwordx4 v[142:145], v142, off
	ds_read_b128 v[146:149], v6
	v_add_u32_e32 v141, 1, v141
	v_cmp_lt_u32_e32 vcc, 37, v141
	v_add_u32_e32 v6, 16, v6
	v_add_u32_e32 v7, 16, v7
	s_or_b64 s[8:9], vcc, s[8:9]
	s_waitcnt vmcnt(0) lgkmcnt(0)
	v_mul_f64 v[150:151], v[148:149], v[144:145]
	v_mul_f64 v[144:145], v[146:147], v[144:145]
	v_fma_f64 v[146:147], v[146:147], v[142:143], -v[150:151]
	v_fmac_f64_e32 v[144:145], v[148:149], v[142:143]
	v_add_f64 v[2:3], v[2:3], v[146:147]
	v_add_f64 v[4:5], v[4:5], v[144:145]
	s_andn2_b64 exec, exec, s[8:9]
	s_cbranch_execnz .LBB43_652
; %bb.653:
	s_or_b64 exec, exec, s[8:9]
.LBB43_654:
	s_or_b64 exec, exec, s[6:7]
	v_mov_b32_e32 v6, 0
	ds_read_b128 v[142:145], v6 offset:624
	s_waitcnt lgkmcnt(0)
	v_mul_f64 v[6:7], v[4:5], v[144:145]
	v_mul_f64 v[146:147], v[2:3], v[144:145]
	v_fma_f64 v[144:145], v[2:3], v[142:143], -v[6:7]
	v_fmac_f64_e32 v[146:147], v[4:5], v[142:143]
	scratch_store_dwordx4 off, v[144:147], off offset:624
.LBB43_655:
	s_or_b64 exec, exec, s[2:3]
	scratch_load_dwordx4 v[2:5], v38, off
	v_cmp_gt_u32_e32 vcc, 40, v0
	s_waitcnt vmcnt(0)
	ds_write_b128 v9, v[2:5]
	s_waitcnt lgkmcnt(0)
	; wave barrier
	s_waitcnt lgkmcnt(0)
	s_and_saveexec_b64 s[2:3], vcc
	s_cbranch_execz .LBB43_663
; %bb.656:
	ds_read_b128 v[2:5], v9
	s_and_b64 vcc, exec, s[0:1]
	s_cbranch_vccnz .LBB43_658
; %bb.657:
	scratch_load_dwordx4 v[142:145], v8, off
	s_waitcnt vmcnt(0) lgkmcnt(0)
	v_mul_f64 v[6:7], v[4:5], v[144:145]
	v_mul_f64 v[144:145], v[2:3], v[144:145]
	v_fmac_f64_e32 v[144:145], v[4:5], v[142:143]
	v_fma_f64 v[2:3], v[2:3], v[142:143], -v[6:7]
	v_mov_b64_e32 v[4:5], v[144:145]
.LBB43_658:
	v_cmp_ne_u32_e32 vcc, 39, v0
	s_and_saveexec_b64 s[6:7], vcc
	s_cbranch_execz .LBB43_662
; %bb.659:
	v_mov_b32_e32 v7, 0
	v_add_u32_e32 v6, 0x2d0, v62
	v_add3_u32 v7, v62, v7, 24
	s_mov_b64 s[8:9], 0
	v_mov_b32_e32 v141, v0
.LBB43_660:                             ; =>This Inner Loop Header: Depth=1
	v_add_u32_e32 v142, -8, v7
	scratch_load_dwordx4 v[142:145], v142, off
	ds_read_b128 v[146:149], v6
	v_add_u32_e32 v141, 1, v141
	v_cmp_lt_u32_e32 vcc, 38, v141
	v_add_u32_e32 v6, 16, v6
	v_add_u32_e32 v7, 16, v7
	s_or_b64 s[8:9], vcc, s[8:9]
	s_waitcnt vmcnt(0) lgkmcnt(0)
	v_mul_f64 v[150:151], v[148:149], v[144:145]
	v_mul_f64 v[144:145], v[146:147], v[144:145]
	v_fma_f64 v[146:147], v[146:147], v[142:143], -v[150:151]
	v_fmac_f64_e32 v[144:145], v[148:149], v[142:143]
	v_add_f64 v[2:3], v[2:3], v[146:147]
	v_add_f64 v[4:5], v[4:5], v[144:145]
	s_andn2_b64 exec, exec, s[8:9]
	s_cbranch_execnz .LBB43_660
; %bb.661:
	s_or_b64 exec, exec, s[8:9]
.LBB43_662:
	s_or_b64 exec, exec, s[6:7]
	v_mov_b32_e32 v6, 0
	ds_read_b128 v[142:145], v6 offset:640
	s_waitcnt lgkmcnt(0)
	v_mul_f64 v[6:7], v[4:5], v[144:145]
	v_mul_f64 v[146:147], v[2:3], v[144:145]
	v_fma_f64 v[144:145], v[2:3], v[142:143], -v[6:7]
	v_fmac_f64_e32 v[146:147], v[4:5], v[142:143]
	scratch_store_dwordx4 off, v[144:147], off offset:640
.LBB43_663:
	s_or_b64 exec, exec, s[2:3]
	scratch_load_dwordx4 v[2:5], v11, off
	v_cmp_gt_u32_e32 vcc, 41, v0
	s_waitcnt vmcnt(0)
	ds_write_b128 v9, v[2:5]
	s_waitcnt lgkmcnt(0)
	; wave barrier
	s_waitcnt lgkmcnt(0)
	s_and_saveexec_b64 s[2:3], vcc
	s_cbranch_execz .LBB43_671
; %bb.664:
	ds_read_b128 v[2:5], v9
	s_and_b64 vcc, exec, s[0:1]
	s_cbranch_vccnz .LBB43_666
; %bb.665:
	scratch_load_dwordx4 v[142:145], v8, off
	s_waitcnt vmcnt(0) lgkmcnt(0)
	v_mul_f64 v[6:7], v[4:5], v[144:145]
	v_mul_f64 v[144:145], v[2:3], v[144:145]
	v_fmac_f64_e32 v[144:145], v[4:5], v[142:143]
	v_fma_f64 v[2:3], v[2:3], v[142:143], -v[6:7]
	v_mov_b64_e32 v[4:5], v[144:145]
.LBB43_666:
	v_cmp_ne_u32_e32 vcc, 40, v0
	s_and_saveexec_b64 s[6:7], vcc
	s_cbranch_execz .LBB43_670
; %bb.667:
	v_mov_b32_e32 v7, 0
	v_add_u32_e32 v6, 0x2d0, v62
	v_add3_u32 v7, v62, v7, 24
	s_mov_b64 s[8:9], 0
	v_mov_b32_e32 v141, v0
.LBB43_668:                             ; =>This Inner Loop Header: Depth=1
	v_add_u32_e32 v142, -8, v7
	scratch_load_dwordx4 v[142:145], v142, off
	ds_read_b128 v[146:149], v6
	v_add_u32_e32 v141, 1, v141
	v_cmp_lt_u32_e32 vcc, 39, v141
	v_add_u32_e32 v6, 16, v6
	v_add_u32_e32 v7, 16, v7
	s_or_b64 s[8:9], vcc, s[8:9]
	s_waitcnt vmcnt(0) lgkmcnt(0)
	v_mul_f64 v[150:151], v[148:149], v[144:145]
	v_mul_f64 v[144:145], v[146:147], v[144:145]
	v_fma_f64 v[146:147], v[146:147], v[142:143], -v[150:151]
	v_fmac_f64_e32 v[144:145], v[148:149], v[142:143]
	v_add_f64 v[2:3], v[2:3], v[146:147]
	v_add_f64 v[4:5], v[4:5], v[144:145]
	s_andn2_b64 exec, exec, s[8:9]
	s_cbranch_execnz .LBB43_668
; %bb.669:
	s_or_b64 exec, exec, s[8:9]
.LBB43_670:
	s_or_b64 exec, exec, s[6:7]
	v_mov_b32_e32 v6, 0
	ds_read_b128 v[142:145], v6 offset:656
	s_waitcnt lgkmcnt(0)
	v_mul_f64 v[6:7], v[4:5], v[144:145]
	v_mul_f64 v[146:147], v[2:3], v[144:145]
	v_fma_f64 v[144:145], v[2:3], v[142:143], -v[6:7]
	v_fmac_f64_e32 v[146:147], v[4:5], v[142:143]
	scratch_store_dwordx4 off, v[144:147], off offset:656
.LBB43_671:
	s_or_b64 exec, exec, s[2:3]
	scratch_load_dwordx4 v[2:5], v10, off
	v_cmp_gt_u32_e64 s[2:3], 42, v0
	s_waitcnt vmcnt(0)
	ds_write_b128 v9, v[2:5]
	s_waitcnt lgkmcnt(0)
	; wave barrier
	s_waitcnt lgkmcnt(0)
	s_and_saveexec_b64 s[6:7], s[2:3]
	s_cbranch_execz .LBB43_679
; %bb.672:
	ds_read_b128 v[2:5], v9
	s_and_b64 vcc, exec, s[0:1]
	s_cbranch_vccnz .LBB43_674
; %bb.673:
	scratch_load_dwordx4 v[142:145], v8, off
	s_waitcnt vmcnt(0) lgkmcnt(0)
	v_mul_f64 v[6:7], v[4:5], v[144:145]
	v_mul_f64 v[144:145], v[2:3], v[144:145]
	v_fmac_f64_e32 v[144:145], v[4:5], v[142:143]
	v_fma_f64 v[2:3], v[2:3], v[142:143], -v[6:7]
	v_mov_b64_e32 v[4:5], v[144:145]
.LBB43_674:
	v_cmp_ne_u32_e32 vcc, 41, v0
	s_and_saveexec_b64 s[8:9], vcc
	s_cbranch_execz .LBB43_678
; %bb.675:
	v_mov_b32_e32 v7, 0
	v_add_u32_e32 v6, 0x2d0, v62
	v_add3_u32 v7, v62, v7, 24
	s_mov_b64 s[10:11], 0
	v_mov_b32_e32 v141, v0
.LBB43_676:                             ; =>This Inner Loop Header: Depth=1
	v_add_u32_e32 v142, -8, v7
	scratch_load_dwordx4 v[142:145], v142, off
	ds_read_b128 v[146:149], v6
	v_add_u32_e32 v141, 1, v141
	v_cmp_lt_u32_e32 vcc, 40, v141
	v_add_u32_e32 v6, 16, v6
	v_add_u32_e32 v7, 16, v7
	s_or_b64 s[10:11], vcc, s[10:11]
	s_waitcnt vmcnt(0) lgkmcnt(0)
	v_mul_f64 v[150:151], v[148:149], v[144:145]
	v_mul_f64 v[144:145], v[146:147], v[144:145]
	v_fma_f64 v[146:147], v[146:147], v[142:143], -v[150:151]
	v_fmac_f64_e32 v[144:145], v[148:149], v[142:143]
	v_add_f64 v[2:3], v[2:3], v[146:147]
	v_add_f64 v[4:5], v[4:5], v[144:145]
	s_andn2_b64 exec, exec, s[10:11]
	s_cbranch_execnz .LBB43_676
; %bb.677:
	s_or_b64 exec, exec, s[10:11]
.LBB43_678:
	s_or_b64 exec, exec, s[8:9]
	v_mov_b32_e32 v6, 0
	ds_read_b128 v[142:145], v6 offset:672
	s_waitcnt lgkmcnt(0)
	v_mul_f64 v[6:7], v[4:5], v[144:145]
	v_mul_f64 v[146:147], v[2:3], v[144:145]
	v_fma_f64 v[144:145], v[2:3], v[142:143], -v[6:7]
	v_fmac_f64_e32 v[146:147], v[4:5], v[142:143]
	scratch_store_dwordx4 off, v[144:147], off offset:672
.LBB43_679:
	s_or_b64 exec, exec, s[6:7]
	scratch_load_dwordx4 v[2:5], v1, off
	v_cmp_ne_u32_e32 vcc, 43, v0
                                        ; implicit-def: $vgpr6_vgpr7
                                        ; implicit-def: $vgpr141
	s_waitcnt vmcnt(0)
	ds_write_b128 v9, v[2:5]
	s_waitcnt lgkmcnt(0)
	; wave barrier
	s_waitcnt lgkmcnt(0)
	s_and_saveexec_b64 s[6:7], vcc
	s_cbranch_execz .LBB43_687
; %bb.680:
	ds_read_b128 v[2:5], v9
	s_and_b64 vcc, exec, s[0:1]
	s_cbranch_vccnz .LBB43_682
; %bb.681:
	scratch_load_dwordx4 v[6:9], v8, off
	s_waitcnt vmcnt(0) lgkmcnt(0)
	v_mul_f64 v[142:143], v[4:5], v[8:9]
	v_mul_f64 v[8:9], v[2:3], v[8:9]
	v_fmac_f64_e32 v[8:9], v[4:5], v[6:7]
	v_fma_f64 v[2:3], v[2:3], v[6:7], -v[142:143]
	v_mov_b64_e32 v[4:5], v[8:9]
.LBB43_682:
	s_and_saveexec_b64 s[0:1], s[2:3]
	s_cbranch_execz .LBB43_686
; %bb.683:
	v_mov_b32_e32 v7, 0
	v_add_u32_e32 v6, 0x2d0, v62
	v_add3_u32 v7, v62, v7, 24
	s_mov_b64 s[2:3], 0
.LBB43_684:                             ; =>This Inner Loop Header: Depth=1
	v_add_u32_e32 v8, -8, v7
	scratch_load_dwordx4 v[142:145], v8, off
	ds_read_b128 v[146:149], v6
	v_add_u32_e32 v0, 1, v0
	v_cmp_lt_u32_e32 vcc, 41, v0
	v_add_u32_e32 v6, 16, v6
	v_add_u32_e32 v7, 16, v7
	s_or_b64 s[2:3], vcc, s[2:3]
	s_waitcnt vmcnt(0) lgkmcnt(0)
	v_mul_f64 v[8:9], v[148:149], v[144:145]
	v_mul_f64 v[144:145], v[146:147], v[144:145]
	v_fma_f64 v[8:9], v[146:147], v[142:143], -v[8:9]
	v_fmac_f64_e32 v[144:145], v[148:149], v[142:143]
	v_add_f64 v[2:3], v[2:3], v[8:9]
	v_add_f64 v[4:5], v[4:5], v[144:145]
	s_andn2_b64 exec, exec, s[2:3]
	s_cbranch_execnz .LBB43_684
; %bb.685:
	s_or_b64 exec, exec, s[2:3]
.LBB43_686:
	s_or_b64 exec, exec, s[0:1]
	v_mov_b32_e32 v0, 0
	ds_read_b128 v[142:145], v0 offset:688
	v_mov_b32_e32 v0, 0
	v_add_u32_e32 v141, 0x2b8, v0
	s_or_b64 s[4:5], s[4:5], exec
	s_waitcnt lgkmcnt(0)
	v_mul_f64 v[8:9], v[4:5], v[144:145]
	v_mul_f64 v[6:7], v[2:3], v[144:145]
	v_fma_f64 v[2:3], v[2:3], v[142:143], -v[8:9]
	v_fmac_f64_e32 v[6:7], v[4:5], v[142:143]
	scratch_store_dwordx2 off, v[2:3], off offset:688
.LBB43_687:
	s_or_b64 exec, exec, s[6:7]
.LBB43_688:
	s_and_saveexec_b64 s[0:1], s[4:5]
	s_cbranch_execz .LBB43_690
; %bb.689:
	scratch_store_dwordx2 v141, v[6:7], off
.LBB43_690:
	s_or_b64 exec, exec, s[0:1]
	scratch_load_dwordx4 v[2:5], off, off
	scratch_load_dwordx4 v[6:9], v140, off
	s_nop 0
	scratch_load_dwordx4 v[140:143], v139, off
	scratch_load_dwordx4 v[144:147], v138, off
	;; [unrolled: 1-line block ×3, first 2 shown]
	s_nop 0
	scratch_load_dwordx4 v[136:139], v136, off
	s_nop 0
	scratch_load_dwordx4 v[152:155], v135, off
	scratch_load_dwordx4 v[156:159], v134, off
	;; [unrolled: 1-line block ×3, first 2 shown]
	s_nop 0
	scratch_load_dwordx4 v[132:135], v132, off
	s_waitcnt vmcnt(9)
	global_store_dwordx4 v[42:43], v[2:5], off
	scratch_load_dwordx4 v[2:5], v131, off
	s_nop 0
	scratch_load_dwordx4 v[164:167], v130, off
	s_waitcnt vmcnt(11)
	global_store_dwordx4 v[44:45], v[6:9], off
	scratch_load_dwordx4 v[6:9], v129, off
	;; [unrolled: 5-line block ×17, first 2 shown]
	s_nop 0
	scratch_load_dwordx4 v[180:183], v1, off
	s_waitcnt vmcnt(39)
	global_store_dwordx4 v[12:13], v[124:127], off
	s_waitcnt vmcnt(38)
	global_store_dwordx4 v[16:17], v[144:147], off
	s_waitcnt vmcnt(38)
	global_store_dwordx4 v[20:21], v[148:151], off
	s_waitcnt vmcnt(37)
	global_store_dwordx4 v[28:29], v[50:53], off
	s_waitcnt vmcnt(37)
	global_store_dwordx4 v[32:33], v[120:123], off
	s_waitcnt vmcnt(36)
	global_store_dwordx4 v[36:37], v[136:139], off
	s_waitcnt vmcnt(36)
	global_store_dwordx4 v[68:69], v[152:155], off
	s_waitcnt vmcnt(35)
	global_store_dwordx4 v[72:73], v[54:57], off
	s_waitcnt vmcnt(35)
	global_store_dwordx4 v[22:23], v[116:119], off
	s_waitcnt vmcnt(34)
	global_store_dwordx4 v[24:25], v[156:159], off
	s_waitcnt vmcnt(34)
	global_store_dwordx4 v[74:75], v[160:163], off
	s_waitcnt vmcnt(33)
	global_store_dwordx4 v[76:77], v[58:61], off
	s_waitcnt vmcnt(33)
	global_store_dwordx4 v[78:79], v[112:115], off
	s_waitcnt vmcnt(32)
	global_store_dwordx4 v[80:81], v[2:5], off
	s_waitcnt vmcnt(32)
	global_store_dwordx4 v[82:83], v[132:135], off
	s_waitcnt vmcnt(31)
	global_store_dwordx4 v[84:85], v[164:167], off
	s_waitcnt vmcnt(31)
	global_store_dwordx4 v[86:87], v[108:111], off
	s_waitcnt vmcnt(30)
	global_store_dwordx4 v[88:89], v[6:9], off
	s_waitcnt vmcnt(30)
	global_store_dwordx4 v[90:91], v[168:171], off
	s_waitcnt vmcnt(29)
	global_store_dwordx4 v[92:93], v[42:45], off
	s_waitcnt vmcnt(29)
	global_store_dwordx4 v[94:95], v[172:175], off
	s_waitcnt vmcnt(28)
	global_store_dwordx4 v[96:97], v[128:131], off
	s_waitcnt vmcnt(28)
	global_store_dwordx4 v[98:99], v[176:179], off
	s_waitcnt vmcnt(27)
	global_store_dwordx4 v[100:101], v[38:41], off
	s_waitcnt vmcnt(27)
	global_store_dwordx4 v[102:103], v[140:143], off
	s_waitcnt vmcnt(26)
	global_store_dwordx4 v[104:105], v[46:49], off
	s_waitcnt vmcnt(26)
	global_store_dwordx4 v[64:65], v[180:183], off
.LBB43_691:
	s_endpgm
	.section	.rodata,"a",@progbits
	.p2align	6, 0x0
	.amdhsa_kernel _ZN9rocsolver6v33100L18trti2_kernel_smallILi44E19rocblas_complex_numIdEPS3_EEv13rocblas_fill_17rocblas_diagonal_T1_iil
		.amdhsa_group_segment_fixed_size 1408
		.amdhsa_private_segment_fixed_size 720
		.amdhsa_kernarg_size 32
		.amdhsa_user_sgpr_count 2
		.amdhsa_user_sgpr_dispatch_ptr 0
		.amdhsa_user_sgpr_queue_ptr 0
		.amdhsa_user_sgpr_kernarg_segment_ptr 1
		.amdhsa_user_sgpr_dispatch_id 0
		.amdhsa_user_sgpr_kernarg_preload_length 0
		.amdhsa_user_sgpr_kernarg_preload_offset 0
		.amdhsa_user_sgpr_private_segment_size 0
		.amdhsa_uses_dynamic_stack 0
		.amdhsa_enable_private_segment 1
		.amdhsa_system_sgpr_workgroup_id_x 1
		.amdhsa_system_sgpr_workgroup_id_y 0
		.amdhsa_system_sgpr_workgroup_id_z 0
		.amdhsa_system_sgpr_workgroup_info 0
		.amdhsa_system_vgpr_workitem_id 0
		.amdhsa_next_free_vgpr 184
		.amdhsa_next_free_sgpr 12
		.amdhsa_accum_offset 184
		.amdhsa_reserve_vcc 1
		.amdhsa_float_round_mode_32 0
		.amdhsa_float_round_mode_16_64 0
		.amdhsa_float_denorm_mode_32 3
		.amdhsa_float_denorm_mode_16_64 3
		.amdhsa_dx10_clamp 1
		.amdhsa_ieee_mode 1
		.amdhsa_fp16_overflow 0
		.amdhsa_tg_split 0
		.amdhsa_exception_fp_ieee_invalid_op 0
		.amdhsa_exception_fp_denorm_src 0
		.amdhsa_exception_fp_ieee_div_zero 0
		.amdhsa_exception_fp_ieee_overflow 0
		.amdhsa_exception_fp_ieee_underflow 0
		.amdhsa_exception_fp_ieee_inexact 0
		.amdhsa_exception_int_div_zero 0
	.end_amdhsa_kernel
	.section	.text._ZN9rocsolver6v33100L18trti2_kernel_smallILi44E19rocblas_complex_numIdEPS3_EEv13rocblas_fill_17rocblas_diagonal_T1_iil,"axG",@progbits,_ZN9rocsolver6v33100L18trti2_kernel_smallILi44E19rocblas_complex_numIdEPS3_EEv13rocblas_fill_17rocblas_diagonal_T1_iil,comdat
.Lfunc_end43:
	.size	_ZN9rocsolver6v33100L18trti2_kernel_smallILi44E19rocblas_complex_numIdEPS3_EEv13rocblas_fill_17rocblas_diagonal_T1_iil, .Lfunc_end43-_ZN9rocsolver6v33100L18trti2_kernel_smallILi44E19rocblas_complex_numIdEPS3_EEv13rocblas_fill_17rocblas_diagonal_T1_iil
                                        ; -- End function
	.section	.AMDGPU.csdata,"",@progbits
; Kernel info:
; codeLenInByte = 29000
; NumSgprs: 18
; NumVgprs: 184
; NumAgprs: 0
; TotalNumVgprs: 184
; ScratchSize: 720
; MemoryBound: 0
; FloatMode: 240
; IeeeMode: 1
; LDSByteSize: 1408 bytes/workgroup (compile time only)
; SGPRBlocks: 2
; VGPRBlocks: 22
; NumSGPRsForWavesPerEU: 18
; NumVGPRsForWavesPerEU: 184
; AccumOffset: 184
; Occupancy: 2
; WaveLimiterHint : 0
; COMPUTE_PGM_RSRC2:SCRATCH_EN: 1
; COMPUTE_PGM_RSRC2:USER_SGPR: 2
; COMPUTE_PGM_RSRC2:TRAP_HANDLER: 0
; COMPUTE_PGM_RSRC2:TGID_X_EN: 1
; COMPUTE_PGM_RSRC2:TGID_Y_EN: 0
; COMPUTE_PGM_RSRC2:TGID_Z_EN: 0
; COMPUTE_PGM_RSRC2:TIDIG_COMP_CNT: 0
; COMPUTE_PGM_RSRC3_GFX90A:ACCUM_OFFSET: 45
; COMPUTE_PGM_RSRC3_GFX90A:TG_SPLIT: 0
	.section	.text._ZN9rocsolver6v33100L18trti2_kernel_smallILi45E19rocblas_complex_numIdEPS3_EEv13rocblas_fill_17rocblas_diagonal_T1_iil,"axG",@progbits,_ZN9rocsolver6v33100L18trti2_kernel_smallILi45E19rocblas_complex_numIdEPS3_EEv13rocblas_fill_17rocblas_diagonal_T1_iil,comdat
	.globl	_ZN9rocsolver6v33100L18trti2_kernel_smallILi45E19rocblas_complex_numIdEPS3_EEv13rocblas_fill_17rocblas_diagonal_T1_iil ; -- Begin function _ZN9rocsolver6v33100L18trti2_kernel_smallILi45E19rocblas_complex_numIdEPS3_EEv13rocblas_fill_17rocblas_diagonal_T1_iil
	.p2align	8
	.type	_ZN9rocsolver6v33100L18trti2_kernel_smallILi45E19rocblas_complex_numIdEPS3_EEv13rocblas_fill_17rocblas_diagonal_T1_iil,@function
_ZN9rocsolver6v33100L18trti2_kernel_smallILi45E19rocblas_complex_numIdEPS3_EEv13rocblas_fill_17rocblas_diagonal_T1_iil: ; @_ZN9rocsolver6v33100L18trti2_kernel_smallILi45E19rocblas_complex_numIdEPS3_EEv13rocblas_fill_17rocblas_diagonal_T1_iil
; %bb.0:
	v_cmp_gt_u32_e32 vcc, 45, v0
	s_and_saveexec_b64 s[4:5], vcc
	s_cbranch_execz .LBB44_707
; %bb.1:
	s_load_dwordx8 s[4:11], s[0:1], 0x0
	s_ashr_i32 s3, s2, 31
	v_lshlrev_b32_e32 v60, 4, v0
	v_mov_b32_e32 v61, 0
	v_mov_b32_e32 v1, 0
	s_waitcnt lgkmcnt(0)
	s_ashr_i32 s1, s8, 31
	s_mov_b32 s0, s8
	s_mul_i32 s8, s2, s11
	s_mul_hi_u32 s11, s2, s10
	s_add_i32 s8, s11, s8
	s_mul_i32 s3, s3, s10
	s_add_i32 s3, s8, s3
	s_mul_i32 s2, s2, s10
	s_lshl_b64 s[2:3], s[2:3], 4
	s_add_u32 s2, s6, s2
	s_addc_u32 s3, s7, s3
	s_lshl_b64 s[0:1], s[0:1], 4
	s_add_u32 s0, s2, s0
	s_addc_u32 s1, s3, s1
	v_lshl_add_u64 v[12:13], s[0:1], 0, v[60:61]
	s_ashr_i32 s3, s9, 31
	s_mov_b32 s2, s9
	global_load_dwordx4 v[2:5], v60, s[0:1]
	v_lshl_add_u64 v[14:15], s[2:3], 4, v[12:13]
	global_load_dwordx4 v[6:9], v[14:15], off
	s_add_i32 s2, s9, s9
	v_add_u32_e32 v10, s2, v0
	v_ashrrev_i32_e32 v11, 31, v10
	v_lshl_add_u64 v[16:17], v[10:11], 4, s[0:1]
	global_load_dwordx4 v[68:71], v[16:17], off
	v_add_u32_e32 v18, s9, v10
	v_add_u32_e32 v10, s9, v18
	v_ashrrev_i32_e32 v11, 31, v10
	v_add_u32_e32 v22, s9, v10
	v_lshl_add_u64 v[20:21], v[10:11], 4, s[0:1]
	v_add_u32_e32 v10, s9, v22
	v_ashrrev_i32_e32 v11, 31, v10
	v_add_u32_e32 v26, s9, v10
	v_lshl_add_u64 v[24:25], v[10:11], 4, s[0:1]
	;; [unrolled: 4-line block ×8, first 2 shown]
	v_add_u32_e32 v10, s9, v52
	v_ashrrev_i32_e32 v53, 31, v52
	v_ashrrev_i32_e32 v11, 31, v10
	v_lshl_add_u64 v[50:51], v[52:53], 4, s[0:1]
	v_lshl_add_u64 v[52:53], v[10:11], 4, s[0:1]
	v_add_u32_e32 v10, s9, v10
	v_ashrrev_i32_e32 v11, 31, v10
	v_lshl_add_u64 v[54:55], v[10:11], 4, s[0:1]
	v_add_u32_e32 v10, s9, v10
	v_ashrrev_i32_e32 v11, 31, v10
	;; [unrolled: 3-line block ×5, first 2 shown]
	v_ashrrev_i32_e32 v23, 31, v22
	v_ashrrev_i32_e32 v27, 31, v26
	;; [unrolled: 1-line block ×8, first 2 shown]
	v_lshl_add_u64 v[18:19], v[18:19], 4, s[0:1]
	v_lshl_add_u64 v[22:23], v[22:23], 4, s[0:1]
	;; [unrolled: 1-line block ×9, first 2 shown]
	v_add_u32_e32 v10, s9, v10
	global_load_dwordx4 v[72:75], v[18:19], off
	global_load_dwordx4 v[76:79], v[20:21], off
	;; [unrolled: 1-line block ×16, first 2 shown]
	s_waitcnt vmcnt(18)
	scratch_store_dwordx4 off, v[2:5], off
	s_waitcnt vmcnt(18)
	scratch_store_dwordx4 off, v[6:9], off offset:16
	v_ashrrev_i32_e32 v11, 31, v10
	global_load_dwordx4 v[2:5], v[50:51], off
	global_load_dwordx4 v[6:9], v[52:53], off
	;; [unrolled: 1-line block ×6, first 2 shown]
	v_lshl_add_u64 v[66:67], v[10:11], 4, s[0:1]
	global_load_dwordx4 v[152:155], v[64:65], off
	global_load_dwordx4 v[156:159], v[66:67], off
	v_add_u32_e32 v10, s9, v10
	v_ashrrev_i32_e32 v11, 31, v10
	s_waitcnt vmcnt(26)
	scratch_store_dwordx4 off, v[68:71], off offset:32
	s_cmpk_lg_i32 s5, 0x84
	s_cselect_b64 s[6:7], -1, 0
	v_lshl_add_u64 v[68:69], v[10:11], 4, s[0:1]
	global_load_dwordx4 v[160:163], v[68:69], off
	s_cmpk_eq_i32 s5, 0x84
	s_waitcnt vmcnt(27)
	scratch_store_dwordx4 off, v[72:75], off offset:48
	s_waitcnt vmcnt(27)
	scratch_store_dwordx4 off, v[76:79], off offset:64
	;; [unrolled: 2-line block ×24, first 2 shown]
	v_add_u32_e32 v6, s9, v10
	v_ashrrev_i32_e32 v7, 31, v6
	v_lshl_add_u64 v[70:71], v[6:7], 4, s[0:1]
	v_add_u32_e32 v6, s9, v6
	v_add_u32_e32 v10, s9, v6
	v_ashrrev_i32_e32 v11, 31, v10
	v_lshl_add_u64 v[74:75], v[10:11], 4, s[0:1]
	v_add_u32_e32 v10, s9, v10
	v_ashrrev_i32_e32 v11, 31, v10
	v_lshl_add_u64 v[76:77], v[10:11], 4, s[0:1]
	;; [unrolled: 3-line block ×13, first 2 shown]
	v_add_u32_e32 v10, s9, v10
	v_ashrrev_i32_e32 v11, 31, v10
	v_ashrrev_i32_e32 v7, 31, v6
	v_lshl_add_u64 v[100:101], v[10:11], 4, s[0:1]
	v_add_u32_e32 v10, s9, v10
	s_waitcnt vmcnt(24)
	scratch_store_dwordx4 off, v[160:163], off offset:432
	v_lshl_add_u64 v[72:73], v[6:7], 4, s[0:1]
	v_ashrrev_i32_e32 v11, 31, v10
	global_load_dwordx4 v[2:5], v[70:71], off
	global_load_dwordx4 v[6:9], v[72:73], off
	;; [unrolled: 1-line block ×15, first 2 shown]
	v_lshl_add_u64 v[102:103], v[10:11], 4, s[0:1]
	global_load_dwordx4 v[156:159], v[100:101], off
	global_load_dwordx4 v[160:163], v[102:103], off
	s_waitcnt vmcnt(16)
	scratch_store_dwordx4 off, v[2:5], off offset:448
	s_waitcnt vmcnt(16)
	scratch_store_dwordx4 off, v[6:9], off offset:464
	;; [unrolled: 2-line block ×17, first 2 shown]
	s_cbranch_scc1 .LBB44_7
; %bb.2:
	scratch_load_dwordx4 v[8:11], v60, off
                                        ; implicit-def: $vgpr6_vgpr7
	s_waitcnt vmcnt(0)
	v_xor_b32_e32 v3, 0x80000000, v9
	v_cmp_gt_f64_e32 vcc, 0, v[8:9]
	v_xor_b32_e32 v4, 0x80000000, v11
	v_mov_b32_e32 v2, v8
	v_cndmask_b32_e32 v3, v9, v3, vcc
	v_cmp_gt_f64_e32 vcc, 0, v[10:11]
	s_nop 1
	v_cndmask_b32_e32 v5, v11, v4, vcc
	v_mov_b32_e32 v4, v10
	v_cmp_ngt_f64_e32 vcc, v[2:3], v[4:5]
                                        ; implicit-def: $vgpr2_vgpr3
	s_and_saveexec_b64 s[0:1], vcc
	s_xor_b64 s[0:1], exec, s[0:1]
	s_cbranch_execz .LBB44_4
; %bb.3:
	v_div_scale_f64 v[2:3], s[2:3], v[10:11], v[10:11], v[8:9]
	v_rcp_f64_e32 v[4:5], v[2:3]
	v_div_scale_f64 v[6:7], vcc, v[8:9], v[10:11], v[8:9]
	v_fma_f64 v[104:105], -v[2:3], v[4:5], 1.0
	v_fmac_f64_e32 v[4:5], v[4:5], v[104:105]
	v_fma_f64 v[104:105], -v[2:3], v[4:5], 1.0
	v_fmac_f64_e32 v[4:5], v[4:5], v[104:105]
	v_mul_f64 v[104:105], v[6:7], v[4:5]
	v_fma_f64 v[2:3], -v[2:3], v[104:105], v[6:7]
	v_div_fmas_f64 v[2:3], v[2:3], v[4:5], v[104:105]
	v_div_fixup_f64 v[2:3], v[2:3], v[10:11], v[8:9]
	v_fmac_f64_e32 v[10:11], v[8:9], v[2:3]
	v_div_scale_f64 v[4:5], s[2:3], v[10:11], v[10:11], 1.0
	v_rcp_f64_e32 v[6:7], v[4:5]
	s_nop 0
	v_fma_f64 v[8:9], -v[4:5], v[6:7], 1.0
	v_fmac_f64_e32 v[6:7], v[6:7], v[8:9]
	v_fma_f64 v[8:9], -v[4:5], v[6:7], 1.0
	v_fmac_f64_e32 v[6:7], v[6:7], v[8:9]
	v_div_scale_f64 v[8:9], vcc, 1.0, v[10:11], 1.0
	v_mul_f64 v[104:105], v[8:9], v[6:7]
	v_fma_f64 v[4:5], -v[4:5], v[104:105], v[8:9]
                                        ; implicit-def: $vgpr8_vgpr9
	s_nop 1
	v_div_fmas_f64 v[4:5], v[4:5], v[6:7], v[104:105]
	v_div_fixup_f64 v[4:5], v[4:5], v[10:11], 1.0
	v_mul_f64 v[2:3], v[2:3], v[4:5]
	v_xor_b32_e32 v5, 0x80000000, v5
	v_xor_b32_e32 v7, 0x80000000, v3
	v_mov_b32_e32 v6, v2
.LBB44_4:
	s_or_saveexec_b64 s[0:1], s[0:1]
	v_add_u32_e32 v61, 0, v60
	s_xor_b64 exec, exec, s[0:1]
	s_cbranch_execz .LBB44_6
; %bb.5:
	v_div_scale_f64 v[2:3], s[2:3], v[8:9], v[8:9], v[10:11]
	v_rcp_f64_e32 v[4:5], v[2:3]
	v_div_scale_f64 v[6:7], vcc, v[10:11], v[8:9], v[10:11]
	v_fma_f64 v[104:105], -v[2:3], v[4:5], 1.0
	v_fmac_f64_e32 v[4:5], v[4:5], v[104:105]
	v_fma_f64 v[104:105], -v[2:3], v[4:5], 1.0
	v_fmac_f64_e32 v[4:5], v[4:5], v[104:105]
	v_mul_f64 v[104:105], v[6:7], v[4:5]
	v_fma_f64 v[2:3], -v[2:3], v[104:105], v[6:7]
	v_div_fmas_f64 v[2:3], v[2:3], v[4:5], v[104:105]
	v_div_fixup_f64 v[4:5], v[2:3], v[8:9], v[10:11]
	v_fmac_f64_e32 v[8:9], v[10:11], v[4:5]
	v_div_scale_f64 v[2:3], s[2:3], v[8:9], v[8:9], 1.0
	v_rcp_f64_e32 v[6:7], v[2:3]
	s_nop 0
	v_fma_f64 v[10:11], -v[2:3], v[6:7], 1.0
	v_fmac_f64_e32 v[6:7], v[6:7], v[10:11]
	v_fma_f64 v[10:11], -v[2:3], v[6:7], 1.0
	v_fmac_f64_e32 v[6:7], v[6:7], v[10:11]
	v_div_scale_f64 v[10:11], vcc, 1.0, v[8:9], 1.0
	v_mul_f64 v[104:105], v[10:11], v[6:7]
	v_fma_f64 v[2:3], -v[2:3], v[104:105], v[10:11]
	s_nop 1
	v_div_fmas_f64 v[2:3], v[2:3], v[6:7], v[104:105]
	v_div_fixup_f64 v[2:3], v[2:3], v[8:9], 1.0
	v_xor_b32_e32 v7, 0x80000000, v3
	v_mov_b32_e32 v6, v2
	v_mul_f64 v[4:5], v[4:5], -v[2:3]
.LBB44_6:
	s_or_b64 exec, exec, s[0:1]
	scratch_store_dwordx4 v61, v[2:5], off
	s_nop 1
	v_xor_b32_e32 v5, 0x80000000, v5
	s_branch .LBB44_8
.LBB44_7:
	v_mov_b64_e32 v[4:5], 0
	v_mov_b64_e32 v[6:7], -1.0
.LBB44_8:
	v_mov_b32_e32 v8, v4
	v_mov_b32_e32 v9, v5
	v_add_u32_e32 v143, 16, v1
	v_add_u32_e32 v142, 32, v1
	;; [unrolled: 1-line block ×44, first 2 shown]
	ds_write_b128 v60, v[6:9]
	s_cmpk_eq_i32 s4, 0x79
	v_add_u32_e32 v9, 0x2d0, v60
	v_add_u32_e32 v8, 0, v60
	s_cbranch_scc1 .LBB44_356
; %bb.9:
	scratch_load_dwordx4 v[2:5], v10, off
	v_cmp_eq_u32_e64 s[0:1], 44, v0
	s_waitcnt vmcnt(0)
	ds_write_b128 v9, v[2:5]
	s_waitcnt lgkmcnt(0)
	; wave barrier
	s_waitcnt lgkmcnt(0)
	s_and_saveexec_b64 s[2:3], s[0:1]
	s_cbranch_execz .LBB44_13
; %bb.10:
	ds_read_b128 v[2:5], v9
	s_andn2_b64 vcc, exec, s[6:7]
	s_cbranch_vccnz .LBB44_12
; %bb.11:
	scratch_load_dwordx4 v[144:147], v8, off
	s_waitcnt vmcnt(0) lgkmcnt(0)
	v_mul_f64 v[6:7], v[4:5], v[146:147]
	v_mul_f64 v[146:147], v[2:3], v[146:147]
	v_fmac_f64_e32 v[146:147], v[4:5], v[144:145]
	v_fma_f64 v[2:3], v[2:3], v[144:145], -v[6:7]
	v_mov_b64_e32 v[4:5], v[146:147]
.LBB44_12:
	v_mov_b32_e32 v6, 0
	ds_read_b128 v[144:147], v6 offset:688
	s_waitcnt lgkmcnt(0)
	v_mul_f64 v[6:7], v[4:5], v[146:147]
	v_mul_f64 v[148:149], v[2:3], v[146:147]
	v_fma_f64 v[146:147], v[2:3], v[144:145], -v[6:7]
	v_fmac_f64_e32 v[148:149], v[4:5], v[144:145]
	scratch_store_dwordx4 off, v[146:149], off offset:688
.LBB44_13:
	s_or_b64 exec, exec, s[2:3]
	scratch_load_dwordx4 v[2:5], v11, off
	v_cmp_lt_u32_e64 s[2:3], 42, v0
	s_waitcnt vmcnt(0)
	ds_write_b128 v9, v[2:5]
	s_waitcnt lgkmcnt(0)
	; wave barrier
	s_waitcnt lgkmcnt(0)
	s_and_saveexec_b64 s[4:5], s[2:3]
	s_cbranch_execz .LBB44_19
; %bb.14:
	ds_read_b128 v[2:5], v9
	s_andn2_b64 vcc, exec, s[6:7]
	s_cbranch_vccnz .LBB44_16
; %bb.15:
	scratch_load_dwordx4 v[144:147], v8, off
	s_waitcnt vmcnt(0) lgkmcnt(0)
	v_mul_f64 v[6:7], v[4:5], v[146:147]
	v_mul_f64 v[146:147], v[2:3], v[146:147]
	v_fmac_f64_e32 v[146:147], v[4:5], v[144:145]
	v_fma_f64 v[2:3], v[2:3], v[144:145], -v[6:7]
	v_mov_b64_e32 v[4:5], v[146:147]
.LBB44_16:
	s_and_saveexec_b64 s[8:9], s[0:1]
	s_cbranch_execz .LBB44_18
; %bb.17:
	scratch_load_dwordx4 v[144:147], off, off offset:688
	v_mov_b32_e32 v6, 0
	ds_read_b128 v[148:151], v6 offset:1408
	s_waitcnt vmcnt(0) lgkmcnt(0)
	v_mul_f64 v[6:7], v[148:149], v[146:147]
	v_mul_f64 v[146:147], v[150:151], v[146:147]
	v_fmac_f64_e32 v[6:7], v[150:151], v[144:145]
	v_fma_f64 v[144:145], v[148:149], v[144:145], -v[146:147]
	v_add_f64 v[4:5], v[4:5], v[6:7]
	v_add_f64 v[2:3], v[2:3], v[144:145]
.LBB44_18:
	s_or_b64 exec, exec, s[8:9]
	v_mov_b32_e32 v6, 0
	ds_read_b128 v[144:147], v6 offset:672
	s_waitcnt lgkmcnt(0)
	v_mul_f64 v[6:7], v[4:5], v[146:147]
	v_mul_f64 v[148:149], v[2:3], v[146:147]
	v_fma_f64 v[146:147], v[2:3], v[144:145], -v[6:7]
	v_fmac_f64_e32 v[148:149], v[4:5], v[144:145]
	scratch_store_dwordx4 off, v[146:149], off offset:672
.LBB44_19:
	s_or_b64 exec, exec, s[4:5]
	scratch_load_dwordx4 v[2:5], v61, off
	v_cmp_lt_u32_e64 s[0:1], 41, v0
	s_waitcnt vmcnt(0)
	ds_write_b128 v9, v[2:5]
	s_waitcnt lgkmcnt(0)
	; wave barrier
	s_waitcnt lgkmcnt(0)
	s_and_saveexec_b64 s[4:5], s[0:1]
	s_cbranch_execz .LBB44_27
; %bb.20:
	ds_read_b128 v[2:5], v9
	s_andn2_b64 vcc, exec, s[6:7]
	s_cbranch_vccnz .LBB44_22
; %bb.21:
	scratch_load_dwordx4 v[144:147], v8, off
	s_waitcnt vmcnt(0) lgkmcnt(0)
	v_mul_f64 v[6:7], v[4:5], v[146:147]
	v_mul_f64 v[146:147], v[2:3], v[146:147]
	v_fmac_f64_e32 v[146:147], v[4:5], v[144:145]
	v_fma_f64 v[2:3], v[2:3], v[144:145], -v[6:7]
	v_mov_b64_e32 v[4:5], v[146:147]
.LBB44_22:
	s_and_saveexec_b64 s[8:9], s[2:3]
	s_cbranch_execz .LBB44_26
; %bb.23:
	v_mov_b32_e32 v7, 0
	v_subrev_u32_e32 v6, 42, v0
	v_add_u32_e32 v7, 0x2a8, v7
	s_movk_i32 s10, 0x570
	s_mov_b64 s[2:3], 0
.LBB44_24:                              ; =>This Inner Loop Header: Depth=1
	v_add_u32_e32 v144, -8, v7
	scratch_load_dwordx4 v[144:147], v144, off
	v_mov_b32_e32 v148, s10
	ds_read_b128 v[148:151], v148
	v_add_u32_e32 v6, -1, v6
	s_add_i32 s10, s10, 16
	v_cmp_eq_u32_e32 vcc, 0, v6
	v_add_u32_e32 v7, 16, v7
	s_or_b64 s[2:3], vcc, s[2:3]
	s_waitcnt vmcnt(0) lgkmcnt(0)
	v_mul_f64 v[152:153], v[150:151], v[146:147]
	v_mul_f64 v[146:147], v[148:149], v[146:147]
	v_fma_f64 v[148:149], v[148:149], v[144:145], -v[152:153]
	v_fmac_f64_e32 v[146:147], v[150:151], v[144:145]
	v_add_f64 v[2:3], v[2:3], v[148:149]
	v_add_f64 v[4:5], v[4:5], v[146:147]
	s_andn2_b64 exec, exec, s[2:3]
	s_cbranch_execnz .LBB44_24
; %bb.25:
	s_or_b64 exec, exec, s[2:3]
.LBB44_26:
	s_or_b64 exec, exec, s[8:9]
	v_mov_b32_e32 v6, 0
	ds_read_b128 v[144:147], v6 offset:656
	s_waitcnt lgkmcnt(0)
	v_mul_f64 v[6:7], v[4:5], v[146:147]
	v_mul_f64 v[148:149], v[2:3], v[146:147]
	v_fma_f64 v[146:147], v[2:3], v[144:145], -v[6:7]
	v_fmac_f64_e32 v[148:149], v[4:5], v[144:145]
	scratch_store_dwordx4 off, v[146:149], off offset:656
.LBB44_27:
	s_or_b64 exec, exec, s[4:5]
	scratch_load_dwordx4 v[2:5], v104, off
	v_cmp_lt_u32_e64 s[2:3], 40, v0
	s_waitcnt vmcnt(0)
	ds_write_b128 v9, v[2:5]
	s_waitcnt lgkmcnt(0)
	; wave barrier
	s_waitcnt lgkmcnt(0)
	s_and_saveexec_b64 s[4:5], s[2:3]
	s_cbranch_execz .LBB44_35
; %bb.28:
	ds_read_b128 v[2:5], v9
	s_andn2_b64 vcc, exec, s[6:7]
	s_cbranch_vccnz .LBB44_30
; %bb.29:
	scratch_load_dwordx4 v[144:147], v8, off
	s_waitcnt vmcnt(0) lgkmcnt(0)
	v_mul_f64 v[6:7], v[4:5], v[146:147]
	v_mul_f64 v[146:147], v[2:3], v[146:147]
	v_fmac_f64_e32 v[146:147], v[4:5], v[144:145]
	v_fma_f64 v[2:3], v[2:3], v[144:145], -v[6:7]
	v_mov_b64_e32 v[4:5], v[146:147]
.LBB44_30:
	s_and_saveexec_b64 s[8:9], s[0:1]
	s_cbranch_execz .LBB44_34
; %bb.31:
	v_mov_b32_e32 v7, 0
	v_subrev_u32_e32 v6, 41, v0
	v_add_u32_e32 v7, 0x298, v7
	s_movk_i32 s10, 0x560
	s_mov_b64 s[0:1], 0
.LBB44_32:                              ; =>This Inner Loop Header: Depth=1
	v_add_u32_e32 v144, -8, v7
	scratch_load_dwordx4 v[144:147], v144, off
	v_mov_b32_e32 v148, s10
	ds_read_b128 v[148:151], v148
	v_add_u32_e32 v6, -1, v6
	s_add_i32 s10, s10, 16
	v_cmp_eq_u32_e32 vcc, 0, v6
	v_add_u32_e32 v7, 16, v7
	s_or_b64 s[0:1], vcc, s[0:1]
	s_waitcnt vmcnt(0) lgkmcnt(0)
	v_mul_f64 v[152:153], v[150:151], v[146:147]
	v_mul_f64 v[146:147], v[148:149], v[146:147]
	v_fma_f64 v[148:149], v[148:149], v[144:145], -v[152:153]
	v_fmac_f64_e32 v[146:147], v[150:151], v[144:145]
	v_add_f64 v[2:3], v[2:3], v[148:149]
	v_add_f64 v[4:5], v[4:5], v[146:147]
	s_andn2_b64 exec, exec, s[0:1]
	s_cbranch_execnz .LBB44_32
; %bb.33:
	s_or_b64 exec, exec, s[0:1]
.LBB44_34:
	s_or_b64 exec, exec, s[8:9]
	v_mov_b32_e32 v6, 0
	ds_read_b128 v[144:147], v6 offset:640
	s_waitcnt lgkmcnt(0)
	v_mul_f64 v[6:7], v[4:5], v[146:147]
	v_mul_f64 v[148:149], v[2:3], v[146:147]
	v_fma_f64 v[146:147], v[2:3], v[144:145], -v[6:7]
	v_fmac_f64_e32 v[148:149], v[4:5], v[144:145]
	scratch_store_dwordx4 off, v[146:149], off offset:640
.LBB44_35:
	;; [unrolled: 63-line block ×10, first 2 shown]
	s_or_b64 exec, exec, s[4:5]
	scratch_load_dwordx4 v[2:5], v113, off
	v_cmp_lt_u32_e64 s[0:1], 31, v0
	s_waitcnt vmcnt(0)
	ds_write_b128 v9, v[2:5]
	s_waitcnt lgkmcnt(0)
	; wave barrier
	s_waitcnt lgkmcnt(0)
	s_and_saveexec_b64 s[4:5], s[0:1]
	s_cbranch_execz .LBB44_107
; %bb.100:
	ds_read_b128 v[2:5], v9
	s_andn2_b64 vcc, exec, s[6:7]
	s_cbranch_vccnz .LBB44_102
; %bb.101:
	scratch_load_dwordx4 v[144:147], v8, off
	s_waitcnt vmcnt(0) lgkmcnt(0)
	v_mul_f64 v[6:7], v[4:5], v[146:147]
	v_mul_f64 v[146:147], v[2:3], v[146:147]
	v_fmac_f64_e32 v[146:147], v[4:5], v[144:145]
	v_fma_f64 v[2:3], v[2:3], v[144:145], -v[6:7]
	v_mov_b64_e32 v[4:5], v[146:147]
.LBB44_102:
	s_and_saveexec_b64 s[8:9], s[2:3]
	s_cbranch_execz .LBB44_106
; %bb.103:
	v_mov_b32_e32 v7, 0
	v_subrev_u32_e32 v6, 32, v0
	v_add_u32_e32 v7, 0x208, v7
	s_movk_i32 s10, 0x4d0
	s_mov_b64 s[2:3], 0
.LBB44_104:                             ; =>This Inner Loop Header: Depth=1
	v_add_u32_e32 v144, -8, v7
	scratch_load_dwordx4 v[144:147], v144, off
	v_mov_b32_e32 v148, s10
	ds_read_b128 v[148:151], v148
	v_add_u32_e32 v6, -1, v6
	s_add_i32 s10, s10, 16
	v_cmp_eq_u32_e32 vcc, 0, v6
	v_add_u32_e32 v7, 16, v7
	s_or_b64 s[2:3], vcc, s[2:3]
	s_waitcnt vmcnt(0) lgkmcnt(0)
	v_mul_f64 v[152:153], v[150:151], v[146:147]
	v_mul_f64 v[146:147], v[148:149], v[146:147]
	v_fma_f64 v[148:149], v[148:149], v[144:145], -v[152:153]
	v_fmac_f64_e32 v[146:147], v[150:151], v[144:145]
	v_add_f64 v[2:3], v[2:3], v[148:149]
	v_add_f64 v[4:5], v[4:5], v[146:147]
	s_andn2_b64 exec, exec, s[2:3]
	s_cbranch_execnz .LBB44_104
; %bb.105:
	s_or_b64 exec, exec, s[2:3]
.LBB44_106:
	s_or_b64 exec, exec, s[8:9]
	v_mov_b32_e32 v6, 0
	ds_read_b128 v[144:147], v6 offset:496
	s_waitcnt lgkmcnt(0)
	v_mul_f64 v[6:7], v[4:5], v[146:147]
	v_mul_f64 v[148:149], v[2:3], v[146:147]
	v_fma_f64 v[146:147], v[2:3], v[144:145], -v[6:7]
	v_fmac_f64_e32 v[148:149], v[4:5], v[144:145]
	scratch_store_dwordx4 off, v[146:149], off offset:496
.LBB44_107:
	s_or_b64 exec, exec, s[4:5]
	scratch_load_dwordx4 v[2:5], v114, off
	v_cmp_lt_u32_e64 s[2:3], 30, v0
	s_waitcnt vmcnt(0)
	ds_write_b128 v9, v[2:5]
	s_waitcnt lgkmcnt(0)
	; wave barrier
	s_waitcnt lgkmcnt(0)
	s_and_saveexec_b64 s[4:5], s[2:3]
	s_cbranch_execz .LBB44_115
; %bb.108:
	ds_read_b128 v[2:5], v9
	s_andn2_b64 vcc, exec, s[6:7]
	s_cbranch_vccnz .LBB44_110
; %bb.109:
	scratch_load_dwordx4 v[144:147], v8, off
	s_waitcnt vmcnt(0) lgkmcnt(0)
	v_mul_f64 v[6:7], v[4:5], v[146:147]
	v_mul_f64 v[146:147], v[2:3], v[146:147]
	v_fmac_f64_e32 v[146:147], v[4:5], v[144:145]
	v_fma_f64 v[2:3], v[2:3], v[144:145], -v[6:7]
	v_mov_b64_e32 v[4:5], v[146:147]
.LBB44_110:
	s_and_saveexec_b64 s[8:9], s[0:1]
	s_cbranch_execz .LBB44_114
; %bb.111:
	v_mov_b32_e32 v7, 0
	v_subrev_u32_e32 v6, 31, v0
	v_add_u32_e32 v7, 0x1f8, v7
	s_movk_i32 s10, 0x4c0
	s_mov_b64 s[0:1], 0
.LBB44_112:                             ; =>This Inner Loop Header: Depth=1
	v_add_u32_e32 v144, -8, v7
	scratch_load_dwordx4 v[144:147], v144, off
	v_mov_b32_e32 v148, s10
	ds_read_b128 v[148:151], v148
	v_add_u32_e32 v6, -1, v6
	s_add_i32 s10, s10, 16
	v_cmp_eq_u32_e32 vcc, 0, v6
	v_add_u32_e32 v7, 16, v7
	s_or_b64 s[0:1], vcc, s[0:1]
	s_waitcnt vmcnt(0) lgkmcnt(0)
	v_mul_f64 v[152:153], v[150:151], v[146:147]
	v_mul_f64 v[146:147], v[148:149], v[146:147]
	v_fma_f64 v[148:149], v[148:149], v[144:145], -v[152:153]
	v_fmac_f64_e32 v[146:147], v[150:151], v[144:145]
	v_add_f64 v[2:3], v[2:3], v[148:149]
	v_add_f64 v[4:5], v[4:5], v[146:147]
	s_andn2_b64 exec, exec, s[0:1]
	s_cbranch_execnz .LBB44_112
; %bb.113:
	s_or_b64 exec, exec, s[0:1]
.LBB44_114:
	s_or_b64 exec, exec, s[8:9]
	v_mov_b32_e32 v6, 0
	ds_read_b128 v[144:147], v6 offset:480
	s_waitcnt lgkmcnt(0)
	v_mul_f64 v[6:7], v[4:5], v[146:147]
	v_mul_f64 v[148:149], v[2:3], v[146:147]
	v_fma_f64 v[146:147], v[2:3], v[144:145], -v[6:7]
	v_fmac_f64_e32 v[148:149], v[4:5], v[144:145]
	scratch_store_dwordx4 off, v[146:149], off offset:480
.LBB44_115:
	;; [unrolled: 63-line block ×16, first 2 shown]
	s_or_b64 exec, exec, s[4:5]
	scratch_load_dwordx4 v[2:5], v129, off
	v_cmp_lt_u32_e64 s[0:1], 15, v0
	s_waitcnt vmcnt(0)
	ds_write_b128 v9, v[2:5]
	s_waitcnt lgkmcnt(0)
	; wave barrier
	s_waitcnt lgkmcnt(0)
	s_and_saveexec_b64 s[4:5], s[0:1]
	s_cbranch_execz .LBB44_235
; %bb.228:
	ds_read_b128 v[2:5], v9
	s_andn2_b64 vcc, exec, s[6:7]
	s_cbranch_vccnz .LBB44_230
; %bb.229:
	scratch_load_dwordx4 v[144:147], v8, off
	s_waitcnt vmcnt(0) lgkmcnt(0)
	v_mul_f64 v[6:7], v[4:5], v[146:147]
	v_mul_f64 v[146:147], v[2:3], v[146:147]
	v_fmac_f64_e32 v[146:147], v[4:5], v[144:145]
	v_fma_f64 v[2:3], v[2:3], v[144:145], -v[6:7]
	v_mov_b64_e32 v[4:5], v[146:147]
.LBB44_230:
	s_and_saveexec_b64 s[8:9], s[2:3]
	s_cbranch_execz .LBB44_234
; %bb.231:
	v_mov_b32_e32 v7, 0
	v_add_u32_e32 v6, -16, v0
	v_add_u32_e32 v7, 0x108, v7
	s_movk_i32 s10, 0x3d0
	s_mov_b64 s[2:3], 0
.LBB44_232:                             ; =>This Inner Loop Header: Depth=1
	v_add_u32_e32 v144, -8, v7
	scratch_load_dwordx4 v[144:147], v144, off
	v_mov_b32_e32 v148, s10
	ds_read_b128 v[148:151], v148
	v_add_u32_e32 v6, -1, v6
	s_add_i32 s10, s10, 16
	v_cmp_eq_u32_e32 vcc, 0, v6
	v_add_u32_e32 v7, 16, v7
	s_or_b64 s[2:3], vcc, s[2:3]
	s_waitcnt vmcnt(0) lgkmcnt(0)
	v_mul_f64 v[152:153], v[150:151], v[146:147]
	v_mul_f64 v[146:147], v[148:149], v[146:147]
	v_fma_f64 v[148:149], v[148:149], v[144:145], -v[152:153]
	v_fmac_f64_e32 v[146:147], v[150:151], v[144:145]
	v_add_f64 v[2:3], v[2:3], v[148:149]
	v_add_f64 v[4:5], v[4:5], v[146:147]
	s_andn2_b64 exec, exec, s[2:3]
	s_cbranch_execnz .LBB44_232
; %bb.233:
	s_or_b64 exec, exec, s[2:3]
.LBB44_234:
	s_or_b64 exec, exec, s[8:9]
	v_mov_b32_e32 v6, 0
	ds_read_b128 v[144:147], v6 offset:240
	s_waitcnt lgkmcnt(0)
	v_mul_f64 v[6:7], v[4:5], v[146:147]
	v_mul_f64 v[148:149], v[2:3], v[146:147]
	v_fma_f64 v[146:147], v[2:3], v[144:145], -v[6:7]
	v_fmac_f64_e32 v[148:149], v[4:5], v[144:145]
	scratch_store_dwordx4 off, v[146:149], off offset:240
.LBB44_235:
	s_or_b64 exec, exec, s[4:5]
	scratch_load_dwordx4 v[2:5], v130, off
	v_cmp_lt_u32_e64 s[2:3], 14, v0
	s_waitcnt vmcnt(0)
	ds_write_b128 v9, v[2:5]
	s_waitcnt lgkmcnt(0)
	; wave barrier
	s_waitcnt lgkmcnt(0)
	s_and_saveexec_b64 s[4:5], s[2:3]
	s_cbranch_execz .LBB44_243
; %bb.236:
	ds_read_b128 v[2:5], v9
	s_andn2_b64 vcc, exec, s[6:7]
	s_cbranch_vccnz .LBB44_238
; %bb.237:
	scratch_load_dwordx4 v[144:147], v8, off
	s_waitcnt vmcnt(0) lgkmcnt(0)
	v_mul_f64 v[6:7], v[4:5], v[146:147]
	v_mul_f64 v[146:147], v[2:3], v[146:147]
	v_fmac_f64_e32 v[146:147], v[4:5], v[144:145]
	v_fma_f64 v[2:3], v[2:3], v[144:145], -v[6:7]
	v_mov_b64_e32 v[4:5], v[146:147]
.LBB44_238:
	s_and_saveexec_b64 s[8:9], s[0:1]
	s_cbranch_execz .LBB44_242
; %bb.239:
	v_mov_b32_e32 v7, 0
	v_add_u32_e32 v6, -15, v0
	v_add_u32_e32 v7, 0xf8, v7
	s_movk_i32 s10, 0x3c0
	s_mov_b64 s[0:1], 0
.LBB44_240:                             ; =>This Inner Loop Header: Depth=1
	v_add_u32_e32 v144, -8, v7
	scratch_load_dwordx4 v[144:147], v144, off
	v_mov_b32_e32 v148, s10
	ds_read_b128 v[148:151], v148
	v_add_u32_e32 v6, -1, v6
	s_add_i32 s10, s10, 16
	v_cmp_eq_u32_e32 vcc, 0, v6
	v_add_u32_e32 v7, 16, v7
	s_or_b64 s[0:1], vcc, s[0:1]
	s_waitcnt vmcnt(0) lgkmcnt(0)
	v_mul_f64 v[152:153], v[150:151], v[146:147]
	v_mul_f64 v[146:147], v[148:149], v[146:147]
	v_fma_f64 v[148:149], v[148:149], v[144:145], -v[152:153]
	v_fmac_f64_e32 v[146:147], v[150:151], v[144:145]
	v_add_f64 v[2:3], v[2:3], v[148:149]
	v_add_f64 v[4:5], v[4:5], v[146:147]
	s_andn2_b64 exec, exec, s[0:1]
	s_cbranch_execnz .LBB44_240
; %bb.241:
	s_or_b64 exec, exec, s[0:1]
.LBB44_242:
	s_or_b64 exec, exec, s[8:9]
	v_mov_b32_e32 v6, 0
	ds_read_b128 v[144:147], v6 offset:224
	s_waitcnt lgkmcnt(0)
	v_mul_f64 v[6:7], v[4:5], v[146:147]
	v_mul_f64 v[148:149], v[2:3], v[146:147]
	v_fma_f64 v[146:147], v[2:3], v[144:145], -v[6:7]
	v_fmac_f64_e32 v[148:149], v[4:5], v[144:145]
	scratch_store_dwordx4 off, v[146:149], off offset:224
.LBB44_243:
	;; [unrolled: 63-line block ×15, first 2 shown]
	s_or_b64 exec, exec, s[4:5]
	scratch_load_dwordx4 v[2:5], off, off
	v_cmp_ne_u32_e32 vcc, 0, v0
	s_mov_b64 s[2:3], 0
	s_mov_b64 s[4:5], 0
                                        ; implicit-def: $vgpr6_vgpr7
                                        ; implicit-def: $vgpr144
	s_waitcnt vmcnt(0)
	ds_write_b128 v9, v[2:5]
	s_waitcnt lgkmcnt(0)
	; wave barrier
	s_waitcnt lgkmcnt(0)
	s_and_saveexec_b64 s[8:9], vcc
	s_cbranch_execz .LBB44_355
; %bb.348:
	ds_read_b128 v[2:5], v9
	s_andn2_b64 vcc, exec, s[6:7]
	s_cbranch_vccnz .LBB44_350
; %bb.349:
	scratch_load_dwordx4 v[144:147], v8, off
	s_waitcnt vmcnt(0) lgkmcnt(0)
	v_mul_f64 v[6:7], v[4:5], v[146:147]
	v_mul_f64 v[146:147], v[2:3], v[146:147]
	v_fmac_f64_e32 v[146:147], v[4:5], v[144:145]
	v_fma_f64 v[2:3], v[2:3], v[144:145], -v[6:7]
	v_mov_b64_e32 v[4:5], v[146:147]
.LBB44_350:
	s_and_saveexec_b64 s[4:5], s[0:1]
	s_cbranch_execz .LBB44_354
; %bb.351:
	v_mov_b32_e32 v7, 0
	v_add_u32_e32 v6, -1, v0
	v_add_u32_e32 v7, 24, v7
	s_movk_i32 s10, 0x2e0
	s_mov_b64 s[0:1], 0
.LBB44_352:                             ; =>This Inner Loop Header: Depth=1
	v_add_u32_e32 v144, -8, v7
	scratch_load_dwordx4 v[144:147], v144, off
	v_mov_b32_e32 v148, s10
	ds_read_b128 v[148:151], v148
	v_add_u32_e32 v6, -1, v6
	s_add_i32 s10, s10, 16
	v_cmp_eq_u32_e32 vcc, 0, v6
	v_add_u32_e32 v7, 16, v7
	s_or_b64 s[0:1], vcc, s[0:1]
	s_waitcnt vmcnt(0) lgkmcnt(0)
	v_mul_f64 v[152:153], v[150:151], v[146:147]
	v_mul_f64 v[146:147], v[148:149], v[146:147]
	v_fma_f64 v[148:149], v[148:149], v[144:145], -v[152:153]
	v_fmac_f64_e32 v[146:147], v[150:151], v[144:145]
	v_add_f64 v[2:3], v[2:3], v[148:149]
	v_add_f64 v[4:5], v[4:5], v[146:147]
	s_andn2_b64 exec, exec, s[0:1]
	s_cbranch_execnz .LBB44_352
; %bb.353:
	s_or_b64 exec, exec, s[0:1]
.LBB44_354:
	s_or_b64 exec, exec, s[4:5]
	v_mov_b32_e32 v6, 0
	ds_read_b128 v[146:149], v6
	v_mov_b32_e32 v6, 0
	v_or_b32_e32 v144, 8, v6
	s_mov_b64 s[4:5], exec
	s_waitcnt lgkmcnt(0)
	v_mul_f64 v[150:151], v[4:5], v[148:149]
	v_mul_f64 v[6:7], v[2:3], v[148:149]
	v_fma_f64 v[2:3], v[2:3], v[146:147], -v[150:151]
	v_fmac_f64_e32 v[6:7], v[4:5], v[146:147]
	scratch_store_dwordx2 off, v[2:3], off
.LBB44_355:
	s_or_b64 exec, exec, s[8:9]
	s_and_b64 vcc, exec, s[2:3]
	s_cbranch_vccnz .LBB44_357
	s_branch .LBB44_704
.LBB44_356:
	s_mov_b64 s[4:5], 0
                                        ; implicit-def: $vgpr6_vgpr7
                                        ; implicit-def: $vgpr144
	s_cbranch_execz .LBB44_704
.LBB44_357:
	scratch_load_dwordx4 v[2:5], v143, off
	v_cndmask_b32_e64 v6, 0, 1, s[6:7]
	v_cmp_eq_u32_e64 s[2:3], 0, v0
	v_cmp_ne_u32_e64 s[0:1], 1, v6
	s_waitcnt vmcnt(0)
	ds_write_b128 v9, v[2:5]
	s_waitcnt lgkmcnt(0)
	; wave barrier
	s_waitcnt lgkmcnt(0)
	s_and_saveexec_b64 s[6:7], s[2:3]
	s_cbranch_execz .LBB44_361
; %bb.358:
	ds_read_b128 v[2:5], v9
	s_and_b64 vcc, exec, s[0:1]
	s_cbranch_vccnz .LBB44_360
; %bb.359:
	scratch_load_dwordx4 v[144:147], v8, off
	s_waitcnt vmcnt(0) lgkmcnt(0)
	v_mul_f64 v[6:7], v[4:5], v[146:147]
	v_mul_f64 v[146:147], v[2:3], v[146:147]
	v_fmac_f64_e32 v[146:147], v[4:5], v[144:145]
	v_fma_f64 v[2:3], v[2:3], v[144:145], -v[6:7]
	v_mov_b64_e32 v[4:5], v[146:147]
.LBB44_360:
	v_mov_b32_e32 v6, 0
	ds_read_b128 v[144:147], v6 offset:16
	s_waitcnt lgkmcnt(0)
	v_mul_f64 v[6:7], v[4:5], v[146:147]
	v_mul_f64 v[148:149], v[2:3], v[146:147]
	v_fma_f64 v[146:147], v[2:3], v[144:145], -v[6:7]
	v_fmac_f64_e32 v[148:149], v[4:5], v[144:145]
	scratch_store_dwordx4 off, v[146:149], off offset:16
.LBB44_361:
	s_or_b64 exec, exec, s[6:7]
	scratch_load_dwordx4 v[2:5], v142, off
	v_cmp_gt_u32_e32 vcc, 2, v0
	s_waitcnt vmcnt(0)
	ds_write_b128 v9, v[2:5]
	s_waitcnt lgkmcnt(0)
	; wave barrier
	s_waitcnt lgkmcnt(0)
	s_and_saveexec_b64 s[6:7], vcc
	s_cbranch_execz .LBB44_367
; %bb.362:
	ds_read_b128 v[2:5], v9
	s_and_b64 vcc, exec, s[0:1]
	s_cbranch_vccnz .LBB44_364
; %bb.363:
	scratch_load_dwordx4 v[144:147], v8, off
	s_waitcnt vmcnt(0) lgkmcnt(0)
	v_mul_f64 v[6:7], v[4:5], v[146:147]
	v_mul_f64 v[146:147], v[2:3], v[146:147]
	v_fmac_f64_e32 v[146:147], v[4:5], v[144:145]
	v_fma_f64 v[2:3], v[2:3], v[144:145], -v[6:7]
	v_mov_b64_e32 v[4:5], v[146:147]
.LBB44_364:
	s_and_saveexec_b64 s[8:9], s[2:3]
	s_cbranch_execz .LBB44_366
; %bb.365:
	scratch_load_dwordx4 v[144:147], v8, off offset:16
	ds_read_b128 v[148:151], v9 offset:16
	s_waitcnt vmcnt(0) lgkmcnt(0)
	v_mul_f64 v[6:7], v[150:151], v[146:147]
	v_mul_f64 v[146:147], v[148:149], v[146:147]
	v_fma_f64 v[6:7], v[148:149], v[144:145], -v[6:7]
	v_fmac_f64_e32 v[146:147], v[150:151], v[144:145]
	v_add_f64 v[2:3], v[2:3], v[6:7]
	v_add_f64 v[4:5], v[4:5], v[146:147]
.LBB44_366:
	s_or_b64 exec, exec, s[8:9]
	v_mov_b32_e32 v6, 0
	ds_read_b128 v[144:147], v6 offset:32
	s_waitcnt lgkmcnt(0)
	v_mul_f64 v[6:7], v[4:5], v[146:147]
	v_mul_f64 v[148:149], v[2:3], v[146:147]
	v_fma_f64 v[146:147], v[2:3], v[144:145], -v[6:7]
	v_fmac_f64_e32 v[148:149], v[4:5], v[144:145]
	scratch_store_dwordx4 off, v[146:149], off offset:32
.LBB44_367:
	s_or_b64 exec, exec, s[6:7]
	scratch_load_dwordx4 v[2:5], v141, off
	v_cmp_gt_u32_e32 vcc, 3, v0
	s_waitcnt vmcnt(0)
	ds_write_b128 v9, v[2:5]
	s_waitcnt lgkmcnt(0)
	; wave barrier
	s_waitcnt lgkmcnt(0)
	s_and_saveexec_b64 s[6:7], vcc
	s_cbranch_execz .LBB44_375
; %bb.368:
	ds_read_b128 v[2:5], v9
	s_and_b64 vcc, exec, s[0:1]
	s_cbranch_vccnz .LBB44_370
; %bb.369:
	scratch_load_dwordx4 v[144:147], v8, off
	s_waitcnt vmcnt(0) lgkmcnt(0)
	v_mul_f64 v[6:7], v[4:5], v[146:147]
	v_mul_f64 v[146:147], v[2:3], v[146:147]
	v_fmac_f64_e32 v[146:147], v[4:5], v[144:145]
	v_fma_f64 v[2:3], v[2:3], v[144:145], -v[6:7]
	v_mov_b64_e32 v[4:5], v[146:147]
.LBB44_370:
	v_cmp_ne_u32_e32 vcc, 2, v0
	s_and_saveexec_b64 s[8:9], vcc
	s_cbranch_execz .LBB44_374
; %bb.371:
	scratch_load_dwordx4 v[144:147], v8, off offset:16
	ds_read_b128 v[148:151], v9 offset:16
	s_waitcnt vmcnt(0) lgkmcnt(0)
	v_mul_f64 v[6:7], v[150:151], v[146:147]
	v_mul_f64 v[146:147], v[148:149], v[146:147]
	v_fma_f64 v[6:7], v[148:149], v[144:145], -v[6:7]
	v_fmac_f64_e32 v[146:147], v[150:151], v[144:145]
	v_add_f64 v[2:3], v[2:3], v[6:7]
	v_add_f64 v[4:5], v[4:5], v[146:147]
	s_and_saveexec_b64 s[10:11], s[2:3]
	s_cbranch_execz .LBB44_373
; %bb.372:
	scratch_load_dwordx4 v[144:147], off, off offset:32
	v_mov_b32_e32 v6, 0
	ds_read_b128 v[148:151], v6 offset:752
	s_waitcnt vmcnt(0) lgkmcnt(0)
	v_mul_f64 v[6:7], v[148:149], v[146:147]
	v_mul_f64 v[146:147], v[150:151], v[146:147]
	v_fmac_f64_e32 v[6:7], v[150:151], v[144:145]
	v_fma_f64 v[144:145], v[148:149], v[144:145], -v[146:147]
	v_add_f64 v[4:5], v[4:5], v[6:7]
	v_add_f64 v[2:3], v[2:3], v[144:145]
.LBB44_373:
	s_or_b64 exec, exec, s[10:11]
.LBB44_374:
	s_or_b64 exec, exec, s[8:9]
	v_mov_b32_e32 v6, 0
	ds_read_b128 v[144:147], v6 offset:48
	s_waitcnt lgkmcnt(0)
	v_mul_f64 v[6:7], v[4:5], v[146:147]
	v_mul_f64 v[148:149], v[2:3], v[146:147]
	v_fma_f64 v[146:147], v[2:3], v[144:145], -v[6:7]
	v_fmac_f64_e32 v[148:149], v[4:5], v[144:145]
	scratch_store_dwordx4 off, v[146:149], off offset:48
.LBB44_375:
	s_or_b64 exec, exec, s[6:7]
	scratch_load_dwordx4 v[2:5], v140, off
	v_cmp_gt_u32_e32 vcc, 4, v0
	s_waitcnt vmcnt(0)
	ds_write_b128 v9, v[2:5]
	s_waitcnt lgkmcnt(0)
	; wave barrier
	s_waitcnt lgkmcnt(0)
	s_and_saveexec_b64 s[2:3], vcc
	s_cbranch_execz .LBB44_383
; %bb.376:
	ds_read_b128 v[2:5], v9
	s_and_b64 vcc, exec, s[0:1]
	s_cbranch_vccnz .LBB44_378
; %bb.377:
	scratch_load_dwordx4 v[144:147], v8, off
	s_waitcnt vmcnt(0) lgkmcnt(0)
	v_mul_f64 v[6:7], v[4:5], v[146:147]
	v_mul_f64 v[146:147], v[2:3], v[146:147]
	v_fmac_f64_e32 v[146:147], v[4:5], v[144:145]
	v_fma_f64 v[2:3], v[2:3], v[144:145], -v[6:7]
	v_mov_b64_e32 v[4:5], v[146:147]
.LBB44_378:
	v_cmp_ne_u32_e32 vcc, 3, v0
	s_and_saveexec_b64 s[6:7], vcc
	s_cbranch_execz .LBB44_382
; %bb.379:
	v_mov_b32_e32 v7, 0
	v_add_u32_e32 v6, 0x2e0, v60
	v_add3_u32 v7, v60, v7, 24
	s_mov_b64 s[8:9], 0
	v_mov_b32_e32 v144, v0
.LBB44_380:                             ; =>This Inner Loop Header: Depth=1
	v_add_u32_e32 v145, -8, v7
	scratch_load_dwordx4 v[146:149], v145, off
	ds_read_b128 v[150:153], v6
	v_add_u32_e32 v144, 1, v144
	v_cmp_lt_u32_e32 vcc, 2, v144
	v_add_u32_e32 v6, 16, v6
	v_add_u32_e32 v7, 16, v7
	s_or_b64 s[8:9], vcc, s[8:9]
	s_waitcnt vmcnt(0) lgkmcnt(0)
	v_mul_f64 v[154:155], v[152:153], v[148:149]
	v_mul_f64 v[148:149], v[150:151], v[148:149]
	v_fma_f64 v[150:151], v[150:151], v[146:147], -v[154:155]
	v_fmac_f64_e32 v[148:149], v[152:153], v[146:147]
	v_add_f64 v[2:3], v[2:3], v[150:151]
	v_add_f64 v[4:5], v[4:5], v[148:149]
	s_andn2_b64 exec, exec, s[8:9]
	s_cbranch_execnz .LBB44_380
; %bb.381:
	s_or_b64 exec, exec, s[8:9]
.LBB44_382:
	s_or_b64 exec, exec, s[6:7]
	v_mov_b32_e32 v6, 0
	ds_read_b128 v[144:147], v6 offset:64
	s_waitcnt lgkmcnt(0)
	v_mul_f64 v[6:7], v[4:5], v[146:147]
	v_mul_f64 v[148:149], v[2:3], v[146:147]
	v_fma_f64 v[146:147], v[2:3], v[144:145], -v[6:7]
	v_fmac_f64_e32 v[148:149], v[4:5], v[144:145]
	scratch_store_dwordx4 off, v[146:149], off offset:64
.LBB44_383:
	s_or_b64 exec, exec, s[2:3]
	scratch_load_dwordx4 v[2:5], v139, off
	v_cmp_gt_u32_e32 vcc, 5, v0
	s_waitcnt vmcnt(0)
	ds_write_b128 v9, v[2:5]
	s_waitcnt lgkmcnt(0)
	; wave barrier
	s_waitcnt lgkmcnt(0)
	s_and_saveexec_b64 s[2:3], vcc
	s_cbranch_execz .LBB44_391
; %bb.384:
	ds_read_b128 v[2:5], v9
	s_and_b64 vcc, exec, s[0:1]
	s_cbranch_vccnz .LBB44_386
; %bb.385:
	scratch_load_dwordx4 v[144:147], v8, off
	s_waitcnt vmcnt(0) lgkmcnt(0)
	v_mul_f64 v[6:7], v[4:5], v[146:147]
	v_mul_f64 v[146:147], v[2:3], v[146:147]
	v_fmac_f64_e32 v[146:147], v[4:5], v[144:145]
	v_fma_f64 v[2:3], v[2:3], v[144:145], -v[6:7]
	v_mov_b64_e32 v[4:5], v[146:147]
.LBB44_386:
	v_cmp_ne_u32_e32 vcc, 4, v0
	s_and_saveexec_b64 s[6:7], vcc
	s_cbranch_execz .LBB44_390
; %bb.387:
	v_mov_b32_e32 v7, 0
	v_add_u32_e32 v6, 0x2e0, v60
	v_add3_u32 v7, v60, v7, 24
	s_mov_b64 s[8:9], 0
	v_mov_b32_e32 v144, v0
.LBB44_388:                             ; =>This Inner Loop Header: Depth=1
	v_add_u32_e32 v145, -8, v7
	scratch_load_dwordx4 v[146:149], v145, off
	ds_read_b128 v[150:153], v6
	v_add_u32_e32 v144, 1, v144
	v_cmp_lt_u32_e32 vcc, 3, v144
	v_add_u32_e32 v6, 16, v6
	v_add_u32_e32 v7, 16, v7
	s_or_b64 s[8:9], vcc, s[8:9]
	s_waitcnt vmcnt(0) lgkmcnt(0)
	v_mul_f64 v[154:155], v[152:153], v[148:149]
	v_mul_f64 v[148:149], v[150:151], v[148:149]
	v_fma_f64 v[150:151], v[150:151], v[146:147], -v[154:155]
	v_fmac_f64_e32 v[148:149], v[152:153], v[146:147]
	v_add_f64 v[2:3], v[2:3], v[150:151]
	v_add_f64 v[4:5], v[4:5], v[148:149]
	s_andn2_b64 exec, exec, s[8:9]
	s_cbranch_execnz .LBB44_388
; %bb.389:
	s_or_b64 exec, exec, s[8:9]
.LBB44_390:
	s_or_b64 exec, exec, s[6:7]
	v_mov_b32_e32 v6, 0
	ds_read_b128 v[144:147], v6 offset:80
	s_waitcnt lgkmcnt(0)
	v_mul_f64 v[6:7], v[4:5], v[146:147]
	v_mul_f64 v[148:149], v[2:3], v[146:147]
	v_fma_f64 v[146:147], v[2:3], v[144:145], -v[6:7]
	v_fmac_f64_e32 v[148:149], v[4:5], v[144:145]
	scratch_store_dwordx4 off, v[146:149], off offset:80
.LBB44_391:
	;; [unrolled: 63-line block ×39, first 2 shown]
	s_or_b64 exec, exec, s[2:3]
	scratch_load_dwordx4 v[2:5], v10, off
	v_cmp_gt_u32_e64 s[2:3], 43, v0
	s_waitcnt vmcnt(0)
	ds_write_b128 v9, v[2:5]
	s_waitcnt lgkmcnt(0)
	; wave barrier
	s_waitcnt lgkmcnt(0)
	s_and_saveexec_b64 s[6:7], s[2:3]
	s_cbranch_execz .LBB44_695
; %bb.688:
	ds_read_b128 v[2:5], v9
	s_and_b64 vcc, exec, s[0:1]
	s_cbranch_vccnz .LBB44_690
; %bb.689:
	scratch_load_dwordx4 v[144:147], v8, off
	s_waitcnt vmcnt(0) lgkmcnt(0)
	v_mul_f64 v[6:7], v[4:5], v[146:147]
	v_mul_f64 v[146:147], v[2:3], v[146:147]
	v_fmac_f64_e32 v[146:147], v[4:5], v[144:145]
	v_fma_f64 v[2:3], v[2:3], v[144:145], -v[6:7]
	v_mov_b64_e32 v[4:5], v[146:147]
.LBB44_690:
	v_cmp_ne_u32_e32 vcc, 42, v0
	s_and_saveexec_b64 s[8:9], vcc
	s_cbranch_execz .LBB44_694
; %bb.691:
	v_mov_b32_e32 v7, 0
	v_add_u32_e32 v6, 0x2e0, v60
	v_add3_u32 v7, v60, v7, 24
	s_mov_b64 s[10:11], 0
	v_mov_b32_e32 v144, v0
.LBB44_692:                             ; =>This Inner Loop Header: Depth=1
	v_add_u32_e32 v145, -8, v7
	scratch_load_dwordx4 v[146:149], v145, off
	ds_read_b128 v[150:153], v6
	v_add_u32_e32 v144, 1, v144
	v_cmp_lt_u32_e32 vcc, 41, v144
	v_add_u32_e32 v6, 16, v6
	v_add_u32_e32 v7, 16, v7
	s_or_b64 s[10:11], vcc, s[10:11]
	s_waitcnt vmcnt(0) lgkmcnt(0)
	v_mul_f64 v[154:155], v[152:153], v[148:149]
	v_mul_f64 v[148:149], v[150:151], v[148:149]
	v_fma_f64 v[150:151], v[150:151], v[146:147], -v[154:155]
	v_fmac_f64_e32 v[148:149], v[152:153], v[146:147]
	v_add_f64 v[2:3], v[2:3], v[150:151]
	v_add_f64 v[4:5], v[4:5], v[148:149]
	s_andn2_b64 exec, exec, s[10:11]
	s_cbranch_execnz .LBB44_692
; %bb.693:
	s_or_b64 exec, exec, s[10:11]
.LBB44_694:
	s_or_b64 exec, exec, s[8:9]
	v_mov_b32_e32 v6, 0
	ds_read_b128 v[144:147], v6 offset:688
	s_waitcnt lgkmcnt(0)
	v_mul_f64 v[6:7], v[4:5], v[146:147]
	v_mul_f64 v[148:149], v[2:3], v[146:147]
	v_fma_f64 v[146:147], v[2:3], v[144:145], -v[6:7]
	v_fmac_f64_e32 v[148:149], v[4:5], v[144:145]
	scratch_store_dwordx4 off, v[146:149], off offset:688
.LBB44_695:
	s_or_b64 exec, exec, s[6:7]
	scratch_load_dwordx4 v[2:5], v1, off
	v_cmp_ne_u32_e32 vcc, 44, v0
                                        ; implicit-def: $vgpr6_vgpr7
                                        ; implicit-def: $vgpr144
	s_waitcnt vmcnt(0)
	ds_write_b128 v9, v[2:5]
	s_waitcnt lgkmcnt(0)
	; wave barrier
	s_waitcnt lgkmcnt(0)
	s_and_saveexec_b64 s[6:7], vcc
	s_cbranch_execz .LBB44_703
; %bb.696:
	ds_read_b128 v[2:5], v9
	s_and_b64 vcc, exec, s[0:1]
	s_cbranch_vccnz .LBB44_698
; %bb.697:
	scratch_load_dwordx4 v[6:9], v8, off
	s_waitcnt vmcnt(0) lgkmcnt(0)
	v_mul_f64 v[144:145], v[4:5], v[8:9]
	v_mul_f64 v[8:9], v[2:3], v[8:9]
	v_fmac_f64_e32 v[8:9], v[4:5], v[6:7]
	v_fma_f64 v[2:3], v[2:3], v[6:7], -v[144:145]
	v_mov_b64_e32 v[4:5], v[8:9]
.LBB44_698:
	s_and_saveexec_b64 s[0:1], s[2:3]
	s_cbranch_execz .LBB44_702
; %bb.699:
	v_mov_b32_e32 v7, 0
	v_add_u32_e32 v6, 0x2e0, v60
	v_add3_u32 v7, v60, v7, 24
	s_mov_b64 s[2:3], 0
.LBB44_700:                             ; =>This Inner Loop Header: Depth=1
	v_add_u32_e32 v8, -8, v7
	scratch_load_dwordx4 v[144:147], v8, off
	ds_read_b128 v[148:151], v6
	v_add_u32_e32 v0, 1, v0
	v_cmp_lt_u32_e32 vcc, 42, v0
	v_add_u32_e32 v6, 16, v6
	v_add_u32_e32 v7, 16, v7
	s_or_b64 s[2:3], vcc, s[2:3]
	s_waitcnt vmcnt(0) lgkmcnt(0)
	v_mul_f64 v[8:9], v[150:151], v[146:147]
	v_mul_f64 v[146:147], v[148:149], v[146:147]
	v_fma_f64 v[8:9], v[148:149], v[144:145], -v[8:9]
	v_fmac_f64_e32 v[146:147], v[150:151], v[144:145]
	v_add_f64 v[2:3], v[2:3], v[8:9]
	v_add_f64 v[4:5], v[4:5], v[146:147]
	s_andn2_b64 exec, exec, s[2:3]
	s_cbranch_execnz .LBB44_700
; %bb.701:
	s_or_b64 exec, exec, s[2:3]
.LBB44_702:
	s_or_b64 exec, exec, s[0:1]
	v_mov_b32_e32 v0, 0
	ds_read_b128 v[146:149], v0 offset:704
	v_mov_b32_e32 v0, 0
	v_add_u32_e32 v144, 0x2c8, v0
	s_or_b64 s[4:5], s[4:5], exec
	s_waitcnt lgkmcnt(0)
	v_mul_f64 v[8:9], v[4:5], v[148:149]
	v_mul_f64 v[6:7], v[2:3], v[148:149]
	v_fma_f64 v[2:3], v[2:3], v[146:147], -v[8:9]
	v_fmac_f64_e32 v[6:7], v[4:5], v[146:147]
	scratch_store_dwordx2 off, v[2:3], off offset:704
.LBB44_703:
	s_or_b64 exec, exec, s[6:7]
.LBB44_704:
	s_and_saveexec_b64 s[0:1], s[4:5]
	s_cbranch_execz .LBB44_706
; %bb.705:
	scratch_store_dwordx2 v144, v[6:7], off
.LBB44_706:
	s_or_b64 exec, exec, s[0:1]
	scratch_load_dwordx4 v[2:5], off, off
	scratch_load_dwordx4 v[6:9], v143, off
	s_nop 0
	scratch_load_dwordx4 v[142:145], v142, off
	s_nop 0
	scratch_load_dwordx4 v[146:149], v141, off
	scratch_load_dwordx4 v[150:153], v140, off
	scratch_load_dwordx4 v[154:157], v139, off
	s_nop 0
	scratch_load_dwordx4 v[138:141], v138, off
	s_nop 0
	scratch_load_dwordx4 v[158:161], v137, off
	scratch_load_dwordx4 v[162:165], v136, off
	s_waitcnt vmcnt(8)
	global_store_dwordx4 v[12:13], v[2:5], off
	scratch_load_dwordx4 v[2:5], v135, off
	s_nop 0
	scratch_load_dwordx4 v[134:137], v134, off
	s_waitcnt vmcnt(10)
	global_store_dwordx4 v[14:15], v[6:9], off
	scratch_load_dwordx4 v[6:9], v133, off
	s_nop 0
	;; [unrolled: 5-line block ×18, first 2 shown]
	scratch_load_dwordx4 v[150:153], v1, off
	s_waitcnt vmcnt(39)
	global_store_dwordx4 v[48:49], v[126:129], off
	s_waitcnt vmcnt(38)
	global_store_dwordx4 v[50:51], v[20:23], off
	;; [unrolled: 2-line block ×27, first 2 shown]
.LBB44_707:
	s_endpgm
	.section	.rodata,"a",@progbits
	.p2align	6, 0x0
	.amdhsa_kernel _ZN9rocsolver6v33100L18trti2_kernel_smallILi45E19rocblas_complex_numIdEPS3_EEv13rocblas_fill_17rocblas_diagonal_T1_iil
		.amdhsa_group_segment_fixed_size 1440
		.amdhsa_private_segment_fixed_size 736
		.amdhsa_kernarg_size 32
		.amdhsa_user_sgpr_count 2
		.amdhsa_user_sgpr_dispatch_ptr 0
		.amdhsa_user_sgpr_queue_ptr 0
		.amdhsa_user_sgpr_kernarg_segment_ptr 1
		.amdhsa_user_sgpr_dispatch_id 0
		.amdhsa_user_sgpr_kernarg_preload_length 0
		.amdhsa_user_sgpr_kernarg_preload_offset 0
		.amdhsa_user_sgpr_private_segment_size 0
		.amdhsa_uses_dynamic_stack 0
		.amdhsa_enable_private_segment 1
		.amdhsa_system_sgpr_workgroup_id_x 1
		.amdhsa_system_sgpr_workgroup_id_y 0
		.amdhsa_system_sgpr_workgroup_id_z 0
		.amdhsa_system_sgpr_workgroup_info 0
		.amdhsa_system_vgpr_workitem_id 0
		.amdhsa_next_free_vgpr 170
		.amdhsa_next_free_sgpr 12
		.amdhsa_accum_offset 172
		.amdhsa_reserve_vcc 1
		.amdhsa_float_round_mode_32 0
		.amdhsa_float_round_mode_16_64 0
		.amdhsa_float_denorm_mode_32 3
		.amdhsa_float_denorm_mode_16_64 3
		.amdhsa_dx10_clamp 1
		.amdhsa_ieee_mode 1
		.amdhsa_fp16_overflow 0
		.amdhsa_tg_split 0
		.amdhsa_exception_fp_ieee_invalid_op 0
		.amdhsa_exception_fp_denorm_src 0
		.amdhsa_exception_fp_ieee_div_zero 0
		.amdhsa_exception_fp_ieee_overflow 0
		.amdhsa_exception_fp_ieee_underflow 0
		.amdhsa_exception_fp_ieee_inexact 0
		.amdhsa_exception_int_div_zero 0
	.end_amdhsa_kernel
	.section	.text._ZN9rocsolver6v33100L18trti2_kernel_smallILi45E19rocblas_complex_numIdEPS3_EEv13rocblas_fill_17rocblas_diagonal_T1_iil,"axG",@progbits,_ZN9rocsolver6v33100L18trti2_kernel_smallILi45E19rocblas_complex_numIdEPS3_EEv13rocblas_fill_17rocblas_diagonal_T1_iil,comdat
.Lfunc_end44:
	.size	_ZN9rocsolver6v33100L18trti2_kernel_smallILi45E19rocblas_complex_numIdEPS3_EEv13rocblas_fill_17rocblas_diagonal_T1_iil, .Lfunc_end44-_ZN9rocsolver6v33100L18trti2_kernel_smallILi45E19rocblas_complex_numIdEPS3_EEv13rocblas_fill_17rocblas_diagonal_T1_iil
                                        ; -- End function
	.section	.AMDGPU.csdata,"",@progbits
; Kernel info:
; codeLenInByte = 29672
; NumSgprs: 18
; NumVgprs: 170
; NumAgprs: 0
; TotalNumVgprs: 170
; ScratchSize: 736
; MemoryBound: 0
; FloatMode: 240
; IeeeMode: 1
; LDSByteSize: 1440 bytes/workgroup (compile time only)
; SGPRBlocks: 2
; VGPRBlocks: 21
; NumSGPRsForWavesPerEU: 18
; NumVGPRsForWavesPerEU: 170
; AccumOffset: 172
; Occupancy: 2
; WaveLimiterHint : 0
; COMPUTE_PGM_RSRC2:SCRATCH_EN: 1
; COMPUTE_PGM_RSRC2:USER_SGPR: 2
; COMPUTE_PGM_RSRC2:TRAP_HANDLER: 0
; COMPUTE_PGM_RSRC2:TGID_X_EN: 1
; COMPUTE_PGM_RSRC2:TGID_Y_EN: 0
; COMPUTE_PGM_RSRC2:TGID_Z_EN: 0
; COMPUTE_PGM_RSRC2:TIDIG_COMP_CNT: 0
; COMPUTE_PGM_RSRC3_GFX90A:ACCUM_OFFSET: 42
; COMPUTE_PGM_RSRC3_GFX90A:TG_SPLIT: 0
	.section	.text._ZN9rocsolver6v33100L18trti2_kernel_smallILi46E19rocblas_complex_numIdEPS3_EEv13rocblas_fill_17rocblas_diagonal_T1_iil,"axG",@progbits,_ZN9rocsolver6v33100L18trti2_kernel_smallILi46E19rocblas_complex_numIdEPS3_EEv13rocblas_fill_17rocblas_diagonal_T1_iil,comdat
	.globl	_ZN9rocsolver6v33100L18trti2_kernel_smallILi46E19rocblas_complex_numIdEPS3_EEv13rocblas_fill_17rocblas_diagonal_T1_iil ; -- Begin function _ZN9rocsolver6v33100L18trti2_kernel_smallILi46E19rocblas_complex_numIdEPS3_EEv13rocblas_fill_17rocblas_diagonal_T1_iil
	.p2align	8
	.type	_ZN9rocsolver6v33100L18trti2_kernel_smallILi46E19rocblas_complex_numIdEPS3_EEv13rocblas_fill_17rocblas_diagonal_T1_iil,@function
_ZN9rocsolver6v33100L18trti2_kernel_smallILi46E19rocblas_complex_numIdEPS3_EEv13rocblas_fill_17rocblas_diagonal_T1_iil: ; @_ZN9rocsolver6v33100L18trti2_kernel_smallILi46E19rocblas_complex_numIdEPS3_EEv13rocblas_fill_17rocblas_diagonal_T1_iil
; %bb.0:
	v_cmp_gt_u32_e32 vcc, 46, v0
	s_and_saveexec_b64 s[4:5], vcc
	s_cbranch_execz .LBB45_723
; %bb.1:
	s_load_dwordx8 s[4:11], s[0:1], 0x0
	s_ashr_i32 s3, s2, 31
	v_lshlrev_b32_e32 v104, 4, v0
	v_mov_b32_e32 v105, 0
	v_mov_b32_e32 v1, 0
	s_waitcnt lgkmcnt(0)
	s_ashr_i32 s1, s8, 31
	s_mov_b32 s0, s8
	s_mul_i32 s8, s2, s11
	s_mul_hi_u32 s11, s2, s10
	s_add_i32 s8, s11, s8
	s_mul_i32 s3, s3, s10
	s_add_i32 s3, s8, s3
	s_mul_i32 s2, s2, s10
	s_lshl_b64 s[2:3], s[2:3], 4
	s_add_u32 s2, s6, s2
	s_addc_u32 s3, s7, s3
	s_lshl_b64 s[0:1], s[0:1], 4
	s_add_u32 s0, s2, s0
	s_addc_u32 s1, s3, s1
	s_add_i32 s2, s9, s9
	v_add_u32_e32 v4, s2, v0
	v_add_u32_e32 v2, s9, v4
	;; [unrolled: 1-line block ×11, first 2 shown]
	s_mov_b32 s2, s9
	s_ashr_i32 s3, s9, 31
	v_lshl_add_u64 v[38:39], s[0:1], 0, v[104:105]
	v_ashrrev_i32_e32 v3, 31, v2
	v_ashrrev_i32_e32 v9, 31, v8
	;; [unrolled: 1-line block ×7, first 2 shown]
	v_lshl_add_u64 v[36:37], s[2:3], 4, v[38:39]
	v_lshl_add_u64 v[34:35], v[2:3], 4, s[0:1]
	v_ashrrev_i32_e32 v7, 31, v6
	v_lshl_add_u64 v[32:33], v[8:9], 4, s[0:1]
	v_ashrrev_i32_e32 v11, 31, v10
	;; [unrolled: 2-line block ×3, first 2 shown]
	v_lshl_add_u64 v[22:23], v[16:17], 4, s[0:1]
	v_lshl_add_u64 v[16:17], v[18:19], 4, s[0:1]
	;; [unrolled: 1-line block ×3, first 2 shown]
	v_ashrrev_i32_e32 v43, 31, v42
	global_load_dwordx4 v[44:47], v104, s[0:1]
	v_lshl_add_u64 v[28:29], v[4:5], 4, s[0:1]
	global_load_dwordx4 v[48:51], v[36:37], off
	global_load_dwordx4 v[52:55], v[28:29], off
	v_lshl_add_u64 v[30:31], v[6:7], 4, s[0:1]
	global_load_dwordx4 v[2:5], v[34:35], off
	global_load_dwordx4 v[56:59], v[30:31], off
	v_lshl_add_u64 v[24:25], v[10:11], 4, s[0:1]
	global_load_dwordx4 v[6:9], v[32:33], off
	global_load_dwordx4 v[60:63], v[24:25], off
	v_lshl_add_u64 v[20:21], v[14:15], 4, s[0:1]
	global_load_dwordx4 v[64:67], v[26:27], off
	global_load_dwordx4 v[68:71], v[20:21], off
	global_load_dwordx4 v[72:75], v[22:23], off
	global_load_dwordx4 v[76:79], v[16:17], off
	v_lshl_add_u64 v[14:15], v[42:43], 4, s[0:1]
	global_load_dwordx4 v[80:83], v[18:19], off
	global_load_dwordx4 v[84:87], v[14:15], off
	v_add_u32_e32 v10, s9, v42
	v_add_u32_e32 v40, s9, v10
	;; [unrolled: 1-line block ×33, first 2 shown]
	v_ashrrev_i32_e32 v13, 31, v12
	v_lshl_add_u64 v[12:13], v[12:13], 4, s[0:1]
	v_ashrrev_i32_e32 v11, 31, v10
	v_ashrrev_i32_e32 v43, 31, v42
	;; [unrolled: 1-line block ×8, first 2 shown]
	global_load_dwordx4 v[106:109], v[12:13], off
	s_waitcnt vmcnt(13)
	scratch_store_dwordx4 off, v[44:47], off
	s_waitcnt vmcnt(13)
	scratch_store_dwordx4 off, v[48:51], off offset:16
	s_waitcnt vmcnt(13)
	scratch_store_dwordx4 off, v[52:55], off offset:32
	;; [unrolled: 2-line block ×12, first 2 shown]
	v_lshl_add_u64 v[54:55], v[10:11], 4, s[0:1]
	v_ashrrev_i32_e32 v41, 31, v40
	v_lshl_add_u64 v[52:53], v[42:43], 4, s[0:1]
	v_ashrrev_i32_e32 v89, 31, v88
	;; [unrolled: 2-line block ×8, first 2 shown]
	v_lshl_add_u64 v[50:51], v[40:41], 4, s[0:1]
	global_load_dwordx4 v[2:5], v[54:55], off
	global_load_dwordx4 v[6:9], v[50:51], off
	v_lshl_add_u64 v[44:45], v[88:89], 4, s[0:1]
	global_load_dwordx4 v[72:75], v[52:53], off
	global_load_dwordx4 v[76:79], v[44:45], off
	;; [unrolled: 3-line block ×8, first 2 shown]
	v_ashrrev_i32_e32 v135, 31, v134
	v_ashrrev_i32_e32 v139, 31, v138
	;; [unrolled: 1-line block ×10, first 2 shown]
	s_waitcnt vmcnt(15)
	scratch_store_dwordx4 off, v[2:5], off offset:208
	s_waitcnt vmcnt(15)
	scratch_store_dwordx4 off, v[6:9], off offset:224
	;; [unrolled: 2-line block ×16, first 2 shown]
	v_lshl_add_u64 v[72:73], v[134:135], 4, s[0:1]
	v_lshl_add_u64 v[76:77], v[138:139], 4, s[0:1]
	;; [unrolled: 1-line block ×3, first 2 shown]
	v_ashrrev_i32_e32 v145, 31, v144
	v_lshl_add_u64 v[84:85], v[146:147], 4, s[0:1]
	v_ashrrev_i32_e32 v149, 31, v148
	v_lshl_add_u64 v[88:89], v[150:151], 4, s[0:1]
	;; [unrolled: 2-line block ×6, first 2 shown]
	global_load_dwordx4 v[2:5], v[72:73], off
	global_load_dwordx4 v[6:9], v[74:75], off
	v_lshl_add_u64 v[78:79], v[140:141], 4, s[0:1]
	global_load_dwordx4 v[110:113], v[76:77], off
	global_load_dwordx4 v[114:117], v[78:79], off
	v_lshl_add_u64 v[82:83], v[144:145], 4, s[0:1]
	global_load_dwordx4 v[118:121], v[80:81], off
	global_load_dwordx4 v[122:125], v[82:83], off
	v_lshl_add_u64 v[86:87], v[148:149], 4, s[0:1]
	global_load_dwordx4 v[126:129], v[84:85], off
	global_load_dwordx4 v[130:133], v[86:87], off
	v_lshl_add_u64 v[90:91], v[152:153], 4, s[0:1]
	global_load_dwordx4 v[134:137], v[88:89], off
	global_load_dwordx4 v[138:141], v[90:91], off
	v_lshl_add_u64 v[94:95], v[156:157], 4, s[0:1]
	global_load_dwordx4 v[142:145], v[92:93], off
	global_load_dwordx4 v[146:149], v[94:95], off
	v_lshl_add_u64 v[98:99], v[160:161], 4, s[0:1]
	global_load_dwordx4 v[150:153], v[96:97], off
	global_load_dwordx4 v[154:157], v[98:99], off
	v_lshl_add_u64 v[102:103], v[164:165], 4, s[0:1]
	global_load_dwordx4 v[158:161], v[100:101], off
	global_load_dwordx4 v[162:165], v[102:103], off
	s_cmpk_lg_i32 s5, 0x84
	s_cselect_b64 s[6:7], -1, 0
	s_cmpk_eq_i32 s5, 0x84
	s_waitcnt vmcnt(15)
	scratch_store_dwordx4 off, v[2:5], off offset:464
	s_waitcnt vmcnt(15)
	scratch_store_dwordx4 off, v[6:9], off offset:480
	;; [unrolled: 2-line block ×16, first 2 shown]
	scratch_store_dwordx4 off, v[106:109], off offset:720
	s_cbranch_scc1 .LBB45_7
; %bb.2:
	scratch_load_dwordx4 v[8:11], v104, off
                                        ; implicit-def: $vgpr6_vgpr7
	s_waitcnt vmcnt(0)
	v_xor_b32_e32 v3, 0x80000000, v9
	v_cmp_gt_f64_e32 vcc, 0, v[8:9]
	v_xor_b32_e32 v4, 0x80000000, v11
	v_mov_b32_e32 v2, v8
	v_cndmask_b32_e32 v3, v9, v3, vcc
	v_cmp_gt_f64_e32 vcc, 0, v[10:11]
	s_nop 1
	v_cndmask_b32_e32 v5, v11, v4, vcc
	v_mov_b32_e32 v4, v10
	v_cmp_ngt_f64_e32 vcc, v[2:3], v[4:5]
                                        ; implicit-def: $vgpr2_vgpr3
	s_and_saveexec_b64 s[0:1], vcc
	s_xor_b64 s[0:1], exec, s[0:1]
	s_cbranch_execz .LBB45_4
; %bb.3:
	v_div_scale_f64 v[2:3], s[2:3], v[10:11], v[10:11], v[8:9]
	v_rcp_f64_e32 v[4:5], v[2:3]
	v_div_scale_f64 v[6:7], vcc, v[8:9], v[10:11], v[8:9]
	v_fma_f64 v[106:107], -v[2:3], v[4:5], 1.0
	v_fmac_f64_e32 v[4:5], v[4:5], v[106:107]
	v_fma_f64 v[106:107], -v[2:3], v[4:5], 1.0
	v_fmac_f64_e32 v[4:5], v[4:5], v[106:107]
	v_mul_f64 v[106:107], v[6:7], v[4:5]
	v_fma_f64 v[2:3], -v[2:3], v[106:107], v[6:7]
	v_div_fmas_f64 v[2:3], v[2:3], v[4:5], v[106:107]
	v_div_fixup_f64 v[2:3], v[2:3], v[10:11], v[8:9]
	v_fmac_f64_e32 v[10:11], v[8:9], v[2:3]
	v_div_scale_f64 v[4:5], s[2:3], v[10:11], v[10:11], 1.0
	v_rcp_f64_e32 v[6:7], v[4:5]
	s_nop 0
	v_fma_f64 v[8:9], -v[4:5], v[6:7], 1.0
	v_fmac_f64_e32 v[6:7], v[6:7], v[8:9]
	v_fma_f64 v[8:9], -v[4:5], v[6:7], 1.0
	v_fmac_f64_e32 v[6:7], v[6:7], v[8:9]
	v_div_scale_f64 v[8:9], vcc, 1.0, v[10:11], 1.0
	v_mul_f64 v[106:107], v[8:9], v[6:7]
	v_fma_f64 v[4:5], -v[4:5], v[106:107], v[8:9]
                                        ; implicit-def: $vgpr8_vgpr9
	s_nop 1
	v_div_fmas_f64 v[4:5], v[4:5], v[6:7], v[106:107]
	v_div_fixup_f64 v[4:5], v[4:5], v[10:11], 1.0
	v_mul_f64 v[2:3], v[2:3], v[4:5]
	v_xor_b32_e32 v5, 0x80000000, v5
	v_xor_b32_e32 v7, 0x80000000, v3
	v_mov_b32_e32 v6, v2
.LBB45_4:
	s_or_saveexec_b64 s[0:1], s[0:1]
	v_add_u32_e32 v105, 0, v104
	s_xor_b64 exec, exec, s[0:1]
	s_cbranch_execz .LBB45_6
; %bb.5:
	v_div_scale_f64 v[2:3], s[2:3], v[8:9], v[8:9], v[10:11]
	v_rcp_f64_e32 v[4:5], v[2:3]
	v_div_scale_f64 v[6:7], vcc, v[10:11], v[8:9], v[10:11]
	v_fma_f64 v[106:107], -v[2:3], v[4:5], 1.0
	v_fmac_f64_e32 v[4:5], v[4:5], v[106:107]
	v_fma_f64 v[106:107], -v[2:3], v[4:5], 1.0
	v_fmac_f64_e32 v[4:5], v[4:5], v[106:107]
	v_mul_f64 v[106:107], v[6:7], v[4:5]
	v_fma_f64 v[2:3], -v[2:3], v[106:107], v[6:7]
	v_div_fmas_f64 v[2:3], v[2:3], v[4:5], v[106:107]
	v_div_fixup_f64 v[4:5], v[2:3], v[8:9], v[10:11]
	v_fmac_f64_e32 v[8:9], v[10:11], v[4:5]
	v_div_scale_f64 v[2:3], s[2:3], v[8:9], v[8:9], 1.0
	v_rcp_f64_e32 v[6:7], v[2:3]
	s_nop 0
	v_fma_f64 v[10:11], -v[2:3], v[6:7], 1.0
	v_fmac_f64_e32 v[6:7], v[6:7], v[10:11]
	v_fma_f64 v[10:11], -v[2:3], v[6:7], 1.0
	v_fmac_f64_e32 v[6:7], v[6:7], v[10:11]
	v_div_scale_f64 v[10:11], vcc, 1.0, v[8:9], 1.0
	v_mul_f64 v[106:107], v[10:11], v[6:7]
	v_fma_f64 v[2:3], -v[2:3], v[106:107], v[10:11]
	s_nop 1
	v_div_fmas_f64 v[2:3], v[2:3], v[6:7], v[106:107]
	v_div_fixup_f64 v[2:3], v[2:3], v[8:9], 1.0
	v_xor_b32_e32 v7, 0x80000000, v3
	v_mov_b32_e32 v6, v2
	v_mul_f64 v[4:5], v[4:5], -v[2:3]
.LBB45_6:
	s_or_b64 exec, exec, s[0:1]
	scratch_store_dwordx4 v105, v[2:5], off
	s_nop 1
	v_xor_b32_e32 v5, 0x80000000, v5
	s_branch .LBB45_8
.LBB45_7:
	v_mov_b64_e32 v[4:5], 0
	v_mov_b64_e32 v[6:7], -1.0
.LBB45_8:
	v_mov_b32_e32 v8, v4
	v_mov_b32_e32 v9, v5
	v_add_u32_e32 v146, 16, v1
	v_add_u32_e32 v145, 32, v1
	;; [unrolled: 1-line block ×45, first 2 shown]
	ds_write_b128 v104, v[6:9]
	s_cmpk_eq_i32 s4, 0x79
	v_add_u32_e32 v9, 0x2e0, v104
	v_add_u32_e32 v8, 0, v104
	s_cbranch_scc1 .LBB45_364
; %bb.9:
	scratch_load_dwordx4 v[2:5], v10, off
	v_cmp_eq_u32_e64 s[0:1], 45, v0
	s_waitcnt vmcnt(0)
	ds_write_b128 v9, v[2:5]
	s_waitcnt lgkmcnt(0)
	; wave barrier
	s_waitcnt lgkmcnt(0)
	s_and_saveexec_b64 s[2:3], s[0:1]
	s_cbranch_execz .LBB45_13
; %bb.10:
	ds_read_b128 v[2:5], v9
	s_andn2_b64 vcc, exec, s[6:7]
	s_cbranch_vccnz .LBB45_12
; %bb.11:
	scratch_load_dwordx4 v[148:151], v8, off
	s_waitcnt vmcnt(0) lgkmcnt(0)
	v_mul_f64 v[6:7], v[4:5], v[150:151]
	v_mul_f64 v[150:151], v[2:3], v[150:151]
	v_fmac_f64_e32 v[150:151], v[4:5], v[148:149]
	v_fma_f64 v[2:3], v[2:3], v[148:149], -v[6:7]
	v_mov_b64_e32 v[4:5], v[150:151]
.LBB45_12:
	v_mov_b32_e32 v6, 0
	ds_read_b128 v[148:151], v6 offset:704
	s_waitcnt lgkmcnt(0)
	v_mul_f64 v[6:7], v[4:5], v[150:151]
	v_mul_f64 v[152:153], v[2:3], v[150:151]
	v_fma_f64 v[150:151], v[2:3], v[148:149], -v[6:7]
	v_fmac_f64_e32 v[152:153], v[4:5], v[148:149]
	scratch_store_dwordx4 off, v[150:153], off offset:704
.LBB45_13:
	s_or_b64 exec, exec, s[2:3]
	scratch_load_dwordx4 v[2:5], v11, off
	v_cmp_lt_u32_e64 s[2:3], 43, v0
	s_waitcnt vmcnt(0)
	ds_write_b128 v9, v[2:5]
	s_waitcnt lgkmcnt(0)
	; wave barrier
	s_waitcnt lgkmcnt(0)
	s_and_saveexec_b64 s[4:5], s[2:3]
	s_cbranch_execz .LBB45_19
; %bb.14:
	ds_read_b128 v[2:5], v9
	s_andn2_b64 vcc, exec, s[6:7]
	s_cbranch_vccnz .LBB45_16
; %bb.15:
	scratch_load_dwordx4 v[148:151], v8, off
	s_waitcnt vmcnt(0) lgkmcnt(0)
	v_mul_f64 v[6:7], v[4:5], v[150:151]
	v_mul_f64 v[150:151], v[2:3], v[150:151]
	v_fmac_f64_e32 v[150:151], v[4:5], v[148:149]
	v_fma_f64 v[2:3], v[2:3], v[148:149], -v[6:7]
	v_mov_b64_e32 v[4:5], v[150:151]
.LBB45_16:
	s_and_saveexec_b64 s[8:9], s[0:1]
	s_cbranch_execz .LBB45_18
; %bb.17:
	scratch_load_dwordx4 v[148:151], off, off offset:704
	v_mov_b32_e32 v6, 0
	ds_read_b128 v[152:155], v6 offset:1440
	s_waitcnt vmcnt(0) lgkmcnt(0)
	v_mul_f64 v[6:7], v[152:153], v[150:151]
	v_mul_f64 v[150:151], v[154:155], v[150:151]
	v_fmac_f64_e32 v[6:7], v[154:155], v[148:149]
	v_fma_f64 v[148:149], v[152:153], v[148:149], -v[150:151]
	v_add_f64 v[4:5], v[4:5], v[6:7]
	v_add_f64 v[2:3], v[2:3], v[148:149]
.LBB45_18:
	s_or_b64 exec, exec, s[8:9]
	v_mov_b32_e32 v6, 0
	ds_read_b128 v[148:151], v6 offset:688
	s_waitcnt lgkmcnt(0)
	v_mul_f64 v[6:7], v[4:5], v[150:151]
	v_mul_f64 v[152:153], v[2:3], v[150:151]
	v_fma_f64 v[150:151], v[2:3], v[148:149], -v[6:7]
	v_fmac_f64_e32 v[152:153], v[4:5], v[148:149]
	scratch_store_dwordx4 off, v[150:153], off offset:688
.LBB45_19:
	s_or_b64 exec, exec, s[4:5]
	scratch_load_dwordx4 v[2:5], v105, off
	v_cmp_lt_u32_e64 s[0:1], 42, v0
	s_waitcnt vmcnt(0)
	ds_write_b128 v9, v[2:5]
	s_waitcnt lgkmcnt(0)
	; wave barrier
	s_waitcnt lgkmcnt(0)
	s_and_saveexec_b64 s[4:5], s[0:1]
	s_cbranch_execz .LBB45_27
; %bb.20:
	ds_read_b128 v[2:5], v9
	s_andn2_b64 vcc, exec, s[6:7]
	s_cbranch_vccnz .LBB45_22
; %bb.21:
	scratch_load_dwordx4 v[148:151], v8, off
	s_waitcnt vmcnt(0) lgkmcnt(0)
	v_mul_f64 v[6:7], v[4:5], v[150:151]
	v_mul_f64 v[150:151], v[2:3], v[150:151]
	v_fmac_f64_e32 v[150:151], v[4:5], v[148:149]
	v_fma_f64 v[2:3], v[2:3], v[148:149], -v[6:7]
	v_mov_b64_e32 v[4:5], v[150:151]
.LBB45_22:
	s_and_saveexec_b64 s[8:9], s[2:3]
	s_cbranch_execz .LBB45_26
; %bb.23:
	v_mov_b32_e32 v7, 0
	v_subrev_u32_e32 v6, 43, v0
	v_add_u32_e32 v7, 0x2b8, v7
	s_movk_i32 s10, 0x590
	s_mov_b64 s[2:3], 0
.LBB45_24:                              ; =>This Inner Loop Header: Depth=1
	v_add_u32_e32 v147, -8, v7
	scratch_load_dwordx4 v[148:151], v147, off
	v_mov_b32_e32 v147, s10
	ds_read_b128 v[152:155], v147
	v_add_u32_e32 v6, -1, v6
	s_add_i32 s10, s10, 16
	v_cmp_eq_u32_e32 vcc, 0, v6
	v_add_u32_e32 v7, 16, v7
	s_or_b64 s[2:3], vcc, s[2:3]
	s_waitcnt vmcnt(0) lgkmcnt(0)
	v_mul_f64 v[156:157], v[154:155], v[150:151]
	v_mul_f64 v[150:151], v[152:153], v[150:151]
	v_fma_f64 v[152:153], v[152:153], v[148:149], -v[156:157]
	v_fmac_f64_e32 v[150:151], v[154:155], v[148:149]
	v_add_f64 v[2:3], v[2:3], v[152:153]
	v_add_f64 v[4:5], v[4:5], v[150:151]
	s_andn2_b64 exec, exec, s[2:3]
	s_cbranch_execnz .LBB45_24
; %bb.25:
	s_or_b64 exec, exec, s[2:3]
.LBB45_26:
	s_or_b64 exec, exec, s[8:9]
	v_mov_b32_e32 v6, 0
	ds_read_b128 v[148:151], v6 offset:672
	s_waitcnt lgkmcnt(0)
	v_mul_f64 v[6:7], v[4:5], v[150:151]
	v_mul_f64 v[152:153], v[2:3], v[150:151]
	v_fma_f64 v[150:151], v[2:3], v[148:149], -v[6:7]
	v_fmac_f64_e32 v[152:153], v[4:5], v[148:149]
	scratch_store_dwordx4 off, v[150:153], off offset:672
.LBB45_27:
	s_or_b64 exec, exec, s[4:5]
	scratch_load_dwordx4 v[2:5], v106, off
	v_cmp_lt_u32_e64 s[2:3], 41, v0
	s_waitcnt vmcnt(0)
	ds_write_b128 v9, v[2:5]
	s_waitcnt lgkmcnt(0)
	; wave barrier
	s_waitcnt lgkmcnt(0)
	s_and_saveexec_b64 s[4:5], s[2:3]
	s_cbranch_execz .LBB45_35
; %bb.28:
	ds_read_b128 v[2:5], v9
	s_andn2_b64 vcc, exec, s[6:7]
	s_cbranch_vccnz .LBB45_30
; %bb.29:
	scratch_load_dwordx4 v[148:151], v8, off
	s_waitcnt vmcnt(0) lgkmcnt(0)
	v_mul_f64 v[6:7], v[4:5], v[150:151]
	v_mul_f64 v[150:151], v[2:3], v[150:151]
	v_fmac_f64_e32 v[150:151], v[4:5], v[148:149]
	v_fma_f64 v[2:3], v[2:3], v[148:149], -v[6:7]
	v_mov_b64_e32 v[4:5], v[150:151]
.LBB45_30:
	s_and_saveexec_b64 s[8:9], s[0:1]
	s_cbranch_execz .LBB45_34
; %bb.31:
	v_mov_b32_e32 v7, 0
	v_subrev_u32_e32 v6, 42, v0
	v_add_u32_e32 v7, 0x2a8, v7
	s_movk_i32 s10, 0x580
	s_mov_b64 s[0:1], 0
.LBB45_32:                              ; =>This Inner Loop Header: Depth=1
	v_add_u32_e32 v147, -8, v7
	scratch_load_dwordx4 v[148:151], v147, off
	v_mov_b32_e32 v147, s10
	ds_read_b128 v[152:155], v147
	v_add_u32_e32 v6, -1, v6
	s_add_i32 s10, s10, 16
	v_cmp_eq_u32_e32 vcc, 0, v6
	v_add_u32_e32 v7, 16, v7
	s_or_b64 s[0:1], vcc, s[0:1]
	s_waitcnt vmcnt(0) lgkmcnt(0)
	v_mul_f64 v[156:157], v[154:155], v[150:151]
	v_mul_f64 v[150:151], v[152:153], v[150:151]
	v_fma_f64 v[152:153], v[152:153], v[148:149], -v[156:157]
	v_fmac_f64_e32 v[150:151], v[154:155], v[148:149]
	v_add_f64 v[2:3], v[2:3], v[152:153]
	v_add_f64 v[4:5], v[4:5], v[150:151]
	s_andn2_b64 exec, exec, s[0:1]
	s_cbranch_execnz .LBB45_32
; %bb.33:
	s_or_b64 exec, exec, s[0:1]
.LBB45_34:
	s_or_b64 exec, exec, s[8:9]
	v_mov_b32_e32 v6, 0
	ds_read_b128 v[148:151], v6 offset:656
	s_waitcnt lgkmcnt(0)
	v_mul_f64 v[6:7], v[4:5], v[150:151]
	v_mul_f64 v[152:153], v[2:3], v[150:151]
	v_fma_f64 v[150:151], v[2:3], v[148:149], -v[6:7]
	v_fmac_f64_e32 v[152:153], v[4:5], v[148:149]
	scratch_store_dwordx4 off, v[150:153], off offset:656
.LBB45_35:
	;; [unrolled: 63-line block ×10, first 2 shown]
	s_or_b64 exec, exec, s[4:5]
	scratch_load_dwordx4 v[2:5], v115, off
	v_cmp_lt_u32_e64 s[0:1], 32, v0
	s_waitcnt vmcnt(0)
	ds_write_b128 v9, v[2:5]
	s_waitcnt lgkmcnt(0)
	; wave barrier
	s_waitcnt lgkmcnt(0)
	s_and_saveexec_b64 s[4:5], s[0:1]
	s_cbranch_execz .LBB45_107
; %bb.100:
	ds_read_b128 v[2:5], v9
	s_andn2_b64 vcc, exec, s[6:7]
	s_cbranch_vccnz .LBB45_102
; %bb.101:
	scratch_load_dwordx4 v[148:151], v8, off
	s_waitcnt vmcnt(0) lgkmcnt(0)
	v_mul_f64 v[6:7], v[4:5], v[150:151]
	v_mul_f64 v[150:151], v[2:3], v[150:151]
	v_fmac_f64_e32 v[150:151], v[4:5], v[148:149]
	v_fma_f64 v[2:3], v[2:3], v[148:149], -v[6:7]
	v_mov_b64_e32 v[4:5], v[150:151]
.LBB45_102:
	s_and_saveexec_b64 s[8:9], s[2:3]
	s_cbranch_execz .LBB45_106
; %bb.103:
	v_mov_b32_e32 v7, 0
	v_subrev_u32_e32 v6, 33, v0
	v_add_u32_e32 v7, 0x218, v7
	s_movk_i32 s10, 0x4f0
	s_mov_b64 s[2:3], 0
.LBB45_104:                             ; =>This Inner Loop Header: Depth=1
	v_add_u32_e32 v147, -8, v7
	scratch_load_dwordx4 v[148:151], v147, off
	v_mov_b32_e32 v147, s10
	ds_read_b128 v[152:155], v147
	v_add_u32_e32 v6, -1, v6
	s_add_i32 s10, s10, 16
	v_cmp_eq_u32_e32 vcc, 0, v6
	v_add_u32_e32 v7, 16, v7
	s_or_b64 s[2:3], vcc, s[2:3]
	s_waitcnt vmcnt(0) lgkmcnt(0)
	v_mul_f64 v[156:157], v[154:155], v[150:151]
	v_mul_f64 v[150:151], v[152:153], v[150:151]
	v_fma_f64 v[152:153], v[152:153], v[148:149], -v[156:157]
	v_fmac_f64_e32 v[150:151], v[154:155], v[148:149]
	v_add_f64 v[2:3], v[2:3], v[152:153]
	v_add_f64 v[4:5], v[4:5], v[150:151]
	s_andn2_b64 exec, exec, s[2:3]
	s_cbranch_execnz .LBB45_104
; %bb.105:
	s_or_b64 exec, exec, s[2:3]
.LBB45_106:
	s_or_b64 exec, exec, s[8:9]
	v_mov_b32_e32 v6, 0
	ds_read_b128 v[148:151], v6 offset:512
	s_waitcnt lgkmcnt(0)
	v_mul_f64 v[6:7], v[4:5], v[150:151]
	v_mul_f64 v[152:153], v[2:3], v[150:151]
	v_fma_f64 v[150:151], v[2:3], v[148:149], -v[6:7]
	v_fmac_f64_e32 v[152:153], v[4:5], v[148:149]
	scratch_store_dwordx4 off, v[150:153], off offset:512
.LBB45_107:
	s_or_b64 exec, exec, s[4:5]
	scratch_load_dwordx4 v[2:5], v116, off
	v_cmp_lt_u32_e64 s[2:3], 31, v0
	s_waitcnt vmcnt(0)
	ds_write_b128 v9, v[2:5]
	s_waitcnt lgkmcnt(0)
	; wave barrier
	s_waitcnt lgkmcnt(0)
	s_and_saveexec_b64 s[4:5], s[2:3]
	s_cbranch_execz .LBB45_115
; %bb.108:
	ds_read_b128 v[2:5], v9
	s_andn2_b64 vcc, exec, s[6:7]
	s_cbranch_vccnz .LBB45_110
; %bb.109:
	scratch_load_dwordx4 v[148:151], v8, off
	s_waitcnt vmcnt(0) lgkmcnt(0)
	v_mul_f64 v[6:7], v[4:5], v[150:151]
	v_mul_f64 v[150:151], v[2:3], v[150:151]
	v_fmac_f64_e32 v[150:151], v[4:5], v[148:149]
	v_fma_f64 v[2:3], v[2:3], v[148:149], -v[6:7]
	v_mov_b64_e32 v[4:5], v[150:151]
.LBB45_110:
	s_and_saveexec_b64 s[8:9], s[0:1]
	s_cbranch_execz .LBB45_114
; %bb.111:
	v_mov_b32_e32 v7, 0
	v_subrev_u32_e32 v6, 32, v0
	v_add_u32_e32 v7, 0x208, v7
	s_movk_i32 s10, 0x4e0
	s_mov_b64 s[0:1], 0
.LBB45_112:                             ; =>This Inner Loop Header: Depth=1
	v_add_u32_e32 v147, -8, v7
	scratch_load_dwordx4 v[148:151], v147, off
	v_mov_b32_e32 v147, s10
	ds_read_b128 v[152:155], v147
	v_add_u32_e32 v6, -1, v6
	s_add_i32 s10, s10, 16
	v_cmp_eq_u32_e32 vcc, 0, v6
	v_add_u32_e32 v7, 16, v7
	s_or_b64 s[0:1], vcc, s[0:1]
	s_waitcnt vmcnt(0) lgkmcnt(0)
	v_mul_f64 v[156:157], v[154:155], v[150:151]
	v_mul_f64 v[150:151], v[152:153], v[150:151]
	v_fma_f64 v[152:153], v[152:153], v[148:149], -v[156:157]
	v_fmac_f64_e32 v[150:151], v[154:155], v[148:149]
	v_add_f64 v[2:3], v[2:3], v[152:153]
	v_add_f64 v[4:5], v[4:5], v[150:151]
	s_andn2_b64 exec, exec, s[0:1]
	s_cbranch_execnz .LBB45_112
; %bb.113:
	s_or_b64 exec, exec, s[0:1]
.LBB45_114:
	s_or_b64 exec, exec, s[8:9]
	v_mov_b32_e32 v6, 0
	ds_read_b128 v[148:151], v6 offset:496
	s_waitcnt lgkmcnt(0)
	v_mul_f64 v[6:7], v[4:5], v[150:151]
	v_mul_f64 v[152:153], v[2:3], v[150:151]
	v_fma_f64 v[150:151], v[2:3], v[148:149], -v[6:7]
	v_fmac_f64_e32 v[152:153], v[4:5], v[148:149]
	scratch_store_dwordx4 off, v[150:153], off offset:496
.LBB45_115:
	;; [unrolled: 63-line block ×17, first 2 shown]
	s_or_b64 exec, exec, s[4:5]
	scratch_load_dwordx4 v[2:5], v132, off
	v_cmp_lt_u32_e64 s[2:3], 15, v0
	s_waitcnt vmcnt(0)
	ds_write_b128 v9, v[2:5]
	s_waitcnt lgkmcnt(0)
	; wave barrier
	s_waitcnt lgkmcnt(0)
	s_and_saveexec_b64 s[4:5], s[2:3]
	s_cbranch_execz .LBB45_243
; %bb.236:
	ds_read_b128 v[2:5], v9
	s_andn2_b64 vcc, exec, s[6:7]
	s_cbranch_vccnz .LBB45_238
; %bb.237:
	scratch_load_dwordx4 v[148:151], v8, off
	s_waitcnt vmcnt(0) lgkmcnt(0)
	v_mul_f64 v[6:7], v[4:5], v[150:151]
	v_mul_f64 v[150:151], v[2:3], v[150:151]
	v_fmac_f64_e32 v[150:151], v[4:5], v[148:149]
	v_fma_f64 v[2:3], v[2:3], v[148:149], -v[6:7]
	v_mov_b64_e32 v[4:5], v[150:151]
.LBB45_238:
	s_and_saveexec_b64 s[8:9], s[0:1]
	s_cbranch_execz .LBB45_242
; %bb.239:
	v_mov_b32_e32 v7, 0
	v_add_u32_e32 v6, -16, v0
	v_add_u32_e32 v7, 0x108, v7
	s_movk_i32 s10, 0x3e0
	s_mov_b64 s[0:1], 0
.LBB45_240:                             ; =>This Inner Loop Header: Depth=1
	v_add_u32_e32 v147, -8, v7
	scratch_load_dwordx4 v[148:151], v147, off
	v_mov_b32_e32 v147, s10
	ds_read_b128 v[152:155], v147
	v_add_u32_e32 v6, -1, v6
	s_add_i32 s10, s10, 16
	v_cmp_eq_u32_e32 vcc, 0, v6
	v_add_u32_e32 v7, 16, v7
	s_or_b64 s[0:1], vcc, s[0:1]
	s_waitcnt vmcnt(0) lgkmcnt(0)
	v_mul_f64 v[156:157], v[154:155], v[150:151]
	v_mul_f64 v[150:151], v[152:153], v[150:151]
	v_fma_f64 v[152:153], v[152:153], v[148:149], -v[156:157]
	v_fmac_f64_e32 v[150:151], v[154:155], v[148:149]
	v_add_f64 v[2:3], v[2:3], v[152:153]
	v_add_f64 v[4:5], v[4:5], v[150:151]
	s_andn2_b64 exec, exec, s[0:1]
	s_cbranch_execnz .LBB45_240
; %bb.241:
	s_or_b64 exec, exec, s[0:1]
.LBB45_242:
	s_or_b64 exec, exec, s[8:9]
	v_mov_b32_e32 v6, 0
	ds_read_b128 v[148:151], v6 offset:240
	s_waitcnt lgkmcnt(0)
	v_mul_f64 v[6:7], v[4:5], v[150:151]
	v_mul_f64 v[152:153], v[2:3], v[150:151]
	v_fma_f64 v[150:151], v[2:3], v[148:149], -v[6:7]
	v_fmac_f64_e32 v[152:153], v[4:5], v[148:149]
	scratch_store_dwordx4 off, v[150:153], off offset:240
.LBB45_243:
	s_or_b64 exec, exec, s[4:5]
	scratch_load_dwordx4 v[2:5], v133, off
	v_cmp_lt_u32_e64 s[0:1], 14, v0
	s_waitcnt vmcnt(0)
	ds_write_b128 v9, v[2:5]
	s_waitcnt lgkmcnt(0)
	; wave barrier
	s_waitcnt lgkmcnt(0)
	s_and_saveexec_b64 s[4:5], s[0:1]
	s_cbranch_execz .LBB45_251
; %bb.244:
	ds_read_b128 v[2:5], v9
	s_andn2_b64 vcc, exec, s[6:7]
	s_cbranch_vccnz .LBB45_246
; %bb.245:
	scratch_load_dwordx4 v[148:151], v8, off
	s_waitcnt vmcnt(0) lgkmcnt(0)
	v_mul_f64 v[6:7], v[4:5], v[150:151]
	v_mul_f64 v[150:151], v[2:3], v[150:151]
	v_fmac_f64_e32 v[150:151], v[4:5], v[148:149]
	v_fma_f64 v[2:3], v[2:3], v[148:149], -v[6:7]
	v_mov_b64_e32 v[4:5], v[150:151]
.LBB45_246:
	s_and_saveexec_b64 s[8:9], s[2:3]
	s_cbranch_execz .LBB45_250
; %bb.247:
	v_mov_b32_e32 v7, 0
	v_add_u32_e32 v6, -15, v0
	v_add_u32_e32 v7, 0xf8, v7
	s_movk_i32 s10, 0x3d0
	s_mov_b64 s[2:3], 0
.LBB45_248:                             ; =>This Inner Loop Header: Depth=1
	v_add_u32_e32 v147, -8, v7
	scratch_load_dwordx4 v[148:151], v147, off
	v_mov_b32_e32 v147, s10
	ds_read_b128 v[152:155], v147
	v_add_u32_e32 v6, -1, v6
	s_add_i32 s10, s10, 16
	v_cmp_eq_u32_e32 vcc, 0, v6
	v_add_u32_e32 v7, 16, v7
	s_or_b64 s[2:3], vcc, s[2:3]
	s_waitcnt vmcnt(0) lgkmcnt(0)
	v_mul_f64 v[156:157], v[154:155], v[150:151]
	v_mul_f64 v[150:151], v[152:153], v[150:151]
	v_fma_f64 v[152:153], v[152:153], v[148:149], -v[156:157]
	v_fmac_f64_e32 v[150:151], v[154:155], v[148:149]
	v_add_f64 v[2:3], v[2:3], v[152:153]
	v_add_f64 v[4:5], v[4:5], v[150:151]
	s_andn2_b64 exec, exec, s[2:3]
	s_cbranch_execnz .LBB45_248
; %bb.249:
	s_or_b64 exec, exec, s[2:3]
.LBB45_250:
	s_or_b64 exec, exec, s[8:9]
	v_mov_b32_e32 v6, 0
	ds_read_b128 v[148:151], v6 offset:224
	s_waitcnt lgkmcnt(0)
	v_mul_f64 v[6:7], v[4:5], v[150:151]
	v_mul_f64 v[152:153], v[2:3], v[150:151]
	v_fma_f64 v[150:151], v[2:3], v[148:149], -v[6:7]
	v_fmac_f64_e32 v[152:153], v[4:5], v[148:149]
	scratch_store_dwordx4 off, v[150:153], off offset:224
.LBB45_251:
	;; [unrolled: 63-line block ×15, first 2 shown]
	s_or_b64 exec, exec, s[2:3]
	scratch_load_dwordx4 v[2:5], off, off
	v_cmp_ne_u32_e32 vcc, 0, v0
	s_mov_b64 s[2:3], 0
	s_mov_b64 s[4:5], 0
                                        ; implicit-def: $vgpr6_vgpr7
                                        ; implicit-def: $vgpr147
	s_waitcnt vmcnt(0)
	ds_write_b128 v9, v[2:5]
	s_waitcnt lgkmcnt(0)
	; wave barrier
	s_waitcnt lgkmcnt(0)
	s_and_saveexec_b64 s[8:9], vcc
	s_cbranch_execz .LBB45_363
; %bb.356:
	ds_read_b128 v[2:5], v9
	s_andn2_b64 vcc, exec, s[6:7]
	s_cbranch_vccnz .LBB45_358
; %bb.357:
	scratch_load_dwordx4 v[148:151], v8, off
	s_waitcnt vmcnt(0) lgkmcnt(0)
	v_mul_f64 v[6:7], v[4:5], v[150:151]
	v_mul_f64 v[150:151], v[2:3], v[150:151]
	v_fmac_f64_e32 v[150:151], v[4:5], v[148:149]
	v_fma_f64 v[2:3], v[2:3], v[148:149], -v[6:7]
	v_mov_b64_e32 v[4:5], v[150:151]
.LBB45_358:
	s_and_saveexec_b64 s[4:5], s[0:1]
	s_cbranch_execz .LBB45_362
; %bb.359:
	v_mov_b32_e32 v7, 0
	v_add_u32_e32 v6, -1, v0
	v_add_u32_e32 v7, 24, v7
	s_movk_i32 s10, 0x2f0
	s_mov_b64 s[0:1], 0
.LBB45_360:                             ; =>This Inner Loop Header: Depth=1
	v_add_u32_e32 v147, -8, v7
	scratch_load_dwordx4 v[148:151], v147, off
	v_mov_b32_e32 v147, s10
	ds_read_b128 v[152:155], v147
	v_add_u32_e32 v6, -1, v6
	s_add_i32 s10, s10, 16
	v_cmp_eq_u32_e32 vcc, 0, v6
	v_add_u32_e32 v7, 16, v7
	s_or_b64 s[0:1], vcc, s[0:1]
	s_waitcnt vmcnt(0) lgkmcnt(0)
	v_mul_f64 v[156:157], v[154:155], v[150:151]
	v_mul_f64 v[150:151], v[152:153], v[150:151]
	v_fma_f64 v[152:153], v[152:153], v[148:149], -v[156:157]
	v_fmac_f64_e32 v[150:151], v[154:155], v[148:149]
	v_add_f64 v[2:3], v[2:3], v[152:153]
	v_add_f64 v[4:5], v[4:5], v[150:151]
	s_andn2_b64 exec, exec, s[0:1]
	s_cbranch_execnz .LBB45_360
; %bb.361:
	s_or_b64 exec, exec, s[0:1]
.LBB45_362:
	s_or_b64 exec, exec, s[4:5]
	v_mov_b32_e32 v6, 0
	ds_read_b128 v[148:151], v6
	v_mov_b32_e32 v6, 0
	v_or_b32_e32 v147, 8, v6
	s_mov_b64 s[4:5], exec
	s_waitcnt lgkmcnt(0)
	v_mul_f64 v[152:153], v[4:5], v[150:151]
	v_mul_f64 v[6:7], v[2:3], v[150:151]
	v_fma_f64 v[2:3], v[2:3], v[148:149], -v[152:153]
	v_fmac_f64_e32 v[6:7], v[4:5], v[148:149]
	scratch_store_dwordx2 off, v[2:3], off
.LBB45_363:
	s_or_b64 exec, exec, s[8:9]
	s_and_b64 vcc, exec, s[2:3]
	s_cbranch_vccnz .LBB45_365
	s_branch .LBB45_720
.LBB45_364:
	s_mov_b64 s[4:5], 0
                                        ; implicit-def: $vgpr6_vgpr7
                                        ; implicit-def: $vgpr147
	s_cbranch_execz .LBB45_720
.LBB45_365:
	scratch_load_dwordx4 v[2:5], v146, off
	v_cndmask_b32_e64 v6, 0, 1, s[6:7]
	v_cmp_eq_u32_e64 s[2:3], 0, v0
	v_cmp_ne_u32_e64 s[0:1], 1, v6
	s_waitcnt vmcnt(0)
	ds_write_b128 v9, v[2:5]
	s_waitcnt lgkmcnt(0)
	; wave barrier
	s_waitcnt lgkmcnt(0)
	s_and_saveexec_b64 s[6:7], s[2:3]
	s_cbranch_execz .LBB45_369
; %bb.366:
	ds_read_b128 v[2:5], v9
	s_and_b64 vcc, exec, s[0:1]
	s_cbranch_vccnz .LBB45_368
; %bb.367:
	scratch_load_dwordx4 v[148:151], v8, off
	s_waitcnt vmcnt(0) lgkmcnt(0)
	v_mul_f64 v[6:7], v[4:5], v[150:151]
	v_mul_f64 v[150:151], v[2:3], v[150:151]
	v_fmac_f64_e32 v[150:151], v[4:5], v[148:149]
	v_fma_f64 v[2:3], v[2:3], v[148:149], -v[6:7]
	v_mov_b64_e32 v[4:5], v[150:151]
.LBB45_368:
	v_mov_b32_e32 v6, 0
	ds_read_b128 v[148:151], v6 offset:16
	s_waitcnt lgkmcnt(0)
	v_mul_f64 v[6:7], v[4:5], v[150:151]
	v_mul_f64 v[152:153], v[2:3], v[150:151]
	v_fma_f64 v[150:151], v[2:3], v[148:149], -v[6:7]
	v_fmac_f64_e32 v[152:153], v[4:5], v[148:149]
	scratch_store_dwordx4 off, v[150:153], off offset:16
.LBB45_369:
	s_or_b64 exec, exec, s[6:7]
	scratch_load_dwordx4 v[2:5], v145, off
	v_cmp_gt_u32_e32 vcc, 2, v0
	s_waitcnt vmcnt(0)
	ds_write_b128 v9, v[2:5]
	s_waitcnt lgkmcnt(0)
	; wave barrier
	s_waitcnt lgkmcnt(0)
	s_and_saveexec_b64 s[6:7], vcc
	s_cbranch_execz .LBB45_375
; %bb.370:
	ds_read_b128 v[2:5], v9
	s_and_b64 vcc, exec, s[0:1]
	s_cbranch_vccnz .LBB45_372
; %bb.371:
	scratch_load_dwordx4 v[148:151], v8, off
	s_waitcnt vmcnt(0) lgkmcnt(0)
	v_mul_f64 v[6:7], v[4:5], v[150:151]
	v_mul_f64 v[150:151], v[2:3], v[150:151]
	v_fmac_f64_e32 v[150:151], v[4:5], v[148:149]
	v_fma_f64 v[2:3], v[2:3], v[148:149], -v[6:7]
	v_mov_b64_e32 v[4:5], v[150:151]
.LBB45_372:
	s_and_saveexec_b64 s[8:9], s[2:3]
	s_cbranch_execz .LBB45_374
; %bb.373:
	scratch_load_dwordx4 v[148:151], v8, off offset:16
	ds_read_b128 v[152:155], v9 offset:16
	s_waitcnt vmcnt(0) lgkmcnt(0)
	v_mul_f64 v[6:7], v[154:155], v[150:151]
	v_mul_f64 v[150:151], v[152:153], v[150:151]
	v_fma_f64 v[6:7], v[152:153], v[148:149], -v[6:7]
	v_fmac_f64_e32 v[150:151], v[154:155], v[148:149]
	v_add_f64 v[2:3], v[2:3], v[6:7]
	v_add_f64 v[4:5], v[4:5], v[150:151]
.LBB45_374:
	s_or_b64 exec, exec, s[8:9]
	v_mov_b32_e32 v6, 0
	ds_read_b128 v[148:151], v6 offset:32
	s_waitcnt lgkmcnt(0)
	v_mul_f64 v[6:7], v[4:5], v[150:151]
	v_mul_f64 v[152:153], v[2:3], v[150:151]
	v_fma_f64 v[150:151], v[2:3], v[148:149], -v[6:7]
	v_fmac_f64_e32 v[152:153], v[4:5], v[148:149]
	scratch_store_dwordx4 off, v[150:153], off offset:32
.LBB45_375:
	s_or_b64 exec, exec, s[6:7]
	scratch_load_dwordx4 v[2:5], v144, off
	v_cmp_gt_u32_e32 vcc, 3, v0
	s_waitcnt vmcnt(0)
	ds_write_b128 v9, v[2:5]
	s_waitcnt lgkmcnt(0)
	; wave barrier
	s_waitcnt lgkmcnt(0)
	s_and_saveexec_b64 s[6:7], vcc
	s_cbranch_execz .LBB45_383
; %bb.376:
	ds_read_b128 v[2:5], v9
	s_and_b64 vcc, exec, s[0:1]
	s_cbranch_vccnz .LBB45_378
; %bb.377:
	scratch_load_dwordx4 v[148:151], v8, off
	s_waitcnt vmcnt(0) lgkmcnt(0)
	v_mul_f64 v[6:7], v[4:5], v[150:151]
	v_mul_f64 v[150:151], v[2:3], v[150:151]
	v_fmac_f64_e32 v[150:151], v[4:5], v[148:149]
	v_fma_f64 v[2:3], v[2:3], v[148:149], -v[6:7]
	v_mov_b64_e32 v[4:5], v[150:151]
.LBB45_378:
	v_cmp_ne_u32_e32 vcc, 2, v0
	s_and_saveexec_b64 s[8:9], vcc
	s_cbranch_execz .LBB45_382
; %bb.379:
	scratch_load_dwordx4 v[148:151], v8, off offset:16
	ds_read_b128 v[152:155], v9 offset:16
	s_waitcnt vmcnt(0) lgkmcnt(0)
	v_mul_f64 v[6:7], v[154:155], v[150:151]
	v_mul_f64 v[150:151], v[152:153], v[150:151]
	v_fma_f64 v[6:7], v[152:153], v[148:149], -v[6:7]
	v_fmac_f64_e32 v[150:151], v[154:155], v[148:149]
	v_add_f64 v[2:3], v[2:3], v[6:7]
	v_add_f64 v[4:5], v[4:5], v[150:151]
	s_and_saveexec_b64 s[10:11], s[2:3]
	s_cbranch_execz .LBB45_381
; %bb.380:
	scratch_load_dwordx4 v[148:151], off, off offset:32
	v_mov_b32_e32 v6, 0
	ds_read_b128 v[152:155], v6 offset:768
	s_waitcnt vmcnt(0) lgkmcnt(0)
	v_mul_f64 v[6:7], v[152:153], v[150:151]
	v_mul_f64 v[150:151], v[154:155], v[150:151]
	v_fmac_f64_e32 v[6:7], v[154:155], v[148:149]
	v_fma_f64 v[148:149], v[152:153], v[148:149], -v[150:151]
	v_add_f64 v[4:5], v[4:5], v[6:7]
	v_add_f64 v[2:3], v[2:3], v[148:149]
.LBB45_381:
	s_or_b64 exec, exec, s[10:11]
.LBB45_382:
	s_or_b64 exec, exec, s[8:9]
	v_mov_b32_e32 v6, 0
	ds_read_b128 v[148:151], v6 offset:48
	s_waitcnt lgkmcnt(0)
	v_mul_f64 v[6:7], v[4:5], v[150:151]
	v_mul_f64 v[152:153], v[2:3], v[150:151]
	v_fma_f64 v[150:151], v[2:3], v[148:149], -v[6:7]
	v_fmac_f64_e32 v[152:153], v[4:5], v[148:149]
	scratch_store_dwordx4 off, v[150:153], off offset:48
.LBB45_383:
	s_or_b64 exec, exec, s[6:7]
	scratch_load_dwordx4 v[2:5], v143, off
	v_cmp_gt_u32_e32 vcc, 4, v0
	s_waitcnt vmcnt(0)
	ds_write_b128 v9, v[2:5]
	s_waitcnt lgkmcnt(0)
	; wave barrier
	s_waitcnt lgkmcnt(0)
	s_and_saveexec_b64 s[2:3], vcc
	s_cbranch_execz .LBB45_391
; %bb.384:
	ds_read_b128 v[2:5], v9
	s_and_b64 vcc, exec, s[0:1]
	s_cbranch_vccnz .LBB45_386
; %bb.385:
	scratch_load_dwordx4 v[148:151], v8, off
	s_waitcnt vmcnt(0) lgkmcnt(0)
	v_mul_f64 v[6:7], v[4:5], v[150:151]
	v_mul_f64 v[150:151], v[2:3], v[150:151]
	v_fmac_f64_e32 v[150:151], v[4:5], v[148:149]
	v_fma_f64 v[2:3], v[2:3], v[148:149], -v[6:7]
	v_mov_b64_e32 v[4:5], v[150:151]
.LBB45_386:
	v_cmp_ne_u32_e32 vcc, 3, v0
	s_and_saveexec_b64 s[6:7], vcc
	s_cbranch_execz .LBB45_390
; %bb.387:
	v_mov_b32_e32 v7, 0
	v_add_u32_e32 v6, 0x2f0, v104
	v_add3_u32 v7, v104, v7, 24
	s_mov_b64 s[8:9], 0
	v_mov_b32_e32 v147, v0
.LBB45_388:                             ; =>This Inner Loop Header: Depth=1
	v_add_u32_e32 v148, -8, v7
	scratch_load_dwordx4 v[148:151], v148, off
	ds_read_b128 v[152:155], v6
	v_add_u32_e32 v147, 1, v147
	v_cmp_lt_u32_e32 vcc, 2, v147
	v_add_u32_e32 v6, 16, v6
	v_add_u32_e32 v7, 16, v7
	s_or_b64 s[8:9], vcc, s[8:9]
	s_waitcnt vmcnt(0) lgkmcnt(0)
	v_mul_f64 v[156:157], v[154:155], v[150:151]
	v_mul_f64 v[150:151], v[152:153], v[150:151]
	v_fma_f64 v[152:153], v[152:153], v[148:149], -v[156:157]
	v_fmac_f64_e32 v[150:151], v[154:155], v[148:149]
	v_add_f64 v[2:3], v[2:3], v[152:153]
	v_add_f64 v[4:5], v[4:5], v[150:151]
	s_andn2_b64 exec, exec, s[8:9]
	s_cbranch_execnz .LBB45_388
; %bb.389:
	s_or_b64 exec, exec, s[8:9]
.LBB45_390:
	s_or_b64 exec, exec, s[6:7]
	v_mov_b32_e32 v6, 0
	ds_read_b128 v[148:151], v6 offset:64
	s_waitcnt lgkmcnt(0)
	v_mul_f64 v[6:7], v[4:5], v[150:151]
	v_mul_f64 v[152:153], v[2:3], v[150:151]
	v_fma_f64 v[150:151], v[2:3], v[148:149], -v[6:7]
	v_fmac_f64_e32 v[152:153], v[4:5], v[148:149]
	scratch_store_dwordx4 off, v[150:153], off offset:64
.LBB45_391:
	s_or_b64 exec, exec, s[2:3]
	scratch_load_dwordx4 v[2:5], v142, off
	v_cmp_gt_u32_e32 vcc, 5, v0
	s_waitcnt vmcnt(0)
	ds_write_b128 v9, v[2:5]
	s_waitcnt lgkmcnt(0)
	; wave barrier
	s_waitcnt lgkmcnt(0)
	s_and_saveexec_b64 s[2:3], vcc
	s_cbranch_execz .LBB45_399
; %bb.392:
	ds_read_b128 v[2:5], v9
	s_and_b64 vcc, exec, s[0:1]
	s_cbranch_vccnz .LBB45_394
; %bb.393:
	scratch_load_dwordx4 v[148:151], v8, off
	s_waitcnt vmcnt(0) lgkmcnt(0)
	v_mul_f64 v[6:7], v[4:5], v[150:151]
	v_mul_f64 v[150:151], v[2:3], v[150:151]
	v_fmac_f64_e32 v[150:151], v[4:5], v[148:149]
	v_fma_f64 v[2:3], v[2:3], v[148:149], -v[6:7]
	v_mov_b64_e32 v[4:5], v[150:151]
.LBB45_394:
	v_cmp_ne_u32_e32 vcc, 4, v0
	s_and_saveexec_b64 s[6:7], vcc
	s_cbranch_execz .LBB45_398
; %bb.395:
	v_mov_b32_e32 v7, 0
	v_add_u32_e32 v6, 0x2f0, v104
	v_add3_u32 v7, v104, v7, 24
	s_mov_b64 s[8:9], 0
	v_mov_b32_e32 v147, v0
.LBB45_396:                             ; =>This Inner Loop Header: Depth=1
	v_add_u32_e32 v148, -8, v7
	scratch_load_dwordx4 v[148:151], v148, off
	ds_read_b128 v[152:155], v6
	v_add_u32_e32 v147, 1, v147
	v_cmp_lt_u32_e32 vcc, 3, v147
	v_add_u32_e32 v6, 16, v6
	v_add_u32_e32 v7, 16, v7
	s_or_b64 s[8:9], vcc, s[8:9]
	s_waitcnt vmcnt(0) lgkmcnt(0)
	v_mul_f64 v[156:157], v[154:155], v[150:151]
	v_mul_f64 v[150:151], v[152:153], v[150:151]
	v_fma_f64 v[152:153], v[152:153], v[148:149], -v[156:157]
	v_fmac_f64_e32 v[150:151], v[154:155], v[148:149]
	v_add_f64 v[2:3], v[2:3], v[152:153]
	v_add_f64 v[4:5], v[4:5], v[150:151]
	s_andn2_b64 exec, exec, s[8:9]
	s_cbranch_execnz .LBB45_396
; %bb.397:
	s_or_b64 exec, exec, s[8:9]
.LBB45_398:
	s_or_b64 exec, exec, s[6:7]
	v_mov_b32_e32 v6, 0
	ds_read_b128 v[148:151], v6 offset:80
	s_waitcnt lgkmcnt(0)
	v_mul_f64 v[6:7], v[4:5], v[150:151]
	v_mul_f64 v[152:153], v[2:3], v[150:151]
	v_fma_f64 v[150:151], v[2:3], v[148:149], -v[6:7]
	v_fmac_f64_e32 v[152:153], v[4:5], v[148:149]
	scratch_store_dwordx4 off, v[150:153], off offset:80
.LBB45_399:
	;; [unrolled: 63-line block ×40, first 2 shown]
	s_or_b64 exec, exec, s[2:3]
	scratch_load_dwordx4 v[2:5], v10, off
	v_cmp_gt_u32_e64 s[2:3], 44, v0
	s_waitcnt vmcnt(0)
	ds_write_b128 v9, v[2:5]
	s_waitcnt lgkmcnt(0)
	; wave barrier
	s_waitcnt lgkmcnt(0)
	s_and_saveexec_b64 s[6:7], s[2:3]
	s_cbranch_execz .LBB45_711
; %bb.704:
	ds_read_b128 v[2:5], v9
	s_and_b64 vcc, exec, s[0:1]
	s_cbranch_vccnz .LBB45_706
; %bb.705:
	scratch_load_dwordx4 v[148:151], v8, off
	s_waitcnt vmcnt(0) lgkmcnt(0)
	v_mul_f64 v[6:7], v[4:5], v[150:151]
	v_mul_f64 v[150:151], v[2:3], v[150:151]
	v_fmac_f64_e32 v[150:151], v[4:5], v[148:149]
	v_fma_f64 v[2:3], v[2:3], v[148:149], -v[6:7]
	v_mov_b64_e32 v[4:5], v[150:151]
.LBB45_706:
	v_cmp_ne_u32_e32 vcc, 43, v0
	s_and_saveexec_b64 s[8:9], vcc
	s_cbranch_execz .LBB45_710
; %bb.707:
	v_mov_b32_e32 v7, 0
	v_add_u32_e32 v6, 0x2f0, v104
	v_add3_u32 v7, v104, v7, 24
	s_mov_b64 s[10:11], 0
	v_mov_b32_e32 v147, v0
.LBB45_708:                             ; =>This Inner Loop Header: Depth=1
	v_add_u32_e32 v148, -8, v7
	scratch_load_dwordx4 v[148:151], v148, off
	ds_read_b128 v[152:155], v6
	v_add_u32_e32 v147, 1, v147
	v_cmp_lt_u32_e32 vcc, 42, v147
	v_add_u32_e32 v6, 16, v6
	v_add_u32_e32 v7, 16, v7
	s_or_b64 s[10:11], vcc, s[10:11]
	s_waitcnt vmcnt(0) lgkmcnt(0)
	v_mul_f64 v[156:157], v[154:155], v[150:151]
	v_mul_f64 v[150:151], v[152:153], v[150:151]
	v_fma_f64 v[152:153], v[152:153], v[148:149], -v[156:157]
	v_fmac_f64_e32 v[150:151], v[154:155], v[148:149]
	v_add_f64 v[2:3], v[2:3], v[152:153]
	v_add_f64 v[4:5], v[4:5], v[150:151]
	s_andn2_b64 exec, exec, s[10:11]
	s_cbranch_execnz .LBB45_708
; %bb.709:
	s_or_b64 exec, exec, s[10:11]
.LBB45_710:
	s_or_b64 exec, exec, s[8:9]
	v_mov_b32_e32 v6, 0
	ds_read_b128 v[148:151], v6 offset:704
	s_waitcnt lgkmcnt(0)
	v_mul_f64 v[6:7], v[4:5], v[150:151]
	v_mul_f64 v[152:153], v[2:3], v[150:151]
	v_fma_f64 v[150:151], v[2:3], v[148:149], -v[6:7]
	v_fmac_f64_e32 v[152:153], v[4:5], v[148:149]
	scratch_store_dwordx4 off, v[150:153], off offset:704
.LBB45_711:
	s_or_b64 exec, exec, s[6:7]
	scratch_load_dwordx4 v[2:5], v1, off
	v_cmp_ne_u32_e32 vcc, 45, v0
                                        ; implicit-def: $vgpr6_vgpr7
                                        ; implicit-def: $vgpr147
	s_waitcnt vmcnt(0)
	ds_write_b128 v9, v[2:5]
	s_waitcnt lgkmcnt(0)
	; wave barrier
	s_waitcnt lgkmcnt(0)
	s_and_saveexec_b64 s[6:7], vcc
	s_cbranch_execz .LBB45_719
; %bb.712:
	ds_read_b128 v[2:5], v9
	s_and_b64 vcc, exec, s[0:1]
	s_cbranch_vccnz .LBB45_714
; %bb.713:
	scratch_load_dwordx4 v[6:9], v8, off
	s_waitcnt vmcnt(0) lgkmcnt(0)
	v_mul_f64 v[148:149], v[4:5], v[8:9]
	v_mul_f64 v[8:9], v[2:3], v[8:9]
	v_fmac_f64_e32 v[8:9], v[4:5], v[6:7]
	v_fma_f64 v[2:3], v[2:3], v[6:7], -v[148:149]
	v_mov_b64_e32 v[4:5], v[8:9]
.LBB45_714:
	s_and_saveexec_b64 s[0:1], s[2:3]
	s_cbranch_execz .LBB45_718
; %bb.715:
	v_mov_b32_e32 v7, 0
	v_add_u32_e32 v6, 0x2f0, v104
	v_add3_u32 v7, v104, v7, 24
	s_mov_b64 s[2:3], 0
.LBB45_716:                             ; =>This Inner Loop Header: Depth=1
	v_add_u32_e32 v8, -8, v7
	scratch_load_dwordx4 v[148:151], v8, off
	ds_read_b128 v[152:155], v6
	v_add_u32_e32 v0, 1, v0
	v_cmp_lt_u32_e32 vcc, 43, v0
	v_add_u32_e32 v6, 16, v6
	v_add_u32_e32 v7, 16, v7
	s_or_b64 s[2:3], vcc, s[2:3]
	s_waitcnt vmcnt(0) lgkmcnt(0)
	v_mul_f64 v[8:9], v[154:155], v[150:151]
	v_mul_f64 v[150:151], v[152:153], v[150:151]
	v_fma_f64 v[8:9], v[152:153], v[148:149], -v[8:9]
	v_fmac_f64_e32 v[150:151], v[154:155], v[148:149]
	v_add_f64 v[2:3], v[2:3], v[8:9]
	v_add_f64 v[4:5], v[4:5], v[150:151]
	s_andn2_b64 exec, exec, s[2:3]
	s_cbranch_execnz .LBB45_716
; %bb.717:
	s_or_b64 exec, exec, s[2:3]
.LBB45_718:
	s_or_b64 exec, exec, s[0:1]
	v_mov_b32_e32 v0, 0
	ds_read_b128 v[148:151], v0 offset:720
	v_mov_b32_e32 v0, 0
	v_add_u32_e32 v147, 0x2d8, v0
	s_or_b64 s[4:5], s[4:5], exec
	s_waitcnt lgkmcnt(0)
	v_mul_f64 v[8:9], v[4:5], v[150:151]
	v_mul_f64 v[6:7], v[2:3], v[150:151]
	v_fma_f64 v[2:3], v[2:3], v[148:149], -v[8:9]
	v_fmac_f64_e32 v[6:7], v[4:5], v[148:149]
	scratch_store_dwordx2 off, v[2:3], off offset:720
.LBB45_719:
	s_or_b64 exec, exec, s[6:7]
.LBB45_720:
	s_and_saveexec_b64 s[0:1], s[4:5]
	s_cbranch_execz .LBB45_722
; %bb.721:
	scratch_store_dwordx2 v147, v[6:7], off
.LBB45_722:
	s_or_b64 exec, exec, s[0:1]
	scratch_load_dwordx4 v[2:5], off, off
	scratch_load_dwordx4 v[6:9], v146, off
	s_nop 0
	scratch_load_dwordx4 v[146:149], v145, off
	scratch_load_dwordx4 v[150:153], v144, off
	;; [unrolled: 1-line block ×3, first 2 shown]
	s_nop 0
	scratch_load_dwordx4 v[142:145], v142, off
	s_nop 0
	scratch_load_dwordx4 v[158:161], v141, off
	scratch_load_dwordx4 v[162:165], v140, off
	s_waitcnt vmcnt(7)
	global_store_dwordx4 v[38:39], v[2:5], off
	scratch_load_dwordx4 v[2:5], v139, off
	s_nop 0
	scratch_load_dwordx4 v[138:141], v138, off
	s_waitcnt vmcnt(9)
	global_store_dwordx4 v[36:37], v[6:9], off
	scratch_load_dwordx4 v[6:9], v137, off
	s_nop 0
	scratch_load_dwordx4 v[36:39], v136, off
	s_waitcnt vmcnt(11)
	global_store_dwordx4 v[28:29], v[146:149], off
	scratch_load_dwordx4 v[146:149], v135, off
	s_nop 0
	scratch_load_dwordx4 v[134:137], v134, off
	s_waitcnt vmcnt(13)
	global_store_dwordx4 v[34:35], v[150:153], off
	scratch_load_dwordx4 v[150:153], v133, off
	s_nop 0
	scratch_load_dwordx4 v[166:169], v132, off
	s_waitcnt vmcnt(15)
	global_store_dwordx4 v[30:31], v[154:157], off
	scratch_load_dwordx4 v[28:31], v131, off
	s_nop 0
	scratch_load_dwordx4 v[130:133], v130, off
	s_waitcnt vmcnt(17)
	global_store_dwordx4 v[32:33], v[142:145], off
	scratch_load_dwordx4 v[32:35], v129, off
	s_nop 0
	scratch_load_dwordx4 v[142:145], v128, off
	s_waitcnt vmcnt(19)
	global_store_dwordx4 v[24:25], v[158:161], off
	scratch_load_dwordx4 v[154:157], v127, off
	s_nop 0
	scratch_load_dwordx4 v[126:129], v126, off
	s_waitcnt vmcnt(21)
	global_store_dwordx4 v[26:27], v[162:165], off
	scratch_load_dwordx4 v[24:27], v125, off
	s_nop 0
	scratch_load_dwordx4 v[158:161], v124, off
	s_waitcnt vmcnt(22)
	global_store_dwordx4 v[20:21], v[2:5], off
	scratch_load_dwordx4 v[2:5], v123, off
	s_nop 0
	scratch_load_dwordx4 v[122:125], v122, off
	s_waitcnt vmcnt(24)
	global_store_dwordx4 v[22:23], v[138:141], off
	scratch_load_dwordx4 v[20:23], v121, off
	s_nop 0
	scratch_load_dwordx4 v[138:141], v120, off
	s_waitcnt vmcnt(25)
	global_store_dwordx4 v[16:17], v[6:9], off
	scratch_load_dwordx4 v[6:9], v119, off
	s_nop 0
	scratch_load_dwordx4 v[118:121], v118, off
	s_waitcnt vmcnt(27)
	global_store_dwordx4 v[18:19], v[36:39], off
	scratch_load_dwordx4 v[16:19], v117, off
	s_nop 0
	scratch_load_dwordx4 v[36:39], v116, off
	s_waitcnt vmcnt(28)
	global_store_dwordx4 v[14:15], v[146:149], off
	scratch_load_dwordx4 v[146:149], v115, off
	s_nop 0
	scratch_load_dwordx4 v[114:117], v114, off
	s_waitcnt vmcnt(30)
	global_store_dwordx4 v[54:55], v[134:137], off
	scratch_load_dwordx4 v[134:137], v113, off
	s_nop 0
	scratch_load_dwordx4 v[162:165], v112, off
	s_waitcnt vmcnt(31)
	global_store_dwordx4 v[50:51], v[150:153], off
	scratch_load_dwordx4 v[150:153], v111, off
	s_nop 0
	scratch_load_dwordx4 v[110:113], v110, off
	s_waitcnt vmcnt(33)
	global_store_dwordx4 v[52:53], v[166:169], off
	scratch_load_dwordx4 v[50:53], v109, off
	s_nop 0
	scratch_load_dwordx4 v[166:169], v108, off
	s_waitcnt vmcnt(34)
	global_store_dwordx4 v[44:45], v[28:31], off
	scratch_load_dwordx4 v[28:31], v107, off
	s_nop 0
	scratch_load_dwordx4 v[106:109], v106, off
	s_waitcnt vmcnt(36)
	global_store_dwordx4 v[48:49], v[130:133], off
	scratch_load_dwordx4 v[130:133], v105, off
	s_nop 0
	scratch_load_dwordx4 v[170:173], v11, off
	s_waitcnt vmcnt(37)
	global_store_dwordx4 v[40:41], v[32:35], off
	scratch_load_dwordx4 v[32:35], v10, off
	s_nop 0
	scratch_load_dwordx4 v[174:177], v1, off
	s_waitcnt vmcnt(39)
	global_store_dwordx4 v[42:43], v[142:145], off
	s_waitcnt vmcnt(38)
	global_store_dwordx4 v[46:47], v[154:157], off
	;; [unrolled: 2-line block ×27, first 2 shown]
.LBB45_723:
	s_endpgm
	.section	.rodata,"a",@progbits
	.p2align	6, 0x0
	.amdhsa_kernel _ZN9rocsolver6v33100L18trti2_kernel_smallILi46E19rocblas_complex_numIdEPS3_EEv13rocblas_fill_17rocblas_diagonal_T1_iil
		.amdhsa_group_segment_fixed_size 1472
		.amdhsa_private_segment_fixed_size 752
		.amdhsa_kernarg_size 32
		.amdhsa_user_sgpr_count 2
		.amdhsa_user_sgpr_dispatch_ptr 0
		.amdhsa_user_sgpr_queue_ptr 0
		.amdhsa_user_sgpr_kernarg_segment_ptr 1
		.amdhsa_user_sgpr_dispatch_id 0
		.amdhsa_user_sgpr_kernarg_preload_length 0
		.amdhsa_user_sgpr_kernarg_preload_offset 0
		.amdhsa_user_sgpr_private_segment_size 0
		.amdhsa_uses_dynamic_stack 0
		.amdhsa_enable_private_segment 1
		.amdhsa_system_sgpr_workgroup_id_x 1
		.amdhsa_system_sgpr_workgroup_id_y 0
		.amdhsa_system_sgpr_workgroup_id_z 0
		.amdhsa_system_sgpr_workgroup_info 0
		.amdhsa_system_vgpr_workitem_id 0
		.amdhsa_next_free_vgpr 178
		.amdhsa_next_free_sgpr 12
		.amdhsa_accum_offset 180
		.amdhsa_reserve_vcc 1
		.amdhsa_float_round_mode_32 0
		.amdhsa_float_round_mode_16_64 0
		.amdhsa_float_denorm_mode_32 3
		.amdhsa_float_denorm_mode_16_64 3
		.amdhsa_dx10_clamp 1
		.amdhsa_ieee_mode 1
		.amdhsa_fp16_overflow 0
		.amdhsa_tg_split 0
		.amdhsa_exception_fp_ieee_invalid_op 0
		.amdhsa_exception_fp_denorm_src 0
		.amdhsa_exception_fp_ieee_div_zero 0
		.amdhsa_exception_fp_ieee_overflow 0
		.amdhsa_exception_fp_ieee_underflow 0
		.amdhsa_exception_fp_ieee_inexact 0
		.amdhsa_exception_int_div_zero 0
	.end_amdhsa_kernel
	.section	.text._ZN9rocsolver6v33100L18trti2_kernel_smallILi46E19rocblas_complex_numIdEPS3_EEv13rocblas_fill_17rocblas_diagonal_T1_iil,"axG",@progbits,_ZN9rocsolver6v33100L18trti2_kernel_smallILi46E19rocblas_complex_numIdEPS3_EEv13rocblas_fill_17rocblas_diagonal_T1_iil,comdat
.Lfunc_end45:
	.size	_ZN9rocsolver6v33100L18trti2_kernel_smallILi46E19rocblas_complex_numIdEPS3_EEv13rocblas_fill_17rocblas_diagonal_T1_iil, .Lfunc_end45-_ZN9rocsolver6v33100L18trti2_kernel_smallILi46E19rocblas_complex_numIdEPS3_EEv13rocblas_fill_17rocblas_diagonal_T1_iil
                                        ; -- End function
	.section	.AMDGPU.csdata,"",@progbits
; Kernel info:
; codeLenInByte = 30332
; NumSgprs: 18
; NumVgprs: 178
; NumAgprs: 0
; TotalNumVgprs: 178
; ScratchSize: 752
; MemoryBound: 0
; FloatMode: 240
; IeeeMode: 1
; LDSByteSize: 1472 bytes/workgroup (compile time only)
; SGPRBlocks: 2
; VGPRBlocks: 22
; NumSGPRsForWavesPerEU: 18
; NumVGPRsForWavesPerEU: 178
; AccumOffset: 180
; Occupancy: 2
; WaveLimiterHint : 0
; COMPUTE_PGM_RSRC2:SCRATCH_EN: 1
; COMPUTE_PGM_RSRC2:USER_SGPR: 2
; COMPUTE_PGM_RSRC2:TRAP_HANDLER: 0
; COMPUTE_PGM_RSRC2:TGID_X_EN: 1
; COMPUTE_PGM_RSRC2:TGID_Y_EN: 0
; COMPUTE_PGM_RSRC2:TGID_Z_EN: 0
; COMPUTE_PGM_RSRC2:TIDIG_COMP_CNT: 0
; COMPUTE_PGM_RSRC3_GFX90A:ACCUM_OFFSET: 44
; COMPUTE_PGM_RSRC3_GFX90A:TG_SPLIT: 0
	.section	.text._ZN9rocsolver6v33100L18trti2_kernel_smallILi47E19rocblas_complex_numIdEPS3_EEv13rocblas_fill_17rocblas_diagonal_T1_iil,"axG",@progbits,_ZN9rocsolver6v33100L18trti2_kernel_smallILi47E19rocblas_complex_numIdEPS3_EEv13rocblas_fill_17rocblas_diagonal_T1_iil,comdat
	.globl	_ZN9rocsolver6v33100L18trti2_kernel_smallILi47E19rocblas_complex_numIdEPS3_EEv13rocblas_fill_17rocblas_diagonal_T1_iil ; -- Begin function _ZN9rocsolver6v33100L18trti2_kernel_smallILi47E19rocblas_complex_numIdEPS3_EEv13rocblas_fill_17rocblas_diagonal_T1_iil
	.p2align	8
	.type	_ZN9rocsolver6v33100L18trti2_kernel_smallILi47E19rocblas_complex_numIdEPS3_EEv13rocblas_fill_17rocblas_diagonal_T1_iil,@function
_ZN9rocsolver6v33100L18trti2_kernel_smallILi47E19rocblas_complex_numIdEPS3_EEv13rocblas_fill_17rocblas_diagonal_T1_iil: ; @_ZN9rocsolver6v33100L18trti2_kernel_smallILi47E19rocblas_complex_numIdEPS3_EEv13rocblas_fill_17rocblas_diagonal_T1_iil
; %bb.0:
	v_cmp_gt_u32_e32 vcc, 47, v0
	s_and_saveexec_b64 s[4:5], vcc
	s_cbranch_execz .LBB46_739
; %bb.1:
	s_load_dwordx8 s[4:11], s[0:1], 0x0
	s_ashr_i32 s3, s2, 31
	v_lshlrev_b32_e32 v64, 4, v0
	v_mov_b32_e32 v65, 0
	v_mov_b32_e32 v1, 0
	s_waitcnt lgkmcnt(0)
	s_ashr_i32 s1, s8, 31
	s_mov_b32 s0, s8
	s_mul_i32 s8, s2, s11
	s_mul_hi_u32 s11, s2, s10
	s_add_i32 s8, s11, s8
	s_mul_i32 s3, s3, s10
	s_add_i32 s3, s8, s3
	s_mul_i32 s2, s2, s10
	s_lshl_b64 s[2:3], s[2:3], 4
	s_add_u32 s2, s6, s2
	s_addc_u32 s3, s7, s3
	s_lshl_b64 s[0:1], s[0:1], 4
	s_add_u32 s0, s2, s0
	s_addc_u32 s1, s3, s1
	v_lshl_add_u64 v[12:13], s[0:1], 0, v[64:65]
	s_ashr_i32 s3, s9, 31
	s_mov_b32 s2, s9
	v_lshl_add_u64 v[14:15], s[2:3], 4, v[12:13]
	s_add_i32 s2, s9, s9
	v_add_u32_e32 v10, s2, v0
	v_ashrrev_i32_e32 v11, 31, v10
	v_lshl_add_u64 v[16:17], v[10:11], 4, s[0:1]
	v_add_u32_e32 v10, s9, v10
	v_ashrrev_i32_e32 v11, 31, v10
	v_lshl_add_u64 v[18:19], v[10:11], 4, s[0:1]
	;; [unrolled: 3-line block ×4, first 2 shown]
	v_add_u32_e32 v10, s9, v10
	v_ashrrev_i32_e32 v11, 31, v10
	global_load_dwordx4 v[2:5], v64, s[0:1]
	global_load_dwordx4 v[6:9], v[14:15], off
	global_load_dwordx4 v[50:53], v[16:17], off
	;; [unrolled: 1-line block ×4, first 2 shown]
	v_lshl_add_u64 v[24:25], v[10:11], 4, s[0:1]
	global_load_dwordx4 v[66:69], v[22:23], off
	global_load_dwordx4 v[70:73], v[24:25], off
	v_add_u32_e32 v10, s9, v10
	v_ashrrev_i32_e32 v11, 31, v10
	v_add_u32_e32 v28, s9, v10
	v_lshl_add_u64 v[26:27], v[10:11], 4, s[0:1]
	v_add_u32_e32 v10, s9, v28
	v_ashrrev_i32_e32 v11, 31, v10
	v_add_u32_e32 v32, s9, v10
	v_lshl_add_u64 v[30:31], v[10:11], 4, s[0:1]
	;; [unrolled: 4-line block ×6, first 2 shown]
	v_add_u32_e32 v10, s9, v48
	v_ashrrev_i32_e32 v29, 31, v28
	v_ashrrev_i32_e32 v33, 31, v32
	v_ashrrev_i32_e32 v37, 31, v36
	v_ashrrev_i32_e32 v41, 31, v40
	v_ashrrev_i32_e32 v45, 31, v44
	v_ashrrev_i32_e32 v49, 31, v48
	v_ashrrev_i32_e32 v11, 31, v10
	v_lshl_add_u64 v[28:29], v[28:29], 4, s[0:1]
	global_load_dwordx4 v[76:79], v[26:27], off
	global_load_dwordx4 v[80:83], v[28:29], off
	v_lshl_add_u64 v[32:33], v[32:33], 4, s[0:1]
	global_load_dwordx4 v[84:87], v[30:31], off
	global_load_dwordx4 v[88:91], v[32:33], off
	;; [unrolled: 3-line block ×6, first 2 shown]
	s_cmpk_lg_i32 s5, 0x84
	s_cselect_b64 s[6:7], -1, 0
	s_cmpk_eq_i32 s5, 0x84
	s_waitcnt vmcnt(18)
	scratch_store_dwordx4 off, v[2:5], off
	s_waitcnt vmcnt(18)
	scratch_store_dwordx4 off, v[6:9], off offset:16
	s_waitcnt vmcnt(18)
	scratch_store_dwordx4 off, v[50:53], off offset:32
	;; [unrolled: 2-line block ×6, first 2 shown]
	v_lshl_add_u64 v[50:51], v[10:11], 4, s[0:1]
	v_add_u32_e32 v10, s9, v10
	v_ashrrev_i32_e32 v11, 31, v10
	v_lshl_add_u64 v[52:53], v[10:11], 4, s[0:1]
	v_add_u32_e32 v10, s9, v10
	v_ashrrev_i32_e32 v11, 31, v10
	;; [unrolled: 3-line block ×11, first 2 shown]
	global_load_dwordx4 v[2:5], v[50:51], off
	global_load_dwordx4 v[6:9], v[52:53], off
	;; [unrolled: 1-line block ×10, first 2 shown]
	v_lshl_add_u64 v[74:75], v[10:11], 4, s[0:1]
	global_load_dwordx4 v[156:159], v[72:73], off
	global_load_dwordx4 v[160:163], v[74:75], off
	s_waitcnt vmcnt(30)
	scratch_store_dwordx4 off, v[76:79], off offset:112
	s_waitcnt vmcnt(30)
	scratch_store_dwordx4 off, v[80:83], off offset:128
	;; [unrolled: 2-line block ×24, first 2 shown]
	v_add_u32_e32 v2, s9, v10
	v_add_u32_e32 v10, s9, v2
	v_ashrrev_i32_e32 v11, 31, v10
	v_lshl_add_u64 v[78:79], v[10:11], 4, s[0:1]
	v_add_u32_e32 v10, s9, v10
	v_ashrrev_i32_e32 v11, 31, v10
	v_lshl_add_u64 v[80:81], v[10:11], 4, s[0:1]
	;; [unrolled: 3-line block ×13, first 2 shown]
	v_add_u32_e32 v10, s9, v10
	v_ashrrev_i32_e32 v11, 31, v10
	v_ashrrev_i32_e32 v3, 31, v2
	v_lshl_add_u64 v[104:105], v[10:11], 4, s[0:1]
	v_add_u32_e32 v10, s9, v10
	v_lshl_add_u64 v[76:77], v[2:3], 4, s[0:1]
	v_ashrrev_i32_e32 v11, 31, v10
	global_load_dwordx4 v[2:5], v[76:77], off
	global_load_dwordx4 v[6:9], v[78:79], off
	;; [unrolled: 1-line block ×14, first 2 shown]
	v_lshl_add_u64 v[106:107], v[10:11], 4, s[0:1]
	global_load_dwordx4 v[156:159], v[104:105], off
	global_load_dwordx4 v[160:163], v[106:107], off
	s_waitcnt vmcnt(15)
	scratch_store_dwordx4 off, v[2:5], off offset:496
	s_waitcnt vmcnt(15)
	scratch_store_dwordx4 off, v[6:9], off offset:512
	;; [unrolled: 2-line block ×16, first 2 shown]
	s_cbranch_scc1 .LBB46_7
; %bb.2:
	scratch_load_dwordx4 v[8:11], v64, off
                                        ; implicit-def: $vgpr6_vgpr7
	s_waitcnt vmcnt(0)
	v_xor_b32_e32 v3, 0x80000000, v9
	v_cmp_gt_f64_e32 vcc, 0, v[8:9]
	v_xor_b32_e32 v4, 0x80000000, v11
	v_mov_b32_e32 v2, v8
	v_cndmask_b32_e32 v3, v9, v3, vcc
	v_cmp_gt_f64_e32 vcc, 0, v[10:11]
	s_nop 1
	v_cndmask_b32_e32 v5, v11, v4, vcc
	v_mov_b32_e32 v4, v10
	v_cmp_ngt_f64_e32 vcc, v[2:3], v[4:5]
                                        ; implicit-def: $vgpr2_vgpr3
	s_and_saveexec_b64 s[0:1], vcc
	s_xor_b64 s[0:1], exec, s[0:1]
	s_cbranch_execz .LBB46_4
; %bb.3:
	v_div_scale_f64 v[2:3], s[2:3], v[10:11], v[10:11], v[8:9]
	v_rcp_f64_e32 v[4:5], v[2:3]
	v_div_scale_f64 v[6:7], vcc, v[8:9], v[10:11], v[8:9]
	v_fma_f64 v[108:109], -v[2:3], v[4:5], 1.0
	v_fmac_f64_e32 v[4:5], v[4:5], v[108:109]
	v_fma_f64 v[108:109], -v[2:3], v[4:5], 1.0
	v_fmac_f64_e32 v[4:5], v[4:5], v[108:109]
	v_mul_f64 v[108:109], v[6:7], v[4:5]
	v_fma_f64 v[2:3], -v[2:3], v[108:109], v[6:7]
	v_div_fmas_f64 v[2:3], v[2:3], v[4:5], v[108:109]
	v_div_fixup_f64 v[2:3], v[2:3], v[10:11], v[8:9]
	v_fmac_f64_e32 v[10:11], v[8:9], v[2:3]
	v_div_scale_f64 v[4:5], s[2:3], v[10:11], v[10:11], 1.0
	v_rcp_f64_e32 v[6:7], v[4:5]
	s_nop 0
	v_fma_f64 v[8:9], -v[4:5], v[6:7], 1.0
	v_fmac_f64_e32 v[6:7], v[6:7], v[8:9]
	v_fma_f64 v[8:9], -v[4:5], v[6:7], 1.0
	v_fmac_f64_e32 v[6:7], v[6:7], v[8:9]
	v_div_scale_f64 v[8:9], vcc, 1.0, v[10:11], 1.0
	v_mul_f64 v[108:109], v[8:9], v[6:7]
	v_fma_f64 v[4:5], -v[4:5], v[108:109], v[8:9]
                                        ; implicit-def: $vgpr8_vgpr9
	s_nop 1
	v_div_fmas_f64 v[4:5], v[4:5], v[6:7], v[108:109]
	v_div_fixup_f64 v[4:5], v[4:5], v[10:11], 1.0
	v_mul_f64 v[2:3], v[2:3], v[4:5]
	v_xor_b32_e32 v5, 0x80000000, v5
	v_xor_b32_e32 v7, 0x80000000, v3
	v_mov_b32_e32 v6, v2
.LBB46_4:
	s_or_saveexec_b64 s[0:1], s[0:1]
	v_add_u32_e32 v65, 0, v64
	s_xor_b64 exec, exec, s[0:1]
	s_cbranch_execz .LBB46_6
; %bb.5:
	v_div_scale_f64 v[2:3], s[2:3], v[8:9], v[8:9], v[10:11]
	v_rcp_f64_e32 v[4:5], v[2:3]
	v_div_scale_f64 v[6:7], vcc, v[10:11], v[8:9], v[10:11]
	v_fma_f64 v[108:109], -v[2:3], v[4:5], 1.0
	v_fmac_f64_e32 v[4:5], v[4:5], v[108:109]
	v_fma_f64 v[108:109], -v[2:3], v[4:5], 1.0
	v_fmac_f64_e32 v[4:5], v[4:5], v[108:109]
	v_mul_f64 v[108:109], v[6:7], v[4:5]
	v_fma_f64 v[2:3], -v[2:3], v[108:109], v[6:7]
	v_div_fmas_f64 v[2:3], v[2:3], v[4:5], v[108:109]
	v_div_fixup_f64 v[4:5], v[2:3], v[8:9], v[10:11]
	v_fmac_f64_e32 v[8:9], v[10:11], v[4:5]
	v_div_scale_f64 v[2:3], s[2:3], v[8:9], v[8:9], 1.0
	v_rcp_f64_e32 v[6:7], v[2:3]
	s_nop 0
	v_fma_f64 v[10:11], -v[2:3], v[6:7], 1.0
	v_fmac_f64_e32 v[6:7], v[6:7], v[10:11]
	v_fma_f64 v[10:11], -v[2:3], v[6:7], 1.0
	v_fmac_f64_e32 v[6:7], v[6:7], v[10:11]
	v_div_scale_f64 v[10:11], vcc, 1.0, v[8:9], 1.0
	v_mul_f64 v[108:109], v[10:11], v[6:7]
	v_fma_f64 v[2:3], -v[2:3], v[108:109], v[10:11]
	s_nop 1
	v_div_fmas_f64 v[2:3], v[2:3], v[6:7], v[108:109]
	v_div_fixup_f64 v[2:3], v[2:3], v[8:9], 1.0
	v_xor_b32_e32 v7, 0x80000000, v3
	v_mov_b32_e32 v6, v2
	v_mul_f64 v[4:5], v[4:5], -v[2:3]
.LBB46_6:
	s_or_b64 exec, exec, s[0:1]
	scratch_store_dwordx4 v65, v[2:5], off
	s_nop 1
	v_xor_b32_e32 v5, 0x80000000, v5
	s_branch .LBB46_8
.LBB46_7:
	v_mov_b64_e32 v[4:5], 0
	v_mov_b64_e32 v[6:7], -1.0
.LBB46_8:
	v_mov_b32_e32 v8, v4
	v_mov_b32_e32 v9, v5
	v_add_u32_e32 v149, 16, v1
	v_add_u32_e32 v148, 32, v1
	;; [unrolled: 1-line block ×46, first 2 shown]
	ds_write_b128 v64, v[6:9]
	s_cmpk_eq_i32 s4, 0x79
	v_add_u32_e32 v9, 0x2f0, v64
	v_add_u32_e32 v8, 0, v64
	s_cbranch_scc1 .LBB46_372
; %bb.9:
	scratch_load_dwordx4 v[2:5], v10, off
	v_cmp_eq_u32_e64 s[0:1], 46, v0
	s_waitcnt vmcnt(0)
	ds_write_b128 v9, v[2:5]
	s_waitcnt lgkmcnt(0)
	; wave barrier
	s_waitcnt lgkmcnt(0)
	s_and_saveexec_b64 s[2:3], s[0:1]
	s_cbranch_execz .LBB46_13
; %bb.10:
	ds_read_b128 v[2:5], v9
	s_andn2_b64 vcc, exec, s[6:7]
	s_cbranch_vccnz .LBB46_12
; %bb.11:
	scratch_load_dwordx4 v[150:153], v8, off
	s_waitcnt vmcnt(0) lgkmcnt(0)
	v_mul_f64 v[6:7], v[4:5], v[152:153]
	v_mul_f64 v[152:153], v[2:3], v[152:153]
	v_fmac_f64_e32 v[152:153], v[4:5], v[150:151]
	v_fma_f64 v[2:3], v[2:3], v[150:151], -v[6:7]
	v_mov_b64_e32 v[4:5], v[152:153]
.LBB46_12:
	v_mov_b32_e32 v6, 0
	ds_read_b128 v[150:153], v6 offset:720
	s_waitcnt lgkmcnt(0)
	v_mul_f64 v[6:7], v[4:5], v[152:153]
	v_mul_f64 v[154:155], v[2:3], v[152:153]
	v_fma_f64 v[152:153], v[2:3], v[150:151], -v[6:7]
	v_fmac_f64_e32 v[154:155], v[4:5], v[150:151]
	scratch_store_dwordx4 off, v[152:155], off offset:720
.LBB46_13:
	s_or_b64 exec, exec, s[2:3]
	scratch_load_dwordx4 v[2:5], v11, off
	v_cmp_lt_u32_e64 s[2:3], 44, v0
	s_waitcnt vmcnt(0)
	ds_write_b128 v9, v[2:5]
	s_waitcnt lgkmcnt(0)
	; wave barrier
	s_waitcnt lgkmcnt(0)
	s_and_saveexec_b64 s[4:5], s[2:3]
	s_cbranch_execz .LBB46_19
; %bb.14:
	ds_read_b128 v[2:5], v9
	s_andn2_b64 vcc, exec, s[6:7]
	s_cbranch_vccnz .LBB46_16
; %bb.15:
	scratch_load_dwordx4 v[150:153], v8, off
	s_waitcnt vmcnt(0) lgkmcnt(0)
	v_mul_f64 v[6:7], v[4:5], v[152:153]
	v_mul_f64 v[152:153], v[2:3], v[152:153]
	v_fmac_f64_e32 v[152:153], v[4:5], v[150:151]
	v_fma_f64 v[2:3], v[2:3], v[150:151], -v[6:7]
	v_mov_b64_e32 v[4:5], v[152:153]
.LBB46_16:
	s_and_saveexec_b64 s[8:9], s[0:1]
	s_cbranch_execz .LBB46_18
; %bb.17:
	scratch_load_dwordx4 v[150:153], off, off offset:720
	v_mov_b32_e32 v6, 0
	ds_read_b128 v[154:157], v6 offset:1472
	s_waitcnt vmcnt(0) lgkmcnt(0)
	v_mul_f64 v[6:7], v[154:155], v[152:153]
	v_mul_f64 v[152:153], v[156:157], v[152:153]
	v_fmac_f64_e32 v[6:7], v[156:157], v[150:151]
	v_fma_f64 v[150:151], v[154:155], v[150:151], -v[152:153]
	v_add_f64 v[4:5], v[4:5], v[6:7]
	v_add_f64 v[2:3], v[2:3], v[150:151]
.LBB46_18:
	s_or_b64 exec, exec, s[8:9]
	v_mov_b32_e32 v6, 0
	ds_read_b128 v[150:153], v6 offset:704
	s_waitcnt lgkmcnt(0)
	v_mul_f64 v[6:7], v[4:5], v[152:153]
	v_mul_f64 v[154:155], v[2:3], v[152:153]
	v_fma_f64 v[152:153], v[2:3], v[150:151], -v[6:7]
	v_fmac_f64_e32 v[154:155], v[4:5], v[150:151]
	scratch_store_dwordx4 off, v[152:155], off offset:704
.LBB46_19:
	s_or_b64 exec, exec, s[4:5]
	scratch_load_dwordx4 v[2:5], v65, off
	v_cmp_lt_u32_e64 s[0:1], 43, v0
	s_waitcnt vmcnt(0)
	ds_write_b128 v9, v[2:5]
	s_waitcnt lgkmcnt(0)
	; wave barrier
	s_waitcnt lgkmcnt(0)
	s_and_saveexec_b64 s[4:5], s[0:1]
	s_cbranch_execz .LBB46_27
; %bb.20:
	ds_read_b128 v[2:5], v9
	s_andn2_b64 vcc, exec, s[6:7]
	s_cbranch_vccnz .LBB46_22
; %bb.21:
	scratch_load_dwordx4 v[150:153], v8, off
	s_waitcnt vmcnt(0) lgkmcnt(0)
	v_mul_f64 v[6:7], v[4:5], v[152:153]
	v_mul_f64 v[152:153], v[2:3], v[152:153]
	v_fmac_f64_e32 v[152:153], v[4:5], v[150:151]
	v_fma_f64 v[2:3], v[2:3], v[150:151], -v[6:7]
	v_mov_b64_e32 v[4:5], v[152:153]
.LBB46_22:
	s_and_saveexec_b64 s[8:9], s[2:3]
	s_cbranch_execz .LBB46_26
; %bb.23:
	v_mov_b32_e32 v7, 0
	v_subrev_u32_e32 v6, 44, v0
	v_add_u32_e32 v7, 0x2c8, v7
	s_movk_i32 s10, 0x5b0
	s_mov_b64 s[2:3], 0
.LBB46_24:                              ; =>This Inner Loop Header: Depth=1
	v_add_u32_e32 v150, -8, v7
	scratch_load_dwordx4 v[150:153], v150, off
	v_mov_b32_e32 v154, s10
	ds_read_b128 v[154:157], v154
	v_add_u32_e32 v6, -1, v6
	s_add_i32 s10, s10, 16
	v_cmp_eq_u32_e32 vcc, 0, v6
	v_add_u32_e32 v7, 16, v7
	s_or_b64 s[2:3], vcc, s[2:3]
	s_waitcnt vmcnt(0) lgkmcnt(0)
	v_mul_f64 v[158:159], v[156:157], v[152:153]
	v_mul_f64 v[152:153], v[154:155], v[152:153]
	v_fma_f64 v[154:155], v[154:155], v[150:151], -v[158:159]
	v_fmac_f64_e32 v[152:153], v[156:157], v[150:151]
	v_add_f64 v[2:3], v[2:3], v[154:155]
	v_add_f64 v[4:5], v[4:5], v[152:153]
	s_andn2_b64 exec, exec, s[2:3]
	s_cbranch_execnz .LBB46_24
; %bb.25:
	s_or_b64 exec, exec, s[2:3]
.LBB46_26:
	s_or_b64 exec, exec, s[8:9]
	v_mov_b32_e32 v6, 0
	ds_read_b128 v[150:153], v6 offset:688
	s_waitcnt lgkmcnt(0)
	v_mul_f64 v[6:7], v[4:5], v[152:153]
	v_mul_f64 v[154:155], v[2:3], v[152:153]
	v_fma_f64 v[152:153], v[2:3], v[150:151], -v[6:7]
	v_fmac_f64_e32 v[154:155], v[4:5], v[150:151]
	scratch_store_dwordx4 off, v[152:155], off offset:688
.LBB46_27:
	s_or_b64 exec, exec, s[4:5]
	scratch_load_dwordx4 v[2:5], v108, off
	v_cmp_lt_u32_e64 s[2:3], 42, v0
	s_waitcnt vmcnt(0)
	ds_write_b128 v9, v[2:5]
	s_waitcnt lgkmcnt(0)
	; wave barrier
	s_waitcnt lgkmcnt(0)
	s_and_saveexec_b64 s[4:5], s[2:3]
	s_cbranch_execz .LBB46_35
; %bb.28:
	ds_read_b128 v[2:5], v9
	s_andn2_b64 vcc, exec, s[6:7]
	s_cbranch_vccnz .LBB46_30
; %bb.29:
	scratch_load_dwordx4 v[150:153], v8, off
	s_waitcnt vmcnt(0) lgkmcnt(0)
	v_mul_f64 v[6:7], v[4:5], v[152:153]
	v_mul_f64 v[152:153], v[2:3], v[152:153]
	v_fmac_f64_e32 v[152:153], v[4:5], v[150:151]
	v_fma_f64 v[2:3], v[2:3], v[150:151], -v[6:7]
	v_mov_b64_e32 v[4:5], v[152:153]
.LBB46_30:
	s_and_saveexec_b64 s[8:9], s[0:1]
	s_cbranch_execz .LBB46_34
; %bb.31:
	v_mov_b32_e32 v7, 0
	v_subrev_u32_e32 v6, 43, v0
	v_add_u32_e32 v7, 0x2b8, v7
	s_movk_i32 s10, 0x5a0
	s_mov_b64 s[0:1], 0
.LBB46_32:                              ; =>This Inner Loop Header: Depth=1
	v_add_u32_e32 v150, -8, v7
	scratch_load_dwordx4 v[150:153], v150, off
	v_mov_b32_e32 v154, s10
	ds_read_b128 v[154:157], v154
	v_add_u32_e32 v6, -1, v6
	s_add_i32 s10, s10, 16
	v_cmp_eq_u32_e32 vcc, 0, v6
	v_add_u32_e32 v7, 16, v7
	s_or_b64 s[0:1], vcc, s[0:1]
	s_waitcnt vmcnt(0) lgkmcnt(0)
	v_mul_f64 v[158:159], v[156:157], v[152:153]
	v_mul_f64 v[152:153], v[154:155], v[152:153]
	v_fma_f64 v[154:155], v[154:155], v[150:151], -v[158:159]
	v_fmac_f64_e32 v[152:153], v[156:157], v[150:151]
	v_add_f64 v[2:3], v[2:3], v[154:155]
	v_add_f64 v[4:5], v[4:5], v[152:153]
	s_andn2_b64 exec, exec, s[0:1]
	s_cbranch_execnz .LBB46_32
; %bb.33:
	s_or_b64 exec, exec, s[0:1]
.LBB46_34:
	s_or_b64 exec, exec, s[8:9]
	v_mov_b32_e32 v6, 0
	ds_read_b128 v[150:153], v6 offset:672
	s_waitcnt lgkmcnt(0)
	v_mul_f64 v[6:7], v[4:5], v[152:153]
	v_mul_f64 v[154:155], v[2:3], v[152:153]
	v_fma_f64 v[152:153], v[2:3], v[150:151], -v[6:7]
	v_fmac_f64_e32 v[154:155], v[4:5], v[150:151]
	scratch_store_dwordx4 off, v[152:155], off offset:672
.LBB46_35:
	s_or_b64 exec, exec, s[4:5]
	scratch_load_dwordx4 v[2:5], v109, off
	v_cmp_lt_u32_e64 s[0:1], 41, v0
	s_waitcnt vmcnt(0)
	ds_write_b128 v9, v[2:5]
	s_waitcnt lgkmcnt(0)
	; wave barrier
	s_waitcnt lgkmcnt(0)
	s_and_saveexec_b64 s[4:5], s[0:1]
	s_cbranch_execz .LBB46_43
; %bb.36:
	ds_read_b128 v[2:5], v9
	s_andn2_b64 vcc, exec, s[6:7]
	s_cbranch_vccnz .LBB46_38
; %bb.37:
	scratch_load_dwordx4 v[150:153], v8, off
	s_waitcnt vmcnt(0) lgkmcnt(0)
	v_mul_f64 v[6:7], v[4:5], v[152:153]
	v_mul_f64 v[152:153], v[2:3], v[152:153]
	v_fmac_f64_e32 v[152:153], v[4:5], v[150:151]
	v_fma_f64 v[2:3], v[2:3], v[150:151], -v[6:7]
	v_mov_b64_e32 v[4:5], v[152:153]
.LBB46_38:
	s_and_saveexec_b64 s[8:9], s[2:3]
	s_cbranch_execz .LBB46_42
; %bb.39:
	v_mov_b32_e32 v7, 0
	v_subrev_u32_e32 v6, 42, v0
	v_add_u32_e32 v7, 0x2a8, v7
	s_movk_i32 s10, 0x590
	s_mov_b64 s[2:3], 0
.LBB46_40:                              ; =>This Inner Loop Header: Depth=1
	v_add_u32_e32 v150, -8, v7
	scratch_load_dwordx4 v[150:153], v150, off
	v_mov_b32_e32 v154, s10
	ds_read_b128 v[154:157], v154
	v_add_u32_e32 v6, -1, v6
	s_add_i32 s10, s10, 16
	v_cmp_eq_u32_e32 vcc, 0, v6
	v_add_u32_e32 v7, 16, v7
	s_or_b64 s[2:3], vcc, s[2:3]
	s_waitcnt vmcnt(0) lgkmcnt(0)
	v_mul_f64 v[158:159], v[156:157], v[152:153]
	v_mul_f64 v[152:153], v[154:155], v[152:153]
	v_fma_f64 v[154:155], v[154:155], v[150:151], -v[158:159]
	v_fmac_f64_e32 v[152:153], v[156:157], v[150:151]
	v_add_f64 v[2:3], v[2:3], v[154:155]
	v_add_f64 v[4:5], v[4:5], v[152:153]
	s_andn2_b64 exec, exec, s[2:3]
	s_cbranch_execnz .LBB46_40
; %bb.41:
	s_or_b64 exec, exec, s[2:3]
.LBB46_42:
	s_or_b64 exec, exec, s[8:9]
	v_mov_b32_e32 v6, 0
	ds_read_b128 v[150:153], v6 offset:656
	s_waitcnt lgkmcnt(0)
	v_mul_f64 v[6:7], v[4:5], v[152:153]
	v_mul_f64 v[154:155], v[2:3], v[152:153]
	v_fma_f64 v[152:153], v[2:3], v[150:151], -v[6:7]
	v_fmac_f64_e32 v[154:155], v[4:5], v[150:151]
	scratch_store_dwordx4 off, v[152:155], off offset:656
.LBB46_43:
	s_or_b64 exec, exec, s[4:5]
	scratch_load_dwordx4 v[2:5], v110, off
	v_cmp_lt_u32_e64 s[2:3], 40, v0
	s_waitcnt vmcnt(0)
	ds_write_b128 v9, v[2:5]
	s_waitcnt lgkmcnt(0)
	; wave barrier
	s_waitcnt lgkmcnt(0)
	s_and_saveexec_b64 s[4:5], s[2:3]
	s_cbranch_execz .LBB46_51
; %bb.44:
	ds_read_b128 v[2:5], v9
	s_andn2_b64 vcc, exec, s[6:7]
	s_cbranch_vccnz .LBB46_46
; %bb.45:
	scratch_load_dwordx4 v[150:153], v8, off
	s_waitcnt vmcnt(0) lgkmcnt(0)
	v_mul_f64 v[6:7], v[4:5], v[152:153]
	v_mul_f64 v[152:153], v[2:3], v[152:153]
	v_fmac_f64_e32 v[152:153], v[4:5], v[150:151]
	v_fma_f64 v[2:3], v[2:3], v[150:151], -v[6:7]
	v_mov_b64_e32 v[4:5], v[152:153]
.LBB46_46:
	s_and_saveexec_b64 s[8:9], s[0:1]
	s_cbranch_execz .LBB46_50
; %bb.47:
	v_mov_b32_e32 v7, 0
	v_subrev_u32_e32 v6, 41, v0
	v_add_u32_e32 v7, 0x298, v7
	s_movk_i32 s10, 0x580
	s_mov_b64 s[0:1], 0
.LBB46_48:                              ; =>This Inner Loop Header: Depth=1
	v_add_u32_e32 v150, -8, v7
	scratch_load_dwordx4 v[150:153], v150, off
	v_mov_b32_e32 v154, s10
	ds_read_b128 v[154:157], v154
	v_add_u32_e32 v6, -1, v6
	s_add_i32 s10, s10, 16
	v_cmp_eq_u32_e32 vcc, 0, v6
	v_add_u32_e32 v7, 16, v7
	s_or_b64 s[0:1], vcc, s[0:1]
	s_waitcnt vmcnt(0) lgkmcnt(0)
	v_mul_f64 v[158:159], v[156:157], v[152:153]
	v_mul_f64 v[152:153], v[154:155], v[152:153]
	v_fma_f64 v[154:155], v[154:155], v[150:151], -v[158:159]
	v_fmac_f64_e32 v[152:153], v[156:157], v[150:151]
	v_add_f64 v[2:3], v[2:3], v[154:155]
	v_add_f64 v[4:5], v[4:5], v[152:153]
	s_andn2_b64 exec, exec, s[0:1]
	s_cbranch_execnz .LBB46_48
; %bb.49:
	s_or_b64 exec, exec, s[0:1]
.LBB46_50:
	s_or_b64 exec, exec, s[8:9]
	v_mov_b32_e32 v6, 0
	ds_read_b128 v[150:153], v6 offset:640
	s_waitcnt lgkmcnt(0)
	v_mul_f64 v[6:7], v[4:5], v[152:153]
	v_mul_f64 v[154:155], v[2:3], v[152:153]
	v_fma_f64 v[152:153], v[2:3], v[150:151], -v[6:7]
	v_fmac_f64_e32 v[154:155], v[4:5], v[150:151]
	scratch_store_dwordx4 off, v[152:155], off offset:640
.LBB46_51:
	s_or_b64 exec, exec, s[4:5]
	scratch_load_dwordx4 v[2:5], v111, off
	v_cmp_lt_u32_e64 s[0:1], 39, v0
	s_waitcnt vmcnt(0)
	ds_write_b128 v9, v[2:5]
	s_waitcnt lgkmcnt(0)
	; wave barrier
	s_waitcnt lgkmcnt(0)
	s_and_saveexec_b64 s[4:5], s[0:1]
	s_cbranch_execz .LBB46_59
; %bb.52:
	ds_read_b128 v[2:5], v9
	s_andn2_b64 vcc, exec, s[6:7]
	s_cbranch_vccnz .LBB46_54
; %bb.53:
	scratch_load_dwordx4 v[150:153], v8, off
	s_waitcnt vmcnt(0) lgkmcnt(0)
	v_mul_f64 v[6:7], v[4:5], v[152:153]
	v_mul_f64 v[152:153], v[2:3], v[152:153]
	v_fmac_f64_e32 v[152:153], v[4:5], v[150:151]
	v_fma_f64 v[2:3], v[2:3], v[150:151], -v[6:7]
	v_mov_b64_e32 v[4:5], v[152:153]
.LBB46_54:
	s_and_saveexec_b64 s[8:9], s[2:3]
	s_cbranch_execz .LBB46_58
; %bb.55:
	v_mov_b32_e32 v7, 0
	v_subrev_u32_e32 v6, 40, v0
	v_add_u32_e32 v7, 0x288, v7
	s_movk_i32 s10, 0x570
	s_mov_b64 s[2:3], 0
.LBB46_56:                              ; =>This Inner Loop Header: Depth=1
	v_add_u32_e32 v150, -8, v7
	scratch_load_dwordx4 v[150:153], v150, off
	v_mov_b32_e32 v154, s10
	ds_read_b128 v[154:157], v154
	v_add_u32_e32 v6, -1, v6
	s_add_i32 s10, s10, 16
	v_cmp_eq_u32_e32 vcc, 0, v6
	v_add_u32_e32 v7, 16, v7
	s_or_b64 s[2:3], vcc, s[2:3]
	s_waitcnt vmcnt(0) lgkmcnt(0)
	v_mul_f64 v[158:159], v[156:157], v[152:153]
	v_mul_f64 v[152:153], v[154:155], v[152:153]
	v_fma_f64 v[154:155], v[154:155], v[150:151], -v[158:159]
	v_fmac_f64_e32 v[152:153], v[156:157], v[150:151]
	v_add_f64 v[2:3], v[2:3], v[154:155]
	v_add_f64 v[4:5], v[4:5], v[152:153]
	s_andn2_b64 exec, exec, s[2:3]
	s_cbranch_execnz .LBB46_56
; %bb.57:
	s_or_b64 exec, exec, s[2:3]
.LBB46_58:
	s_or_b64 exec, exec, s[8:9]
	v_mov_b32_e32 v6, 0
	ds_read_b128 v[150:153], v6 offset:624
	s_waitcnt lgkmcnt(0)
	v_mul_f64 v[6:7], v[4:5], v[152:153]
	v_mul_f64 v[154:155], v[2:3], v[152:153]
	v_fma_f64 v[152:153], v[2:3], v[150:151], -v[6:7]
	v_fmac_f64_e32 v[154:155], v[4:5], v[150:151]
	scratch_store_dwordx4 off, v[152:155], off offset:624
.LBB46_59:
	s_or_b64 exec, exec, s[4:5]
	scratch_load_dwordx4 v[2:5], v112, off
	v_cmp_lt_u32_e64 s[2:3], 38, v0
	s_waitcnt vmcnt(0)
	ds_write_b128 v9, v[2:5]
	s_waitcnt lgkmcnt(0)
	; wave barrier
	s_waitcnt lgkmcnt(0)
	s_and_saveexec_b64 s[4:5], s[2:3]
	s_cbranch_execz .LBB46_67
; %bb.60:
	ds_read_b128 v[2:5], v9
	s_andn2_b64 vcc, exec, s[6:7]
	s_cbranch_vccnz .LBB46_62
; %bb.61:
	scratch_load_dwordx4 v[150:153], v8, off
	s_waitcnt vmcnt(0) lgkmcnt(0)
	v_mul_f64 v[6:7], v[4:5], v[152:153]
	v_mul_f64 v[152:153], v[2:3], v[152:153]
	v_fmac_f64_e32 v[152:153], v[4:5], v[150:151]
	v_fma_f64 v[2:3], v[2:3], v[150:151], -v[6:7]
	v_mov_b64_e32 v[4:5], v[152:153]
.LBB46_62:
	s_and_saveexec_b64 s[8:9], s[0:1]
	s_cbranch_execz .LBB46_66
; %bb.63:
	v_mov_b32_e32 v7, 0
	v_subrev_u32_e32 v6, 39, v0
	v_add_u32_e32 v7, 0x278, v7
	s_movk_i32 s10, 0x560
	s_mov_b64 s[0:1], 0
.LBB46_64:                              ; =>This Inner Loop Header: Depth=1
	v_add_u32_e32 v150, -8, v7
	scratch_load_dwordx4 v[150:153], v150, off
	v_mov_b32_e32 v154, s10
	ds_read_b128 v[154:157], v154
	v_add_u32_e32 v6, -1, v6
	s_add_i32 s10, s10, 16
	v_cmp_eq_u32_e32 vcc, 0, v6
	v_add_u32_e32 v7, 16, v7
	s_or_b64 s[0:1], vcc, s[0:1]
	s_waitcnt vmcnt(0) lgkmcnt(0)
	v_mul_f64 v[158:159], v[156:157], v[152:153]
	v_mul_f64 v[152:153], v[154:155], v[152:153]
	v_fma_f64 v[154:155], v[154:155], v[150:151], -v[158:159]
	v_fmac_f64_e32 v[152:153], v[156:157], v[150:151]
	v_add_f64 v[2:3], v[2:3], v[154:155]
	v_add_f64 v[4:5], v[4:5], v[152:153]
	s_andn2_b64 exec, exec, s[0:1]
	s_cbranch_execnz .LBB46_64
; %bb.65:
	s_or_b64 exec, exec, s[0:1]
.LBB46_66:
	s_or_b64 exec, exec, s[8:9]
	v_mov_b32_e32 v6, 0
	ds_read_b128 v[150:153], v6 offset:608
	s_waitcnt lgkmcnt(0)
	v_mul_f64 v[6:7], v[4:5], v[152:153]
	v_mul_f64 v[154:155], v[2:3], v[152:153]
	v_fma_f64 v[152:153], v[2:3], v[150:151], -v[6:7]
	v_fmac_f64_e32 v[154:155], v[4:5], v[150:151]
	scratch_store_dwordx4 off, v[152:155], off offset:608
.LBB46_67:
	s_or_b64 exec, exec, s[4:5]
	scratch_load_dwordx4 v[2:5], v113, off
	v_cmp_lt_u32_e64 s[0:1], 37, v0
	s_waitcnt vmcnt(0)
	ds_write_b128 v9, v[2:5]
	s_waitcnt lgkmcnt(0)
	; wave barrier
	s_waitcnt lgkmcnt(0)
	s_and_saveexec_b64 s[4:5], s[0:1]
	s_cbranch_execz .LBB46_75
; %bb.68:
	ds_read_b128 v[2:5], v9
	s_andn2_b64 vcc, exec, s[6:7]
	s_cbranch_vccnz .LBB46_70
; %bb.69:
	scratch_load_dwordx4 v[150:153], v8, off
	s_waitcnt vmcnt(0) lgkmcnt(0)
	v_mul_f64 v[6:7], v[4:5], v[152:153]
	v_mul_f64 v[152:153], v[2:3], v[152:153]
	v_fmac_f64_e32 v[152:153], v[4:5], v[150:151]
	v_fma_f64 v[2:3], v[2:3], v[150:151], -v[6:7]
	v_mov_b64_e32 v[4:5], v[152:153]
.LBB46_70:
	s_and_saveexec_b64 s[8:9], s[2:3]
	s_cbranch_execz .LBB46_74
; %bb.71:
	v_mov_b32_e32 v7, 0
	v_subrev_u32_e32 v6, 38, v0
	v_add_u32_e32 v7, 0x268, v7
	s_movk_i32 s10, 0x550
	s_mov_b64 s[2:3], 0
.LBB46_72:                              ; =>This Inner Loop Header: Depth=1
	v_add_u32_e32 v150, -8, v7
	scratch_load_dwordx4 v[150:153], v150, off
	v_mov_b32_e32 v154, s10
	ds_read_b128 v[154:157], v154
	v_add_u32_e32 v6, -1, v6
	s_add_i32 s10, s10, 16
	v_cmp_eq_u32_e32 vcc, 0, v6
	v_add_u32_e32 v7, 16, v7
	s_or_b64 s[2:3], vcc, s[2:3]
	s_waitcnt vmcnt(0) lgkmcnt(0)
	v_mul_f64 v[158:159], v[156:157], v[152:153]
	v_mul_f64 v[152:153], v[154:155], v[152:153]
	v_fma_f64 v[154:155], v[154:155], v[150:151], -v[158:159]
	v_fmac_f64_e32 v[152:153], v[156:157], v[150:151]
	v_add_f64 v[2:3], v[2:3], v[154:155]
	v_add_f64 v[4:5], v[4:5], v[152:153]
	s_andn2_b64 exec, exec, s[2:3]
	s_cbranch_execnz .LBB46_72
; %bb.73:
	s_or_b64 exec, exec, s[2:3]
.LBB46_74:
	s_or_b64 exec, exec, s[8:9]
	v_mov_b32_e32 v6, 0
	ds_read_b128 v[150:153], v6 offset:592
	s_waitcnt lgkmcnt(0)
	v_mul_f64 v[6:7], v[4:5], v[152:153]
	v_mul_f64 v[154:155], v[2:3], v[152:153]
	v_fma_f64 v[152:153], v[2:3], v[150:151], -v[6:7]
	v_fmac_f64_e32 v[154:155], v[4:5], v[150:151]
	scratch_store_dwordx4 off, v[152:155], off offset:592
.LBB46_75:
	s_or_b64 exec, exec, s[4:5]
	scratch_load_dwordx4 v[2:5], v114, off
	v_cmp_lt_u32_e64 s[2:3], 36, v0
	s_waitcnt vmcnt(0)
	ds_write_b128 v9, v[2:5]
	s_waitcnt lgkmcnt(0)
	; wave barrier
	s_waitcnt lgkmcnt(0)
	s_and_saveexec_b64 s[4:5], s[2:3]
	s_cbranch_execz .LBB46_83
; %bb.76:
	ds_read_b128 v[2:5], v9
	s_andn2_b64 vcc, exec, s[6:7]
	s_cbranch_vccnz .LBB46_78
; %bb.77:
	scratch_load_dwordx4 v[150:153], v8, off
	s_waitcnt vmcnt(0) lgkmcnt(0)
	v_mul_f64 v[6:7], v[4:5], v[152:153]
	v_mul_f64 v[152:153], v[2:3], v[152:153]
	v_fmac_f64_e32 v[152:153], v[4:5], v[150:151]
	v_fma_f64 v[2:3], v[2:3], v[150:151], -v[6:7]
	v_mov_b64_e32 v[4:5], v[152:153]
.LBB46_78:
	s_and_saveexec_b64 s[8:9], s[0:1]
	s_cbranch_execz .LBB46_82
; %bb.79:
	v_mov_b32_e32 v7, 0
	v_subrev_u32_e32 v6, 37, v0
	v_add_u32_e32 v7, 0x258, v7
	s_movk_i32 s10, 0x540
	s_mov_b64 s[0:1], 0
.LBB46_80:                              ; =>This Inner Loop Header: Depth=1
	v_add_u32_e32 v150, -8, v7
	scratch_load_dwordx4 v[150:153], v150, off
	v_mov_b32_e32 v154, s10
	ds_read_b128 v[154:157], v154
	v_add_u32_e32 v6, -1, v6
	s_add_i32 s10, s10, 16
	v_cmp_eq_u32_e32 vcc, 0, v6
	v_add_u32_e32 v7, 16, v7
	s_or_b64 s[0:1], vcc, s[0:1]
	s_waitcnt vmcnt(0) lgkmcnt(0)
	v_mul_f64 v[158:159], v[156:157], v[152:153]
	v_mul_f64 v[152:153], v[154:155], v[152:153]
	v_fma_f64 v[154:155], v[154:155], v[150:151], -v[158:159]
	v_fmac_f64_e32 v[152:153], v[156:157], v[150:151]
	v_add_f64 v[2:3], v[2:3], v[154:155]
	v_add_f64 v[4:5], v[4:5], v[152:153]
	s_andn2_b64 exec, exec, s[0:1]
	s_cbranch_execnz .LBB46_80
; %bb.81:
	s_or_b64 exec, exec, s[0:1]
.LBB46_82:
	s_or_b64 exec, exec, s[8:9]
	v_mov_b32_e32 v6, 0
	ds_read_b128 v[150:153], v6 offset:576
	s_waitcnt lgkmcnt(0)
	v_mul_f64 v[6:7], v[4:5], v[152:153]
	v_mul_f64 v[154:155], v[2:3], v[152:153]
	v_fma_f64 v[152:153], v[2:3], v[150:151], -v[6:7]
	v_fmac_f64_e32 v[154:155], v[4:5], v[150:151]
	scratch_store_dwordx4 off, v[152:155], off offset:576
.LBB46_83:
	s_or_b64 exec, exec, s[4:5]
	scratch_load_dwordx4 v[2:5], v115, off
	v_cmp_lt_u32_e64 s[0:1], 35, v0
	s_waitcnt vmcnt(0)
	ds_write_b128 v9, v[2:5]
	s_waitcnt lgkmcnt(0)
	; wave barrier
	s_waitcnt lgkmcnt(0)
	s_and_saveexec_b64 s[4:5], s[0:1]
	s_cbranch_execz .LBB46_91
; %bb.84:
	ds_read_b128 v[2:5], v9
	s_andn2_b64 vcc, exec, s[6:7]
	s_cbranch_vccnz .LBB46_86
; %bb.85:
	scratch_load_dwordx4 v[150:153], v8, off
	s_waitcnt vmcnt(0) lgkmcnt(0)
	v_mul_f64 v[6:7], v[4:5], v[152:153]
	v_mul_f64 v[152:153], v[2:3], v[152:153]
	v_fmac_f64_e32 v[152:153], v[4:5], v[150:151]
	v_fma_f64 v[2:3], v[2:3], v[150:151], -v[6:7]
	v_mov_b64_e32 v[4:5], v[152:153]
.LBB46_86:
	s_and_saveexec_b64 s[8:9], s[2:3]
	s_cbranch_execz .LBB46_90
; %bb.87:
	v_mov_b32_e32 v7, 0
	v_subrev_u32_e32 v6, 36, v0
	v_add_u32_e32 v7, 0x248, v7
	s_movk_i32 s10, 0x530
	s_mov_b64 s[2:3], 0
.LBB46_88:                              ; =>This Inner Loop Header: Depth=1
	v_add_u32_e32 v150, -8, v7
	scratch_load_dwordx4 v[150:153], v150, off
	v_mov_b32_e32 v154, s10
	ds_read_b128 v[154:157], v154
	v_add_u32_e32 v6, -1, v6
	s_add_i32 s10, s10, 16
	v_cmp_eq_u32_e32 vcc, 0, v6
	v_add_u32_e32 v7, 16, v7
	s_or_b64 s[2:3], vcc, s[2:3]
	s_waitcnt vmcnt(0) lgkmcnt(0)
	v_mul_f64 v[158:159], v[156:157], v[152:153]
	v_mul_f64 v[152:153], v[154:155], v[152:153]
	v_fma_f64 v[154:155], v[154:155], v[150:151], -v[158:159]
	v_fmac_f64_e32 v[152:153], v[156:157], v[150:151]
	v_add_f64 v[2:3], v[2:3], v[154:155]
	v_add_f64 v[4:5], v[4:5], v[152:153]
	s_andn2_b64 exec, exec, s[2:3]
	s_cbranch_execnz .LBB46_88
; %bb.89:
	s_or_b64 exec, exec, s[2:3]
.LBB46_90:
	s_or_b64 exec, exec, s[8:9]
	v_mov_b32_e32 v6, 0
	ds_read_b128 v[150:153], v6 offset:560
	s_waitcnt lgkmcnt(0)
	v_mul_f64 v[6:7], v[4:5], v[152:153]
	v_mul_f64 v[154:155], v[2:3], v[152:153]
	v_fma_f64 v[152:153], v[2:3], v[150:151], -v[6:7]
	v_fmac_f64_e32 v[154:155], v[4:5], v[150:151]
	scratch_store_dwordx4 off, v[152:155], off offset:560
.LBB46_91:
	s_or_b64 exec, exec, s[4:5]
	scratch_load_dwordx4 v[2:5], v116, off
	v_cmp_lt_u32_e64 s[2:3], 34, v0
	s_waitcnt vmcnt(0)
	ds_write_b128 v9, v[2:5]
	s_waitcnt lgkmcnt(0)
	; wave barrier
	s_waitcnt lgkmcnt(0)
	s_and_saveexec_b64 s[4:5], s[2:3]
	s_cbranch_execz .LBB46_99
; %bb.92:
	ds_read_b128 v[2:5], v9
	s_andn2_b64 vcc, exec, s[6:7]
	s_cbranch_vccnz .LBB46_94
; %bb.93:
	scratch_load_dwordx4 v[150:153], v8, off
	s_waitcnt vmcnt(0) lgkmcnt(0)
	v_mul_f64 v[6:7], v[4:5], v[152:153]
	v_mul_f64 v[152:153], v[2:3], v[152:153]
	v_fmac_f64_e32 v[152:153], v[4:5], v[150:151]
	v_fma_f64 v[2:3], v[2:3], v[150:151], -v[6:7]
	v_mov_b64_e32 v[4:5], v[152:153]
.LBB46_94:
	s_and_saveexec_b64 s[8:9], s[0:1]
	s_cbranch_execz .LBB46_98
; %bb.95:
	v_mov_b32_e32 v7, 0
	v_subrev_u32_e32 v6, 35, v0
	v_add_u32_e32 v7, 0x238, v7
	s_movk_i32 s10, 0x520
	s_mov_b64 s[0:1], 0
.LBB46_96:                              ; =>This Inner Loop Header: Depth=1
	v_add_u32_e32 v150, -8, v7
	scratch_load_dwordx4 v[150:153], v150, off
	v_mov_b32_e32 v154, s10
	ds_read_b128 v[154:157], v154
	v_add_u32_e32 v6, -1, v6
	s_add_i32 s10, s10, 16
	v_cmp_eq_u32_e32 vcc, 0, v6
	v_add_u32_e32 v7, 16, v7
	s_or_b64 s[0:1], vcc, s[0:1]
	s_waitcnt vmcnt(0) lgkmcnt(0)
	v_mul_f64 v[158:159], v[156:157], v[152:153]
	v_mul_f64 v[152:153], v[154:155], v[152:153]
	v_fma_f64 v[154:155], v[154:155], v[150:151], -v[158:159]
	v_fmac_f64_e32 v[152:153], v[156:157], v[150:151]
	v_add_f64 v[2:3], v[2:3], v[154:155]
	v_add_f64 v[4:5], v[4:5], v[152:153]
	s_andn2_b64 exec, exec, s[0:1]
	s_cbranch_execnz .LBB46_96
; %bb.97:
	s_or_b64 exec, exec, s[0:1]
.LBB46_98:
	s_or_b64 exec, exec, s[8:9]
	v_mov_b32_e32 v6, 0
	ds_read_b128 v[150:153], v6 offset:544
	s_waitcnt lgkmcnt(0)
	v_mul_f64 v[6:7], v[4:5], v[152:153]
	v_mul_f64 v[154:155], v[2:3], v[152:153]
	v_fma_f64 v[152:153], v[2:3], v[150:151], -v[6:7]
	v_fmac_f64_e32 v[154:155], v[4:5], v[150:151]
	scratch_store_dwordx4 off, v[152:155], off offset:544
.LBB46_99:
	s_or_b64 exec, exec, s[4:5]
	scratch_load_dwordx4 v[2:5], v117, off
	v_cmp_lt_u32_e64 s[0:1], 33, v0
	s_waitcnt vmcnt(0)
	ds_write_b128 v9, v[2:5]
	s_waitcnt lgkmcnt(0)
	; wave barrier
	s_waitcnt lgkmcnt(0)
	s_and_saveexec_b64 s[4:5], s[0:1]
	s_cbranch_execz .LBB46_107
; %bb.100:
	ds_read_b128 v[2:5], v9
	s_andn2_b64 vcc, exec, s[6:7]
	s_cbranch_vccnz .LBB46_102
; %bb.101:
	scratch_load_dwordx4 v[150:153], v8, off
	s_waitcnt vmcnt(0) lgkmcnt(0)
	v_mul_f64 v[6:7], v[4:5], v[152:153]
	v_mul_f64 v[152:153], v[2:3], v[152:153]
	v_fmac_f64_e32 v[152:153], v[4:5], v[150:151]
	v_fma_f64 v[2:3], v[2:3], v[150:151], -v[6:7]
	v_mov_b64_e32 v[4:5], v[152:153]
.LBB46_102:
	s_and_saveexec_b64 s[8:9], s[2:3]
	s_cbranch_execz .LBB46_106
; %bb.103:
	v_mov_b32_e32 v7, 0
	v_subrev_u32_e32 v6, 34, v0
	v_add_u32_e32 v7, 0x228, v7
	s_movk_i32 s10, 0x510
	s_mov_b64 s[2:3], 0
.LBB46_104:                             ; =>This Inner Loop Header: Depth=1
	v_add_u32_e32 v150, -8, v7
	scratch_load_dwordx4 v[150:153], v150, off
	v_mov_b32_e32 v154, s10
	ds_read_b128 v[154:157], v154
	v_add_u32_e32 v6, -1, v6
	s_add_i32 s10, s10, 16
	v_cmp_eq_u32_e32 vcc, 0, v6
	v_add_u32_e32 v7, 16, v7
	s_or_b64 s[2:3], vcc, s[2:3]
	s_waitcnt vmcnt(0) lgkmcnt(0)
	v_mul_f64 v[158:159], v[156:157], v[152:153]
	v_mul_f64 v[152:153], v[154:155], v[152:153]
	v_fma_f64 v[154:155], v[154:155], v[150:151], -v[158:159]
	v_fmac_f64_e32 v[152:153], v[156:157], v[150:151]
	v_add_f64 v[2:3], v[2:3], v[154:155]
	v_add_f64 v[4:5], v[4:5], v[152:153]
	s_andn2_b64 exec, exec, s[2:3]
	s_cbranch_execnz .LBB46_104
; %bb.105:
	s_or_b64 exec, exec, s[2:3]
.LBB46_106:
	s_or_b64 exec, exec, s[8:9]
	v_mov_b32_e32 v6, 0
	ds_read_b128 v[150:153], v6 offset:528
	s_waitcnt lgkmcnt(0)
	v_mul_f64 v[6:7], v[4:5], v[152:153]
	v_mul_f64 v[154:155], v[2:3], v[152:153]
	v_fma_f64 v[152:153], v[2:3], v[150:151], -v[6:7]
	v_fmac_f64_e32 v[154:155], v[4:5], v[150:151]
	scratch_store_dwordx4 off, v[152:155], off offset:528
.LBB46_107:
	s_or_b64 exec, exec, s[4:5]
	scratch_load_dwordx4 v[2:5], v118, off
	v_cmp_lt_u32_e64 s[2:3], 32, v0
	s_waitcnt vmcnt(0)
	ds_write_b128 v9, v[2:5]
	s_waitcnt lgkmcnt(0)
	; wave barrier
	s_waitcnt lgkmcnt(0)
	s_and_saveexec_b64 s[4:5], s[2:3]
	s_cbranch_execz .LBB46_115
; %bb.108:
	ds_read_b128 v[2:5], v9
	s_andn2_b64 vcc, exec, s[6:7]
	s_cbranch_vccnz .LBB46_110
; %bb.109:
	scratch_load_dwordx4 v[150:153], v8, off
	s_waitcnt vmcnt(0) lgkmcnt(0)
	v_mul_f64 v[6:7], v[4:5], v[152:153]
	v_mul_f64 v[152:153], v[2:3], v[152:153]
	v_fmac_f64_e32 v[152:153], v[4:5], v[150:151]
	v_fma_f64 v[2:3], v[2:3], v[150:151], -v[6:7]
	v_mov_b64_e32 v[4:5], v[152:153]
.LBB46_110:
	s_and_saveexec_b64 s[8:9], s[0:1]
	s_cbranch_execz .LBB46_114
; %bb.111:
	v_mov_b32_e32 v7, 0
	v_subrev_u32_e32 v6, 33, v0
	v_add_u32_e32 v7, 0x218, v7
	s_movk_i32 s10, 0x500
	s_mov_b64 s[0:1], 0
.LBB46_112:                             ; =>This Inner Loop Header: Depth=1
	v_add_u32_e32 v150, -8, v7
	scratch_load_dwordx4 v[150:153], v150, off
	v_mov_b32_e32 v154, s10
	ds_read_b128 v[154:157], v154
	v_add_u32_e32 v6, -1, v6
	s_add_i32 s10, s10, 16
	v_cmp_eq_u32_e32 vcc, 0, v6
	v_add_u32_e32 v7, 16, v7
	s_or_b64 s[0:1], vcc, s[0:1]
	s_waitcnt vmcnt(0) lgkmcnt(0)
	v_mul_f64 v[158:159], v[156:157], v[152:153]
	v_mul_f64 v[152:153], v[154:155], v[152:153]
	v_fma_f64 v[154:155], v[154:155], v[150:151], -v[158:159]
	v_fmac_f64_e32 v[152:153], v[156:157], v[150:151]
	v_add_f64 v[2:3], v[2:3], v[154:155]
	v_add_f64 v[4:5], v[4:5], v[152:153]
	s_andn2_b64 exec, exec, s[0:1]
	s_cbranch_execnz .LBB46_112
; %bb.113:
	s_or_b64 exec, exec, s[0:1]
.LBB46_114:
	s_or_b64 exec, exec, s[8:9]
	v_mov_b32_e32 v6, 0
	ds_read_b128 v[150:153], v6 offset:512
	s_waitcnt lgkmcnt(0)
	v_mul_f64 v[6:7], v[4:5], v[152:153]
	v_mul_f64 v[154:155], v[2:3], v[152:153]
	v_fma_f64 v[152:153], v[2:3], v[150:151], -v[6:7]
	v_fmac_f64_e32 v[154:155], v[4:5], v[150:151]
	scratch_store_dwordx4 off, v[152:155], off offset:512
.LBB46_115:
	;; [unrolled: 63-line block ×18, first 2 shown]
	s_or_b64 exec, exec, s[4:5]
	scratch_load_dwordx4 v[2:5], v135, off
	v_cmp_lt_u32_e64 s[0:1], 15, v0
	s_waitcnt vmcnt(0)
	ds_write_b128 v9, v[2:5]
	s_waitcnt lgkmcnt(0)
	; wave barrier
	s_waitcnt lgkmcnt(0)
	s_and_saveexec_b64 s[4:5], s[0:1]
	s_cbranch_execz .LBB46_251
; %bb.244:
	ds_read_b128 v[2:5], v9
	s_andn2_b64 vcc, exec, s[6:7]
	s_cbranch_vccnz .LBB46_246
; %bb.245:
	scratch_load_dwordx4 v[150:153], v8, off
	s_waitcnt vmcnt(0) lgkmcnt(0)
	v_mul_f64 v[6:7], v[4:5], v[152:153]
	v_mul_f64 v[152:153], v[2:3], v[152:153]
	v_fmac_f64_e32 v[152:153], v[4:5], v[150:151]
	v_fma_f64 v[2:3], v[2:3], v[150:151], -v[6:7]
	v_mov_b64_e32 v[4:5], v[152:153]
.LBB46_246:
	s_and_saveexec_b64 s[8:9], s[2:3]
	s_cbranch_execz .LBB46_250
; %bb.247:
	v_mov_b32_e32 v7, 0
	v_add_u32_e32 v6, -16, v0
	v_add_u32_e32 v7, 0x108, v7
	s_movk_i32 s10, 0x3f0
	s_mov_b64 s[2:3], 0
.LBB46_248:                             ; =>This Inner Loop Header: Depth=1
	v_add_u32_e32 v150, -8, v7
	scratch_load_dwordx4 v[150:153], v150, off
	v_mov_b32_e32 v154, s10
	ds_read_b128 v[154:157], v154
	v_add_u32_e32 v6, -1, v6
	s_add_i32 s10, s10, 16
	v_cmp_eq_u32_e32 vcc, 0, v6
	v_add_u32_e32 v7, 16, v7
	s_or_b64 s[2:3], vcc, s[2:3]
	s_waitcnt vmcnt(0) lgkmcnt(0)
	v_mul_f64 v[158:159], v[156:157], v[152:153]
	v_mul_f64 v[152:153], v[154:155], v[152:153]
	v_fma_f64 v[154:155], v[154:155], v[150:151], -v[158:159]
	v_fmac_f64_e32 v[152:153], v[156:157], v[150:151]
	v_add_f64 v[2:3], v[2:3], v[154:155]
	v_add_f64 v[4:5], v[4:5], v[152:153]
	s_andn2_b64 exec, exec, s[2:3]
	s_cbranch_execnz .LBB46_248
; %bb.249:
	s_or_b64 exec, exec, s[2:3]
.LBB46_250:
	s_or_b64 exec, exec, s[8:9]
	v_mov_b32_e32 v6, 0
	ds_read_b128 v[150:153], v6 offset:240
	s_waitcnt lgkmcnt(0)
	v_mul_f64 v[6:7], v[4:5], v[152:153]
	v_mul_f64 v[154:155], v[2:3], v[152:153]
	v_fma_f64 v[152:153], v[2:3], v[150:151], -v[6:7]
	v_fmac_f64_e32 v[154:155], v[4:5], v[150:151]
	scratch_store_dwordx4 off, v[152:155], off offset:240
.LBB46_251:
	s_or_b64 exec, exec, s[4:5]
	scratch_load_dwordx4 v[2:5], v136, off
	v_cmp_lt_u32_e64 s[2:3], 14, v0
	s_waitcnt vmcnt(0)
	ds_write_b128 v9, v[2:5]
	s_waitcnt lgkmcnt(0)
	; wave barrier
	s_waitcnt lgkmcnt(0)
	s_and_saveexec_b64 s[4:5], s[2:3]
	s_cbranch_execz .LBB46_259
; %bb.252:
	ds_read_b128 v[2:5], v9
	s_andn2_b64 vcc, exec, s[6:7]
	s_cbranch_vccnz .LBB46_254
; %bb.253:
	scratch_load_dwordx4 v[150:153], v8, off
	s_waitcnt vmcnt(0) lgkmcnt(0)
	v_mul_f64 v[6:7], v[4:5], v[152:153]
	v_mul_f64 v[152:153], v[2:3], v[152:153]
	v_fmac_f64_e32 v[152:153], v[4:5], v[150:151]
	v_fma_f64 v[2:3], v[2:3], v[150:151], -v[6:7]
	v_mov_b64_e32 v[4:5], v[152:153]
.LBB46_254:
	s_and_saveexec_b64 s[8:9], s[0:1]
	s_cbranch_execz .LBB46_258
; %bb.255:
	v_mov_b32_e32 v7, 0
	v_add_u32_e32 v6, -15, v0
	v_add_u32_e32 v7, 0xf8, v7
	s_movk_i32 s10, 0x3e0
	s_mov_b64 s[0:1], 0
.LBB46_256:                             ; =>This Inner Loop Header: Depth=1
	v_add_u32_e32 v150, -8, v7
	scratch_load_dwordx4 v[150:153], v150, off
	v_mov_b32_e32 v154, s10
	ds_read_b128 v[154:157], v154
	v_add_u32_e32 v6, -1, v6
	s_add_i32 s10, s10, 16
	v_cmp_eq_u32_e32 vcc, 0, v6
	v_add_u32_e32 v7, 16, v7
	s_or_b64 s[0:1], vcc, s[0:1]
	s_waitcnt vmcnt(0) lgkmcnt(0)
	v_mul_f64 v[158:159], v[156:157], v[152:153]
	v_mul_f64 v[152:153], v[154:155], v[152:153]
	v_fma_f64 v[154:155], v[154:155], v[150:151], -v[158:159]
	v_fmac_f64_e32 v[152:153], v[156:157], v[150:151]
	v_add_f64 v[2:3], v[2:3], v[154:155]
	v_add_f64 v[4:5], v[4:5], v[152:153]
	s_andn2_b64 exec, exec, s[0:1]
	s_cbranch_execnz .LBB46_256
; %bb.257:
	s_or_b64 exec, exec, s[0:1]
.LBB46_258:
	s_or_b64 exec, exec, s[8:9]
	v_mov_b32_e32 v6, 0
	ds_read_b128 v[150:153], v6 offset:224
	s_waitcnt lgkmcnt(0)
	v_mul_f64 v[6:7], v[4:5], v[152:153]
	v_mul_f64 v[154:155], v[2:3], v[152:153]
	v_fma_f64 v[152:153], v[2:3], v[150:151], -v[6:7]
	v_fmac_f64_e32 v[154:155], v[4:5], v[150:151]
	scratch_store_dwordx4 off, v[152:155], off offset:224
.LBB46_259:
	;; [unrolled: 63-line block ×15, first 2 shown]
	s_or_b64 exec, exec, s[4:5]
	scratch_load_dwordx4 v[2:5], off, off
	v_cmp_ne_u32_e32 vcc, 0, v0
	s_mov_b64 s[2:3], 0
	s_mov_b64 s[4:5], 0
                                        ; implicit-def: $vgpr6_vgpr7
                                        ; implicit-def: $vgpr150
	s_waitcnt vmcnt(0)
	ds_write_b128 v9, v[2:5]
	s_waitcnt lgkmcnt(0)
	; wave barrier
	s_waitcnt lgkmcnt(0)
	s_and_saveexec_b64 s[8:9], vcc
	s_cbranch_execz .LBB46_371
; %bb.364:
	ds_read_b128 v[2:5], v9
	s_andn2_b64 vcc, exec, s[6:7]
	s_cbranch_vccnz .LBB46_366
; %bb.365:
	scratch_load_dwordx4 v[150:153], v8, off
	s_waitcnt vmcnt(0) lgkmcnt(0)
	v_mul_f64 v[6:7], v[4:5], v[152:153]
	v_mul_f64 v[152:153], v[2:3], v[152:153]
	v_fmac_f64_e32 v[152:153], v[4:5], v[150:151]
	v_fma_f64 v[2:3], v[2:3], v[150:151], -v[6:7]
	v_mov_b64_e32 v[4:5], v[152:153]
.LBB46_366:
	s_and_saveexec_b64 s[4:5], s[0:1]
	s_cbranch_execz .LBB46_370
; %bb.367:
	v_mov_b32_e32 v7, 0
	v_add_u32_e32 v6, -1, v0
	v_add_u32_e32 v7, 24, v7
	s_movk_i32 s10, 0x300
	s_mov_b64 s[0:1], 0
.LBB46_368:                             ; =>This Inner Loop Header: Depth=1
	v_add_u32_e32 v150, -8, v7
	scratch_load_dwordx4 v[150:153], v150, off
	v_mov_b32_e32 v154, s10
	ds_read_b128 v[154:157], v154
	v_add_u32_e32 v6, -1, v6
	s_add_i32 s10, s10, 16
	v_cmp_eq_u32_e32 vcc, 0, v6
	v_add_u32_e32 v7, 16, v7
	s_or_b64 s[0:1], vcc, s[0:1]
	s_waitcnt vmcnt(0) lgkmcnt(0)
	v_mul_f64 v[158:159], v[156:157], v[152:153]
	v_mul_f64 v[152:153], v[154:155], v[152:153]
	v_fma_f64 v[154:155], v[154:155], v[150:151], -v[158:159]
	v_fmac_f64_e32 v[152:153], v[156:157], v[150:151]
	v_add_f64 v[2:3], v[2:3], v[154:155]
	v_add_f64 v[4:5], v[4:5], v[152:153]
	s_andn2_b64 exec, exec, s[0:1]
	s_cbranch_execnz .LBB46_368
; %bb.369:
	s_or_b64 exec, exec, s[0:1]
.LBB46_370:
	s_or_b64 exec, exec, s[4:5]
	v_mov_b32_e32 v6, 0
	ds_read_b128 v[152:155], v6
	v_mov_b32_e32 v6, 0
	v_or_b32_e32 v150, 8, v6
	s_mov_b64 s[4:5], exec
	s_waitcnt lgkmcnt(0)
	v_mul_f64 v[156:157], v[4:5], v[154:155]
	v_mul_f64 v[6:7], v[2:3], v[154:155]
	v_fma_f64 v[2:3], v[2:3], v[152:153], -v[156:157]
	v_fmac_f64_e32 v[6:7], v[4:5], v[152:153]
	scratch_store_dwordx2 off, v[2:3], off
.LBB46_371:
	s_or_b64 exec, exec, s[8:9]
	s_and_b64 vcc, exec, s[2:3]
	s_cbranch_vccnz .LBB46_373
	s_branch .LBB46_736
.LBB46_372:
	s_mov_b64 s[4:5], 0
                                        ; implicit-def: $vgpr6_vgpr7
                                        ; implicit-def: $vgpr150
	s_cbranch_execz .LBB46_736
.LBB46_373:
	scratch_load_dwordx4 v[2:5], v149, off
	v_cndmask_b32_e64 v6, 0, 1, s[6:7]
	v_cmp_eq_u32_e64 s[2:3], 0, v0
	v_cmp_ne_u32_e64 s[0:1], 1, v6
	s_waitcnt vmcnt(0)
	ds_write_b128 v9, v[2:5]
	s_waitcnt lgkmcnt(0)
	; wave barrier
	s_waitcnt lgkmcnt(0)
	s_and_saveexec_b64 s[6:7], s[2:3]
	s_cbranch_execz .LBB46_377
; %bb.374:
	ds_read_b128 v[2:5], v9
	s_and_b64 vcc, exec, s[0:1]
	s_cbranch_vccnz .LBB46_376
; %bb.375:
	scratch_load_dwordx4 v[150:153], v8, off
	s_waitcnt vmcnt(0) lgkmcnt(0)
	v_mul_f64 v[6:7], v[4:5], v[152:153]
	v_mul_f64 v[152:153], v[2:3], v[152:153]
	v_fmac_f64_e32 v[152:153], v[4:5], v[150:151]
	v_fma_f64 v[2:3], v[2:3], v[150:151], -v[6:7]
	v_mov_b64_e32 v[4:5], v[152:153]
.LBB46_376:
	v_mov_b32_e32 v6, 0
	ds_read_b128 v[150:153], v6 offset:16
	s_waitcnt lgkmcnt(0)
	v_mul_f64 v[6:7], v[4:5], v[152:153]
	v_mul_f64 v[154:155], v[2:3], v[152:153]
	v_fma_f64 v[152:153], v[2:3], v[150:151], -v[6:7]
	v_fmac_f64_e32 v[154:155], v[4:5], v[150:151]
	scratch_store_dwordx4 off, v[152:155], off offset:16
.LBB46_377:
	s_or_b64 exec, exec, s[6:7]
	scratch_load_dwordx4 v[2:5], v148, off
	v_cmp_gt_u32_e32 vcc, 2, v0
	s_waitcnt vmcnt(0)
	ds_write_b128 v9, v[2:5]
	s_waitcnt lgkmcnt(0)
	; wave barrier
	s_waitcnt lgkmcnt(0)
	s_and_saveexec_b64 s[6:7], vcc
	s_cbranch_execz .LBB46_383
; %bb.378:
	ds_read_b128 v[2:5], v9
	s_and_b64 vcc, exec, s[0:1]
	s_cbranch_vccnz .LBB46_380
; %bb.379:
	scratch_load_dwordx4 v[150:153], v8, off
	s_waitcnt vmcnt(0) lgkmcnt(0)
	v_mul_f64 v[6:7], v[4:5], v[152:153]
	v_mul_f64 v[152:153], v[2:3], v[152:153]
	v_fmac_f64_e32 v[152:153], v[4:5], v[150:151]
	v_fma_f64 v[2:3], v[2:3], v[150:151], -v[6:7]
	v_mov_b64_e32 v[4:5], v[152:153]
.LBB46_380:
	s_and_saveexec_b64 s[8:9], s[2:3]
	s_cbranch_execz .LBB46_382
; %bb.381:
	scratch_load_dwordx4 v[150:153], v8, off offset:16
	ds_read_b128 v[154:157], v9 offset:16
	s_waitcnt vmcnt(0) lgkmcnt(0)
	v_mul_f64 v[6:7], v[156:157], v[152:153]
	v_mul_f64 v[152:153], v[154:155], v[152:153]
	v_fma_f64 v[6:7], v[154:155], v[150:151], -v[6:7]
	v_fmac_f64_e32 v[152:153], v[156:157], v[150:151]
	v_add_f64 v[2:3], v[2:3], v[6:7]
	v_add_f64 v[4:5], v[4:5], v[152:153]
.LBB46_382:
	s_or_b64 exec, exec, s[8:9]
	v_mov_b32_e32 v6, 0
	ds_read_b128 v[150:153], v6 offset:32
	s_waitcnt lgkmcnt(0)
	v_mul_f64 v[6:7], v[4:5], v[152:153]
	v_mul_f64 v[154:155], v[2:3], v[152:153]
	v_fma_f64 v[152:153], v[2:3], v[150:151], -v[6:7]
	v_fmac_f64_e32 v[154:155], v[4:5], v[150:151]
	scratch_store_dwordx4 off, v[152:155], off offset:32
.LBB46_383:
	s_or_b64 exec, exec, s[6:7]
	scratch_load_dwordx4 v[2:5], v147, off
	v_cmp_gt_u32_e32 vcc, 3, v0
	s_waitcnt vmcnt(0)
	ds_write_b128 v9, v[2:5]
	s_waitcnt lgkmcnt(0)
	; wave barrier
	s_waitcnt lgkmcnt(0)
	s_and_saveexec_b64 s[6:7], vcc
	s_cbranch_execz .LBB46_391
; %bb.384:
	ds_read_b128 v[2:5], v9
	s_and_b64 vcc, exec, s[0:1]
	s_cbranch_vccnz .LBB46_386
; %bb.385:
	scratch_load_dwordx4 v[150:153], v8, off
	s_waitcnt vmcnt(0) lgkmcnt(0)
	v_mul_f64 v[6:7], v[4:5], v[152:153]
	v_mul_f64 v[152:153], v[2:3], v[152:153]
	v_fmac_f64_e32 v[152:153], v[4:5], v[150:151]
	v_fma_f64 v[2:3], v[2:3], v[150:151], -v[6:7]
	v_mov_b64_e32 v[4:5], v[152:153]
.LBB46_386:
	v_cmp_ne_u32_e32 vcc, 2, v0
	s_and_saveexec_b64 s[8:9], vcc
	s_cbranch_execz .LBB46_390
; %bb.387:
	scratch_load_dwordx4 v[150:153], v8, off offset:16
	ds_read_b128 v[154:157], v9 offset:16
	s_waitcnt vmcnt(0) lgkmcnt(0)
	v_mul_f64 v[6:7], v[156:157], v[152:153]
	v_mul_f64 v[152:153], v[154:155], v[152:153]
	v_fma_f64 v[6:7], v[154:155], v[150:151], -v[6:7]
	v_fmac_f64_e32 v[152:153], v[156:157], v[150:151]
	v_add_f64 v[2:3], v[2:3], v[6:7]
	v_add_f64 v[4:5], v[4:5], v[152:153]
	s_and_saveexec_b64 s[10:11], s[2:3]
	s_cbranch_execz .LBB46_389
; %bb.388:
	scratch_load_dwordx4 v[150:153], off, off offset:32
	v_mov_b32_e32 v6, 0
	ds_read_b128 v[154:157], v6 offset:784
	s_waitcnt vmcnt(0) lgkmcnt(0)
	v_mul_f64 v[6:7], v[154:155], v[152:153]
	v_mul_f64 v[152:153], v[156:157], v[152:153]
	v_fmac_f64_e32 v[6:7], v[156:157], v[150:151]
	v_fma_f64 v[150:151], v[154:155], v[150:151], -v[152:153]
	v_add_f64 v[4:5], v[4:5], v[6:7]
	v_add_f64 v[2:3], v[2:3], v[150:151]
.LBB46_389:
	s_or_b64 exec, exec, s[10:11]
.LBB46_390:
	s_or_b64 exec, exec, s[8:9]
	v_mov_b32_e32 v6, 0
	ds_read_b128 v[150:153], v6 offset:48
	s_waitcnt lgkmcnt(0)
	v_mul_f64 v[6:7], v[4:5], v[152:153]
	v_mul_f64 v[154:155], v[2:3], v[152:153]
	v_fma_f64 v[152:153], v[2:3], v[150:151], -v[6:7]
	v_fmac_f64_e32 v[154:155], v[4:5], v[150:151]
	scratch_store_dwordx4 off, v[152:155], off offset:48
.LBB46_391:
	s_or_b64 exec, exec, s[6:7]
	scratch_load_dwordx4 v[2:5], v146, off
	v_cmp_gt_u32_e32 vcc, 4, v0
	s_waitcnt vmcnt(0)
	ds_write_b128 v9, v[2:5]
	s_waitcnt lgkmcnt(0)
	; wave barrier
	s_waitcnt lgkmcnt(0)
	s_and_saveexec_b64 s[2:3], vcc
	s_cbranch_execz .LBB46_399
; %bb.392:
	ds_read_b128 v[2:5], v9
	s_and_b64 vcc, exec, s[0:1]
	s_cbranch_vccnz .LBB46_394
; %bb.393:
	scratch_load_dwordx4 v[150:153], v8, off
	s_waitcnt vmcnt(0) lgkmcnt(0)
	v_mul_f64 v[6:7], v[4:5], v[152:153]
	v_mul_f64 v[152:153], v[2:3], v[152:153]
	v_fmac_f64_e32 v[152:153], v[4:5], v[150:151]
	v_fma_f64 v[2:3], v[2:3], v[150:151], -v[6:7]
	v_mov_b64_e32 v[4:5], v[152:153]
.LBB46_394:
	v_cmp_ne_u32_e32 vcc, 3, v0
	s_and_saveexec_b64 s[6:7], vcc
	s_cbranch_execz .LBB46_398
; %bb.395:
	v_mov_b32_e32 v7, 0
	v_add_u32_e32 v6, 0x300, v64
	v_add3_u32 v7, v64, v7, 24
	s_mov_b64 s[8:9], 0
	v_mov_b32_e32 v150, v0
.LBB46_396:                             ; =>This Inner Loop Header: Depth=1
	v_add_u32_e32 v151, -8, v7
	scratch_load_dwordx4 v[152:155], v151, off
	ds_read_b128 v[156:159], v6
	v_add_u32_e32 v150, 1, v150
	v_cmp_lt_u32_e32 vcc, 2, v150
	v_add_u32_e32 v6, 16, v6
	v_add_u32_e32 v7, 16, v7
	s_or_b64 s[8:9], vcc, s[8:9]
	s_waitcnt vmcnt(0) lgkmcnt(0)
	v_mul_f64 v[160:161], v[158:159], v[154:155]
	v_mul_f64 v[154:155], v[156:157], v[154:155]
	v_fma_f64 v[156:157], v[156:157], v[152:153], -v[160:161]
	v_fmac_f64_e32 v[154:155], v[158:159], v[152:153]
	v_add_f64 v[2:3], v[2:3], v[156:157]
	v_add_f64 v[4:5], v[4:5], v[154:155]
	s_andn2_b64 exec, exec, s[8:9]
	s_cbranch_execnz .LBB46_396
; %bb.397:
	s_or_b64 exec, exec, s[8:9]
.LBB46_398:
	s_or_b64 exec, exec, s[6:7]
	v_mov_b32_e32 v6, 0
	ds_read_b128 v[150:153], v6 offset:64
	s_waitcnt lgkmcnt(0)
	v_mul_f64 v[6:7], v[4:5], v[152:153]
	v_mul_f64 v[154:155], v[2:3], v[152:153]
	v_fma_f64 v[152:153], v[2:3], v[150:151], -v[6:7]
	v_fmac_f64_e32 v[154:155], v[4:5], v[150:151]
	scratch_store_dwordx4 off, v[152:155], off offset:64
.LBB46_399:
	s_or_b64 exec, exec, s[2:3]
	scratch_load_dwordx4 v[2:5], v145, off
	v_cmp_gt_u32_e32 vcc, 5, v0
	s_waitcnt vmcnt(0)
	ds_write_b128 v9, v[2:5]
	s_waitcnt lgkmcnt(0)
	; wave barrier
	s_waitcnt lgkmcnt(0)
	s_and_saveexec_b64 s[2:3], vcc
	s_cbranch_execz .LBB46_407
; %bb.400:
	ds_read_b128 v[2:5], v9
	s_and_b64 vcc, exec, s[0:1]
	s_cbranch_vccnz .LBB46_402
; %bb.401:
	scratch_load_dwordx4 v[150:153], v8, off
	s_waitcnt vmcnt(0) lgkmcnt(0)
	v_mul_f64 v[6:7], v[4:5], v[152:153]
	v_mul_f64 v[152:153], v[2:3], v[152:153]
	v_fmac_f64_e32 v[152:153], v[4:5], v[150:151]
	v_fma_f64 v[2:3], v[2:3], v[150:151], -v[6:7]
	v_mov_b64_e32 v[4:5], v[152:153]
.LBB46_402:
	v_cmp_ne_u32_e32 vcc, 4, v0
	s_and_saveexec_b64 s[6:7], vcc
	s_cbranch_execz .LBB46_406
; %bb.403:
	v_mov_b32_e32 v7, 0
	v_add_u32_e32 v6, 0x300, v64
	v_add3_u32 v7, v64, v7, 24
	s_mov_b64 s[8:9], 0
	v_mov_b32_e32 v150, v0
.LBB46_404:                             ; =>This Inner Loop Header: Depth=1
	v_add_u32_e32 v151, -8, v7
	scratch_load_dwordx4 v[152:155], v151, off
	ds_read_b128 v[156:159], v6
	v_add_u32_e32 v150, 1, v150
	v_cmp_lt_u32_e32 vcc, 3, v150
	v_add_u32_e32 v6, 16, v6
	v_add_u32_e32 v7, 16, v7
	s_or_b64 s[8:9], vcc, s[8:9]
	s_waitcnt vmcnt(0) lgkmcnt(0)
	v_mul_f64 v[160:161], v[158:159], v[154:155]
	v_mul_f64 v[154:155], v[156:157], v[154:155]
	v_fma_f64 v[156:157], v[156:157], v[152:153], -v[160:161]
	v_fmac_f64_e32 v[154:155], v[158:159], v[152:153]
	v_add_f64 v[2:3], v[2:3], v[156:157]
	v_add_f64 v[4:5], v[4:5], v[154:155]
	s_andn2_b64 exec, exec, s[8:9]
	s_cbranch_execnz .LBB46_404
; %bb.405:
	s_or_b64 exec, exec, s[8:9]
.LBB46_406:
	s_or_b64 exec, exec, s[6:7]
	v_mov_b32_e32 v6, 0
	ds_read_b128 v[150:153], v6 offset:80
	s_waitcnt lgkmcnt(0)
	v_mul_f64 v[6:7], v[4:5], v[152:153]
	v_mul_f64 v[154:155], v[2:3], v[152:153]
	v_fma_f64 v[152:153], v[2:3], v[150:151], -v[6:7]
	v_fmac_f64_e32 v[154:155], v[4:5], v[150:151]
	scratch_store_dwordx4 off, v[152:155], off offset:80
.LBB46_407:
	;; [unrolled: 63-line block ×41, first 2 shown]
	s_or_b64 exec, exec, s[2:3]
	scratch_load_dwordx4 v[2:5], v10, off
	v_cmp_gt_u32_e64 s[2:3], 45, v0
	s_waitcnt vmcnt(0)
	ds_write_b128 v9, v[2:5]
	s_waitcnt lgkmcnt(0)
	; wave barrier
	s_waitcnt lgkmcnt(0)
	s_and_saveexec_b64 s[6:7], s[2:3]
	s_cbranch_execz .LBB46_727
; %bb.720:
	ds_read_b128 v[2:5], v9
	s_and_b64 vcc, exec, s[0:1]
	s_cbranch_vccnz .LBB46_722
; %bb.721:
	scratch_load_dwordx4 v[150:153], v8, off
	s_waitcnt vmcnt(0) lgkmcnt(0)
	v_mul_f64 v[6:7], v[4:5], v[152:153]
	v_mul_f64 v[152:153], v[2:3], v[152:153]
	v_fmac_f64_e32 v[152:153], v[4:5], v[150:151]
	v_fma_f64 v[2:3], v[2:3], v[150:151], -v[6:7]
	v_mov_b64_e32 v[4:5], v[152:153]
.LBB46_722:
	v_cmp_ne_u32_e32 vcc, 44, v0
	s_and_saveexec_b64 s[8:9], vcc
	s_cbranch_execz .LBB46_726
; %bb.723:
	v_mov_b32_e32 v7, 0
	v_add_u32_e32 v6, 0x300, v64
	v_add3_u32 v7, v64, v7, 24
	s_mov_b64 s[10:11], 0
	v_mov_b32_e32 v150, v0
.LBB46_724:                             ; =>This Inner Loop Header: Depth=1
	v_add_u32_e32 v151, -8, v7
	scratch_load_dwordx4 v[152:155], v151, off
	ds_read_b128 v[156:159], v6
	v_add_u32_e32 v150, 1, v150
	v_cmp_lt_u32_e32 vcc, 43, v150
	v_add_u32_e32 v6, 16, v6
	v_add_u32_e32 v7, 16, v7
	s_or_b64 s[10:11], vcc, s[10:11]
	s_waitcnt vmcnt(0) lgkmcnt(0)
	v_mul_f64 v[160:161], v[158:159], v[154:155]
	v_mul_f64 v[154:155], v[156:157], v[154:155]
	v_fma_f64 v[156:157], v[156:157], v[152:153], -v[160:161]
	v_fmac_f64_e32 v[154:155], v[158:159], v[152:153]
	v_add_f64 v[2:3], v[2:3], v[156:157]
	v_add_f64 v[4:5], v[4:5], v[154:155]
	s_andn2_b64 exec, exec, s[10:11]
	s_cbranch_execnz .LBB46_724
; %bb.725:
	s_or_b64 exec, exec, s[10:11]
.LBB46_726:
	s_or_b64 exec, exec, s[8:9]
	v_mov_b32_e32 v6, 0
	ds_read_b128 v[150:153], v6 offset:720
	s_waitcnt lgkmcnt(0)
	v_mul_f64 v[6:7], v[4:5], v[152:153]
	v_mul_f64 v[154:155], v[2:3], v[152:153]
	v_fma_f64 v[152:153], v[2:3], v[150:151], -v[6:7]
	v_fmac_f64_e32 v[154:155], v[4:5], v[150:151]
	scratch_store_dwordx4 off, v[152:155], off offset:720
.LBB46_727:
	s_or_b64 exec, exec, s[6:7]
	scratch_load_dwordx4 v[2:5], v1, off
	v_cmp_ne_u32_e32 vcc, 46, v0
                                        ; implicit-def: $vgpr6_vgpr7
                                        ; implicit-def: $vgpr150
	s_waitcnt vmcnt(0)
	ds_write_b128 v9, v[2:5]
	s_waitcnt lgkmcnt(0)
	; wave barrier
	s_waitcnt lgkmcnt(0)
	s_and_saveexec_b64 s[6:7], vcc
	s_cbranch_execz .LBB46_735
; %bb.728:
	ds_read_b128 v[2:5], v9
	s_and_b64 vcc, exec, s[0:1]
	s_cbranch_vccnz .LBB46_730
; %bb.729:
	scratch_load_dwordx4 v[6:9], v8, off
	s_waitcnt vmcnt(0) lgkmcnt(0)
	v_mul_f64 v[150:151], v[4:5], v[8:9]
	v_mul_f64 v[8:9], v[2:3], v[8:9]
	v_fmac_f64_e32 v[8:9], v[4:5], v[6:7]
	v_fma_f64 v[2:3], v[2:3], v[6:7], -v[150:151]
	v_mov_b64_e32 v[4:5], v[8:9]
.LBB46_730:
	s_and_saveexec_b64 s[0:1], s[2:3]
	s_cbranch_execz .LBB46_734
; %bb.731:
	v_mov_b32_e32 v7, 0
	v_add_u32_e32 v6, 0x300, v64
	v_add3_u32 v7, v64, v7, 24
	s_mov_b64 s[2:3], 0
.LBB46_732:                             ; =>This Inner Loop Header: Depth=1
	v_add_u32_e32 v8, -8, v7
	scratch_load_dwordx4 v[150:153], v8, off
	ds_read_b128 v[154:157], v6
	v_add_u32_e32 v0, 1, v0
	v_cmp_lt_u32_e32 vcc, 44, v0
	v_add_u32_e32 v6, 16, v6
	v_add_u32_e32 v7, 16, v7
	s_or_b64 s[2:3], vcc, s[2:3]
	s_waitcnt vmcnt(0) lgkmcnt(0)
	v_mul_f64 v[8:9], v[156:157], v[152:153]
	v_mul_f64 v[152:153], v[154:155], v[152:153]
	v_fma_f64 v[8:9], v[154:155], v[150:151], -v[8:9]
	v_fmac_f64_e32 v[152:153], v[156:157], v[150:151]
	v_add_f64 v[2:3], v[2:3], v[8:9]
	v_add_f64 v[4:5], v[4:5], v[152:153]
	s_andn2_b64 exec, exec, s[2:3]
	s_cbranch_execnz .LBB46_732
; %bb.733:
	s_or_b64 exec, exec, s[2:3]
.LBB46_734:
	s_or_b64 exec, exec, s[0:1]
	v_mov_b32_e32 v0, 0
	ds_read_b128 v[152:155], v0 offset:736
	v_mov_b32_e32 v0, 0
	v_add_u32_e32 v150, 0x2e8, v0
	s_or_b64 s[4:5], s[4:5], exec
	s_waitcnt lgkmcnt(0)
	v_mul_f64 v[8:9], v[4:5], v[154:155]
	v_mul_f64 v[6:7], v[2:3], v[154:155]
	v_fma_f64 v[2:3], v[2:3], v[152:153], -v[8:9]
	v_fmac_f64_e32 v[6:7], v[4:5], v[152:153]
	scratch_store_dwordx2 off, v[2:3], off offset:736
.LBB46_735:
	s_or_b64 exec, exec, s[6:7]
.LBB46_736:
	s_and_saveexec_b64 s[0:1], s[4:5]
	s_cbranch_execz .LBB46_738
; %bb.737:
	scratch_store_dwordx2 v150, v[6:7], off
.LBB46_738:
	s_or_b64 exec, exec, s[0:1]
	scratch_load_dwordx4 v[2:5], off, off
	scratch_load_dwordx4 v[6:9], v149, off
	s_nop 0
	scratch_load_dwordx4 v[148:151], v148, off
	s_nop 0
	scratch_load_dwordx4 v[152:155], v147, off
	scratch_load_dwordx4 v[156:159], v146, off
	;; [unrolled: 1-line block ×3, first 2 shown]
	s_nop 0
	scratch_load_dwordx4 v[144:147], v144, off
	s_waitcnt vmcnt(6)
	global_store_dwordx4 v[12:13], v[2:5], off
	scratch_load_dwordx4 v[2:5], v143, off
	s_nop 0
	scratch_load_dwordx4 v[164:167], v142, off
	s_waitcnt vmcnt(8)
	global_store_dwordx4 v[14:15], v[6:9], off
	scratch_load_dwordx4 v[6:9], v141, off
	;; [unrolled: 5-line block ×20, first 2 shown]
	s_nop 0
	scratch_load_dwordx4 v[144:147], v1, off
	s_waitcnt vmcnt(39)
	global_store_dwordx4 v[52:53], v[160:163], off
	s_waitcnt vmcnt(38)
	global_store_dwordx4 v[54:55], v[2:5], off
	;; [unrolled: 2-line block ×27, first 2 shown]
.LBB46_739:
	s_endpgm
	.section	.rodata,"a",@progbits
	.p2align	6, 0x0
	.amdhsa_kernel _ZN9rocsolver6v33100L18trti2_kernel_smallILi47E19rocblas_complex_numIdEPS3_EEv13rocblas_fill_17rocblas_diagonal_T1_iil
		.amdhsa_group_segment_fixed_size 1504
		.amdhsa_private_segment_fixed_size 768
		.amdhsa_kernarg_size 32
		.amdhsa_user_sgpr_count 2
		.amdhsa_user_sgpr_dispatch_ptr 0
		.amdhsa_user_sgpr_queue_ptr 0
		.amdhsa_user_sgpr_kernarg_segment_ptr 1
		.amdhsa_user_sgpr_dispatch_id 0
		.amdhsa_user_sgpr_kernarg_preload_length 0
		.amdhsa_user_sgpr_kernarg_preload_offset 0
		.amdhsa_user_sgpr_private_segment_size 0
		.amdhsa_uses_dynamic_stack 0
		.amdhsa_enable_private_segment 1
		.amdhsa_system_sgpr_workgroup_id_x 1
		.amdhsa_system_sgpr_workgroup_id_y 0
		.amdhsa_system_sgpr_workgroup_id_z 0
		.amdhsa_system_sgpr_workgroup_info 0
		.amdhsa_system_vgpr_workitem_id 0
		.amdhsa_next_free_vgpr 172
		.amdhsa_next_free_sgpr 12
		.amdhsa_accum_offset 172
		.amdhsa_reserve_vcc 1
		.amdhsa_float_round_mode_32 0
		.amdhsa_float_round_mode_16_64 0
		.amdhsa_float_denorm_mode_32 3
		.amdhsa_float_denorm_mode_16_64 3
		.amdhsa_dx10_clamp 1
		.amdhsa_ieee_mode 1
		.amdhsa_fp16_overflow 0
		.amdhsa_tg_split 0
		.amdhsa_exception_fp_ieee_invalid_op 0
		.amdhsa_exception_fp_denorm_src 0
		.amdhsa_exception_fp_ieee_div_zero 0
		.amdhsa_exception_fp_ieee_overflow 0
		.amdhsa_exception_fp_ieee_underflow 0
		.amdhsa_exception_fp_ieee_inexact 0
		.amdhsa_exception_int_div_zero 0
	.end_amdhsa_kernel
	.section	.text._ZN9rocsolver6v33100L18trti2_kernel_smallILi47E19rocblas_complex_numIdEPS3_EEv13rocblas_fill_17rocblas_diagonal_T1_iil,"axG",@progbits,_ZN9rocsolver6v33100L18trti2_kernel_smallILi47E19rocblas_complex_numIdEPS3_EEv13rocblas_fill_17rocblas_diagonal_T1_iil,comdat
.Lfunc_end46:
	.size	_ZN9rocsolver6v33100L18trti2_kernel_smallILi47E19rocblas_complex_numIdEPS3_EEv13rocblas_fill_17rocblas_diagonal_T1_iil, .Lfunc_end46-_ZN9rocsolver6v33100L18trti2_kernel_smallILi47E19rocblas_complex_numIdEPS3_EEv13rocblas_fill_17rocblas_diagonal_T1_iil
                                        ; -- End function
	.section	.AMDGPU.csdata,"",@progbits
; Kernel info:
; codeLenInByte = 31004
; NumSgprs: 18
; NumVgprs: 172
; NumAgprs: 0
; TotalNumVgprs: 172
; ScratchSize: 768
; MemoryBound: 0
; FloatMode: 240
; IeeeMode: 1
; LDSByteSize: 1504 bytes/workgroup (compile time only)
; SGPRBlocks: 2
; VGPRBlocks: 21
; NumSGPRsForWavesPerEU: 18
; NumVGPRsForWavesPerEU: 172
; AccumOffset: 172
; Occupancy: 2
; WaveLimiterHint : 0
; COMPUTE_PGM_RSRC2:SCRATCH_EN: 1
; COMPUTE_PGM_RSRC2:USER_SGPR: 2
; COMPUTE_PGM_RSRC2:TRAP_HANDLER: 0
; COMPUTE_PGM_RSRC2:TGID_X_EN: 1
; COMPUTE_PGM_RSRC2:TGID_Y_EN: 0
; COMPUTE_PGM_RSRC2:TGID_Z_EN: 0
; COMPUTE_PGM_RSRC2:TIDIG_COMP_CNT: 0
; COMPUTE_PGM_RSRC3_GFX90A:ACCUM_OFFSET: 42
; COMPUTE_PGM_RSRC3_GFX90A:TG_SPLIT: 0
	.section	.text._ZN9rocsolver6v33100L18trti2_kernel_smallILi48E19rocblas_complex_numIdEPS3_EEv13rocblas_fill_17rocblas_diagonal_T1_iil,"axG",@progbits,_ZN9rocsolver6v33100L18trti2_kernel_smallILi48E19rocblas_complex_numIdEPS3_EEv13rocblas_fill_17rocblas_diagonal_T1_iil,comdat
	.globl	_ZN9rocsolver6v33100L18trti2_kernel_smallILi48E19rocblas_complex_numIdEPS3_EEv13rocblas_fill_17rocblas_diagonal_T1_iil ; -- Begin function _ZN9rocsolver6v33100L18trti2_kernel_smallILi48E19rocblas_complex_numIdEPS3_EEv13rocblas_fill_17rocblas_diagonal_T1_iil
	.p2align	8
	.type	_ZN9rocsolver6v33100L18trti2_kernel_smallILi48E19rocblas_complex_numIdEPS3_EEv13rocblas_fill_17rocblas_diagonal_T1_iil,@function
_ZN9rocsolver6v33100L18trti2_kernel_smallILi48E19rocblas_complex_numIdEPS3_EEv13rocblas_fill_17rocblas_diagonal_T1_iil: ; @_ZN9rocsolver6v33100L18trti2_kernel_smallILi48E19rocblas_complex_numIdEPS3_EEv13rocblas_fill_17rocblas_diagonal_T1_iil
; %bb.0:
	v_cmp_gt_u32_e32 vcc, 48, v0
	s_and_saveexec_b64 s[4:5], vcc
	s_cbranch_execz .LBB47_755
; %bb.1:
	s_load_dwordx8 s[4:11], s[0:1], 0x0
	s_ashr_i32 s3, s2, 31
	v_lshlrev_b32_e32 v100, 4, v0
	v_mov_b32_e32 v101, 0
	v_mov_b32_e32 v1, 0
	s_waitcnt lgkmcnt(0)
	s_ashr_i32 s1, s8, 31
	s_mov_b32 s0, s8
	s_mul_i32 s8, s2, s11
	s_mul_hi_u32 s11, s2, s10
	s_add_i32 s8, s11, s8
	s_mul_i32 s3, s3, s10
	s_add_i32 s3, s8, s3
	s_mul_i32 s2, s2, s10
	s_lshl_b64 s[2:3], s[2:3], 4
	s_add_u32 s2, s6, s2
	s_addc_u32 s3, s7, s3
	s_lshl_b64 s[0:1], s[0:1], 4
	s_add_u32 s0, s2, s0
	s_addc_u32 s1, s3, s1
	global_load_dwordx4 v[2:5], v100, s[0:1]
	s_add_i32 s6, s9, s9
	s_mov_b32 s2, s9
	s_ashr_i32 s3, s9, 31
	v_add_u32_e32 v6, s6, v0
	v_lshl_add_u64 v[24:25], s[0:1], 0, v[100:101]
	v_ashrrev_i32_e32 v7, 31, v6
	v_lshl_add_u64 v[18:19], s[2:3], 4, v[24:25]
	v_add_u32_e32 v10, s9, v6
	v_lshl_add_u64 v[14:15], v[6:7], 4, s[0:1]
	global_load_dwordx4 v[6:9], v[18:19], off
	global_load_dwordx4 v[48:51], v[14:15], off
	v_add_u32_e32 v12, s9, v10
	v_ashrrev_i32_e32 v11, 31, v10
	v_add_u32_e32 v22, s9, v12
	v_lshl_add_u64 v[20:21], v[10:11], 4, s[0:1]
	v_ashrrev_i32_e32 v13, 31, v12
	v_add_u32_e32 v10, s9, v22
	v_lshl_add_u64 v[16:17], v[12:13], 4, s[0:1]
	v_add_u32_e32 v12, s9, v10
	v_ashrrev_i32_e32 v23, 31, v22
	v_ashrrev_i32_e32 v11, 31, v10
	v_add_u32_e32 v28, s9, v12
	v_lshl_add_u64 v[26:27], v[22:23], 4, s[0:1]
	v_lshl_add_u64 v[22:23], v[10:11], 4, s[0:1]
	v_add_u32_e32 v10, s9, v28
	v_add_u32_e32 v32, s9, v10
	;; [unrolled: 1-line block ×37, first 2 shown]
	v_ashrrev_i32_e32 v13, 31, v12
	v_add_u32_e32 v168, s9, v166
	v_lshl_add_u64 v[30:31], v[12:13], 4, s[0:1]
	v_add_u32_e32 v12, s9, v168
	v_ashrrev_i32_e32 v13, 31, v12
	v_ashrrev_i32_e32 v11, 31, v10
	;; [unrolled: 1-line block ×4, first 2 shown]
	global_load_dwordx4 v[52:55], v[20:21], off
	global_load_dwordx4 v[56:59], v[16:17], off
	;; [unrolled: 1-line block ×4, first 2 shown]
	v_ashrrev_i32_e32 v29, 31, v28
	v_lshl_add_u64 v[12:13], v[12:13], 4, s[0:1]
	v_lshl_add_u64 v[46:47], v[10:11], 4, s[0:1]
	v_ashrrev_i32_e32 v33, 31, v32
	v_lshl_add_u64 v[44:45], v[34:35], 4, s[0:1]
	v_ashrrev_i32_e32 v37, 31, v36
	;; [unrolled: 2-line block ×3, first 2 shown]
	v_ashrrev_i32_e32 v97, 31, v96
	s_waitcnt vmcnt(6)
	scratch_store_dwordx4 off, v[2:5], off
	v_ashrrev_i32_e32 v103, 31, v102
	v_lshl_add_u64 v[28:29], v[28:29], 4, s[0:1]
	global_load_dwordx4 v[110:113], v[12:13], off
	global_load_dwordx4 v[2:5], v[30:31], off
	;; [unrolled: 1-line block ×3, first 2 shown]
	v_lshl_add_u64 v[42:43], v[32:33], 4, s[0:1]
	global_load_dwordx4 v[72:75], v[46:47], off
	global_load_dwordx4 v[76:79], v[42:43], off
	v_lshl_add_u64 v[36:37], v[36:37], 4, s[0:1]
	global_load_dwordx4 v[80:83], v[44:45], off
	global_load_dwordx4 v[84:87], v[36:37], off
	;; [unrolled: 3-line block ×3, first 2 shown]
	v_lshl_add_u64 v[34:35], v[96:97], 4, s[0:1]
	v_lshl_add_u64 v[38:39], v[102:103], 4, s[0:1]
	global_load_dwordx4 v[96:99], v[34:35], off
	v_ashrrev_i32_e32 v105, 31, v104
	s_waitcnt vmcnt(16)
	scratch_store_dwordx4 off, v[6:9], off offset:16
	global_load_dwordx4 v[6:9], v[38:39], off
	v_ashrrev_i32_e32 v109, 31, v108
	v_ashrrev_i32_e32 v117, 31, v116
	;; [unrolled: 1-line block ×29, first 2 shown]
	s_cmpk_lg_i32 s5, 0x84
	s_cselect_b64 s[6:7], -1, 0
	s_cmpk_eq_i32 s5, 0x84
	s_waitcnt vmcnt(17)
	scratch_store_dwordx4 off, v[48:51], off offset:32
	s_waitcnt vmcnt(17)
	scratch_store_dwordx4 off, v[52:55], off offset:48
	;; [unrolled: 2-line block ×14, first 2 shown]
	v_lshl_add_u64 v[58:59], v[104:105], 4, s[0:1]
	v_lshl_add_u64 v[56:57], v[108:109], 4, s[0:1]
	;; [unrolled: 1-line block ×9, first 2 shown]
	global_load_dwordx4 v[2:5], v[58:59], off
	global_load_dwordx4 v[78:81], v[52:53], off
	v_lshl_add_u64 v[48:49], v[114:115], 4, s[0:1]
	global_load_dwordx4 v[82:85], v[56:57], off
	global_load_dwordx4 v[86:89], v[48:49], off
	v_lshl_add_u64 v[54:55], v[118:119], 4, s[0:1]
	global_load_dwordx4 v[90:93], v[50:51], off
	global_load_dwordx4 v[94:97], v[54:55], off
	v_lshl_add_u64 v[62:63], v[122:123], 4, s[0:1]
	global_load_dwordx4 v[102:105], v[60:61], off
	global_load_dwordx4 v[106:109], v[62:63], off
	v_lshl_add_u64 v[66:67], v[126:127], 4, s[0:1]
	global_load_dwordx4 v[114:117], v[64:65], off
	global_load_dwordx4 v[118:121], v[66:67], off
	v_lshl_add_u64 v[70:71], v[130:131], 4, s[0:1]
	global_load_dwordx4 v[122:125], v[68:69], off
	global_load_dwordx4 v[126:129], v[70:71], off
	v_lshl_add_u64 v[74:75], v[134:135], 4, s[0:1]
	global_load_dwordx4 v[130:133], v[72:73], off
	global_load_dwordx4 v[134:137], v[74:75], off
	v_lshl_add_u64 v[98:99], v[160:161], 4, s[0:1]
	s_waitcnt vmcnt(28)
	scratch_store_dwordx4 off, v[6:9], off offset:256
	global_load_dwordx4 v[6:9], v[76:77], off
	s_waitcnt vmcnt(15)
	scratch_store_dwordx4 off, v[2:5], off offset:272
	s_waitcnt vmcnt(15)
	scratch_store_dwordx4 off, v[78:81], off offset:288
	;; [unrolled: 2-line block ×14, first 2 shown]
	v_lshl_add_u64 v[78:79], v[140:141], 4, s[0:1]
	v_lshl_add_u64 v[80:81], v[142:143], 4, s[0:1]
	s_waitcnt vmcnt(14)
	scratch_store_dwordx4 off, v[6:9], off offset:496
	v_lshl_add_u64 v[84:85], v[146:147], 4, s[0:1]
	v_lshl_add_u64 v[88:89], v[150:151], 4, s[0:1]
	;; [unrolled: 1-line block ×6, first 2 shown]
	global_load_dwordx4 v[2:5], v[78:79], off
	v_lshl_add_u64 v[82:83], v[144:145], 4, s[0:1]
	global_load_dwordx4 v[6:9], v[80:81], off
	global_load_dwordx4 v[114:117], v[82:83], off
	v_lshl_add_u64 v[86:87], v[148:149], 4, s[0:1]
	global_load_dwordx4 v[118:121], v[84:85], off
	;; [unrolled: 3-line block ×4, first 2 shown]
	global_load_dwordx4 v[138:141], v[94:95], off
	global_load_dwordx4 v[142:145], v[96:97], off
	;; [unrolled: 1-line block ×3, first 2 shown]
	v_lshl_add_u64 v[104:105], v[164:165], 4, s[0:1]
	global_load_dwordx4 v[150:153], v[102:103], off
	global_load_dwordx4 v[154:157], v[104:105], off
	v_lshl_add_u64 v[108:109], v[168:169], 4, s[0:1]
	global_load_dwordx4 v[158:161], v[106:107], off
	global_load_dwordx4 v[162:165], v[108:109], off
	s_waitcnt vmcnt(14)
	scratch_store_dwordx4 off, v[2:5], off offset:512
	s_waitcnt vmcnt(14)
	scratch_store_dwordx4 off, v[6:9], off offset:528
	;; [unrolled: 2-line block ×15, first 2 shown]
	scratch_store_dwordx4 off, v[110:113], off offset:752
	s_cbranch_scc1 .LBB47_7
; %bb.2:
	scratch_load_dwordx4 v[8:11], v100, off
                                        ; implicit-def: $vgpr6_vgpr7
	s_waitcnt vmcnt(0)
	v_xor_b32_e32 v3, 0x80000000, v9
	v_cmp_gt_f64_e32 vcc, 0, v[8:9]
	v_xor_b32_e32 v4, 0x80000000, v11
	v_mov_b32_e32 v2, v8
	v_cndmask_b32_e32 v3, v9, v3, vcc
	v_cmp_gt_f64_e32 vcc, 0, v[10:11]
	s_nop 1
	v_cndmask_b32_e32 v5, v11, v4, vcc
	v_mov_b32_e32 v4, v10
	v_cmp_ngt_f64_e32 vcc, v[2:3], v[4:5]
                                        ; implicit-def: $vgpr2_vgpr3
	s_and_saveexec_b64 s[0:1], vcc
	s_xor_b64 s[0:1], exec, s[0:1]
	s_cbranch_execz .LBB47_4
; %bb.3:
	v_div_scale_f64 v[2:3], s[2:3], v[10:11], v[10:11], v[8:9]
	v_rcp_f64_e32 v[4:5], v[2:3]
	v_div_scale_f64 v[6:7], vcc, v[8:9], v[10:11], v[8:9]
	v_fma_f64 v[110:111], -v[2:3], v[4:5], 1.0
	v_fmac_f64_e32 v[4:5], v[4:5], v[110:111]
	v_fma_f64 v[110:111], -v[2:3], v[4:5], 1.0
	v_fmac_f64_e32 v[4:5], v[4:5], v[110:111]
	v_mul_f64 v[110:111], v[6:7], v[4:5]
	v_fma_f64 v[2:3], -v[2:3], v[110:111], v[6:7]
	v_div_fmas_f64 v[2:3], v[2:3], v[4:5], v[110:111]
	v_div_fixup_f64 v[2:3], v[2:3], v[10:11], v[8:9]
	v_fmac_f64_e32 v[10:11], v[8:9], v[2:3]
	v_div_scale_f64 v[4:5], s[2:3], v[10:11], v[10:11], 1.0
	v_rcp_f64_e32 v[6:7], v[4:5]
	s_nop 0
	v_fma_f64 v[8:9], -v[4:5], v[6:7], 1.0
	v_fmac_f64_e32 v[6:7], v[6:7], v[8:9]
	v_fma_f64 v[8:9], -v[4:5], v[6:7], 1.0
	v_fmac_f64_e32 v[6:7], v[6:7], v[8:9]
	v_div_scale_f64 v[8:9], vcc, 1.0, v[10:11], 1.0
	v_mul_f64 v[110:111], v[8:9], v[6:7]
	v_fma_f64 v[4:5], -v[4:5], v[110:111], v[8:9]
                                        ; implicit-def: $vgpr8_vgpr9
	s_nop 1
	v_div_fmas_f64 v[4:5], v[4:5], v[6:7], v[110:111]
	v_div_fixup_f64 v[4:5], v[4:5], v[10:11], 1.0
	v_mul_f64 v[2:3], v[2:3], v[4:5]
	v_xor_b32_e32 v5, 0x80000000, v5
	v_xor_b32_e32 v7, 0x80000000, v3
	v_mov_b32_e32 v6, v2
.LBB47_4:
	s_or_saveexec_b64 s[0:1], s[0:1]
	v_add_u32_e32 v101, 0, v100
	s_xor_b64 exec, exec, s[0:1]
	s_cbranch_execz .LBB47_6
; %bb.5:
	v_div_scale_f64 v[2:3], s[2:3], v[8:9], v[8:9], v[10:11]
	v_rcp_f64_e32 v[4:5], v[2:3]
	v_div_scale_f64 v[6:7], vcc, v[10:11], v[8:9], v[10:11]
	v_fma_f64 v[110:111], -v[2:3], v[4:5], 1.0
	v_fmac_f64_e32 v[4:5], v[4:5], v[110:111]
	v_fma_f64 v[110:111], -v[2:3], v[4:5], 1.0
	v_fmac_f64_e32 v[4:5], v[4:5], v[110:111]
	v_mul_f64 v[110:111], v[6:7], v[4:5]
	v_fma_f64 v[2:3], -v[2:3], v[110:111], v[6:7]
	v_div_fmas_f64 v[2:3], v[2:3], v[4:5], v[110:111]
	v_div_fixup_f64 v[4:5], v[2:3], v[8:9], v[10:11]
	v_fmac_f64_e32 v[8:9], v[10:11], v[4:5]
	v_div_scale_f64 v[2:3], s[2:3], v[8:9], v[8:9], 1.0
	v_rcp_f64_e32 v[6:7], v[2:3]
	s_nop 0
	v_fma_f64 v[10:11], -v[2:3], v[6:7], 1.0
	v_fmac_f64_e32 v[6:7], v[6:7], v[10:11]
	v_fma_f64 v[10:11], -v[2:3], v[6:7], 1.0
	v_fmac_f64_e32 v[6:7], v[6:7], v[10:11]
	v_div_scale_f64 v[10:11], vcc, 1.0, v[8:9], 1.0
	v_mul_f64 v[110:111], v[10:11], v[6:7]
	v_fma_f64 v[2:3], -v[2:3], v[110:111], v[10:11]
	s_nop 1
	v_div_fmas_f64 v[2:3], v[2:3], v[6:7], v[110:111]
	v_div_fixup_f64 v[2:3], v[2:3], v[8:9], 1.0
	v_xor_b32_e32 v7, 0x80000000, v3
	v_mov_b32_e32 v6, v2
	v_mul_f64 v[4:5], v[4:5], -v[2:3]
.LBB47_6:
	s_or_b64 exec, exec, s[0:1]
	scratch_store_dwordx4 v101, v[2:5], off
	s_nop 1
	v_xor_b32_e32 v5, 0x80000000, v5
	s_branch .LBB47_8
.LBB47_7:
	v_mov_b64_e32 v[4:5], 0
	v_mov_b64_e32 v[6:7], -1.0
.LBB47_8:
	v_mov_b32_e32 v8, v4
	v_mov_b32_e32 v9, v5
	v_add_u32_e32 v152, 16, v1
	v_add_u32_e32 v151, 32, v1
	;; [unrolled: 1-line block ×47, first 2 shown]
	ds_write_b128 v100, v[6:9]
	s_cmpk_eq_i32 s4, 0x79
	v_add_u32_e32 v9, 0x300, v100
	v_add_u32_e32 v8, 0, v100
	s_cbranch_scc1 .LBB47_380
; %bb.9:
	scratch_load_dwordx4 v[2:5], v10, off
	v_cmp_eq_u32_e64 s[0:1], 47, v0
	s_waitcnt vmcnt(0)
	ds_write_b128 v9, v[2:5]
	s_waitcnt lgkmcnt(0)
	; wave barrier
	s_waitcnt lgkmcnt(0)
	s_and_saveexec_b64 s[2:3], s[0:1]
	s_cbranch_execz .LBB47_13
; %bb.10:
	ds_read_b128 v[2:5], v9
	s_andn2_b64 vcc, exec, s[6:7]
	s_cbranch_vccnz .LBB47_12
; %bb.11:
	scratch_load_dwordx4 v[154:157], v8, off
	s_waitcnt vmcnt(0) lgkmcnt(0)
	v_mul_f64 v[6:7], v[4:5], v[156:157]
	v_mul_f64 v[156:157], v[2:3], v[156:157]
	v_fmac_f64_e32 v[156:157], v[4:5], v[154:155]
	v_fma_f64 v[2:3], v[2:3], v[154:155], -v[6:7]
	v_mov_b64_e32 v[4:5], v[156:157]
.LBB47_12:
	v_mov_b32_e32 v6, 0
	ds_read_b128 v[154:157], v6 offset:736
	s_waitcnt lgkmcnt(0)
	v_mul_f64 v[6:7], v[4:5], v[156:157]
	v_mul_f64 v[158:159], v[2:3], v[156:157]
	v_fma_f64 v[156:157], v[2:3], v[154:155], -v[6:7]
	v_fmac_f64_e32 v[158:159], v[4:5], v[154:155]
	scratch_store_dwordx4 off, v[156:159], off offset:736
.LBB47_13:
	s_or_b64 exec, exec, s[2:3]
	scratch_load_dwordx4 v[2:5], v11, off
	v_cmp_lt_u32_e64 s[2:3], 45, v0
	s_waitcnt vmcnt(0)
	ds_write_b128 v9, v[2:5]
	s_waitcnt lgkmcnt(0)
	; wave barrier
	s_waitcnt lgkmcnt(0)
	s_and_saveexec_b64 s[4:5], s[2:3]
	s_cbranch_execz .LBB47_19
; %bb.14:
	ds_read_b128 v[2:5], v9
	s_andn2_b64 vcc, exec, s[6:7]
	s_cbranch_vccnz .LBB47_16
; %bb.15:
	scratch_load_dwordx4 v[154:157], v8, off
	s_waitcnt vmcnt(0) lgkmcnt(0)
	v_mul_f64 v[6:7], v[4:5], v[156:157]
	v_mul_f64 v[156:157], v[2:3], v[156:157]
	v_fmac_f64_e32 v[156:157], v[4:5], v[154:155]
	v_fma_f64 v[2:3], v[2:3], v[154:155], -v[6:7]
	v_mov_b64_e32 v[4:5], v[156:157]
.LBB47_16:
	s_and_saveexec_b64 s[8:9], s[0:1]
	s_cbranch_execz .LBB47_18
; %bb.17:
	scratch_load_dwordx4 v[154:157], off, off offset:736
	v_mov_b32_e32 v6, 0
	ds_read_b128 v[158:161], v6 offset:1504
	s_waitcnt vmcnt(0) lgkmcnt(0)
	v_mul_f64 v[6:7], v[158:159], v[156:157]
	v_mul_f64 v[156:157], v[160:161], v[156:157]
	v_fmac_f64_e32 v[6:7], v[160:161], v[154:155]
	v_fma_f64 v[154:155], v[158:159], v[154:155], -v[156:157]
	v_add_f64 v[4:5], v[4:5], v[6:7]
	v_add_f64 v[2:3], v[2:3], v[154:155]
.LBB47_18:
	s_or_b64 exec, exec, s[8:9]
	v_mov_b32_e32 v6, 0
	ds_read_b128 v[154:157], v6 offset:720
	s_waitcnt lgkmcnt(0)
	v_mul_f64 v[6:7], v[4:5], v[156:157]
	v_mul_f64 v[158:159], v[2:3], v[156:157]
	v_fma_f64 v[156:157], v[2:3], v[154:155], -v[6:7]
	v_fmac_f64_e32 v[158:159], v[4:5], v[154:155]
	scratch_store_dwordx4 off, v[156:159], off offset:720
.LBB47_19:
	s_or_b64 exec, exec, s[4:5]
	scratch_load_dwordx4 v[2:5], v101, off
	v_cmp_lt_u32_e64 s[0:1], 44, v0
	s_waitcnt vmcnt(0)
	ds_write_b128 v9, v[2:5]
	s_waitcnt lgkmcnt(0)
	; wave barrier
	s_waitcnt lgkmcnt(0)
	s_and_saveexec_b64 s[4:5], s[0:1]
	s_cbranch_execz .LBB47_27
; %bb.20:
	ds_read_b128 v[2:5], v9
	s_andn2_b64 vcc, exec, s[6:7]
	s_cbranch_vccnz .LBB47_22
; %bb.21:
	scratch_load_dwordx4 v[154:157], v8, off
	s_waitcnt vmcnt(0) lgkmcnt(0)
	v_mul_f64 v[6:7], v[4:5], v[156:157]
	v_mul_f64 v[156:157], v[2:3], v[156:157]
	v_fmac_f64_e32 v[156:157], v[4:5], v[154:155]
	v_fma_f64 v[2:3], v[2:3], v[154:155], -v[6:7]
	v_mov_b64_e32 v[4:5], v[156:157]
.LBB47_22:
	s_and_saveexec_b64 s[8:9], s[2:3]
	s_cbranch_execz .LBB47_26
; %bb.23:
	v_mov_b32_e32 v7, 0
	v_subrev_u32_e32 v6, 45, v0
	v_add_u32_e32 v7, 0x2d8, v7
	s_movk_i32 s10, 0x5d0
	s_mov_b64 s[2:3], 0
.LBB47_24:                              ; =>This Inner Loop Header: Depth=1
	v_add_u32_e32 v153, -8, v7
	scratch_load_dwordx4 v[154:157], v153, off
	v_mov_b32_e32 v153, s10
	ds_read_b128 v[158:161], v153
	v_add_u32_e32 v6, -1, v6
	s_add_i32 s10, s10, 16
	v_cmp_eq_u32_e32 vcc, 0, v6
	v_add_u32_e32 v7, 16, v7
	s_or_b64 s[2:3], vcc, s[2:3]
	s_waitcnt vmcnt(0) lgkmcnt(0)
	v_mul_f64 v[162:163], v[160:161], v[156:157]
	v_mul_f64 v[156:157], v[158:159], v[156:157]
	v_fma_f64 v[158:159], v[158:159], v[154:155], -v[162:163]
	v_fmac_f64_e32 v[156:157], v[160:161], v[154:155]
	v_add_f64 v[2:3], v[2:3], v[158:159]
	v_add_f64 v[4:5], v[4:5], v[156:157]
	s_andn2_b64 exec, exec, s[2:3]
	s_cbranch_execnz .LBB47_24
; %bb.25:
	s_or_b64 exec, exec, s[2:3]
.LBB47_26:
	s_or_b64 exec, exec, s[8:9]
	v_mov_b32_e32 v6, 0
	ds_read_b128 v[154:157], v6 offset:704
	s_waitcnt lgkmcnt(0)
	v_mul_f64 v[6:7], v[4:5], v[156:157]
	v_mul_f64 v[158:159], v[2:3], v[156:157]
	v_fma_f64 v[156:157], v[2:3], v[154:155], -v[6:7]
	v_fmac_f64_e32 v[158:159], v[4:5], v[154:155]
	scratch_store_dwordx4 off, v[156:159], off offset:704
.LBB47_27:
	s_or_b64 exec, exec, s[4:5]
	scratch_load_dwordx4 v[2:5], v110, off
	v_cmp_lt_u32_e64 s[2:3], 43, v0
	s_waitcnt vmcnt(0)
	ds_write_b128 v9, v[2:5]
	s_waitcnt lgkmcnt(0)
	; wave barrier
	s_waitcnt lgkmcnt(0)
	s_and_saveexec_b64 s[4:5], s[2:3]
	s_cbranch_execz .LBB47_35
; %bb.28:
	ds_read_b128 v[2:5], v9
	s_andn2_b64 vcc, exec, s[6:7]
	s_cbranch_vccnz .LBB47_30
; %bb.29:
	scratch_load_dwordx4 v[154:157], v8, off
	s_waitcnt vmcnt(0) lgkmcnt(0)
	v_mul_f64 v[6:7], v[4:5], v[156:157]
	v_mul_f64 v[156:157], v[2:3], v[156:157]
	v_fmac_f64_e32 v[156:157], v[4:5], v[154:155]
	v_fma_f64 v[2:3], v[2:3], v[154:155], -v[6:7]
	v_mov_b64_e32 v[4:5], v[156:157]
.LBB47_30:
	s_and_saveexec_b64 s[8:9], s[0:1]
	s_cbranch_execz .LBB47_34
; %bb.31:
	v_mov_b32_e32 v7, 0
	v_subrev_u32_e32 v6, 44, v0
	v_add_u32_e32 v7, 0x2c8, v7
	s_movk_i32 s10, 0x5c0
	s_mov_b64 s[0:1], 0
.LBB47_32:                              ; =>This Inner Loop Header: Depth=1
	v_add_u32_e32 v153, -8, v7
	scratch_load_dwordx4 v[154:157], v153, off
	v_mov_b32_e32 v153, s10
	ds_read_b128 v[158:161], v153
	v_add_u32_e32 v6, -1, v6
	s_add_i32 s10, s10, 16
	v_cmp_eq_u32_e32 vcc, 0, v6
	v_add_u32_e32 v7, 16, v7
	s_or_b64 s[0:1], vcc, s[0:1]
	s_waitcnt vmcnt(0) lgkmcnt(0)
	v_mul_f64 v[162:163], v[160:161], v[156:157]
	v_mul_f64 v[156:157], v[158:159], v[156:157]
	v_fma_f64 v[158:159], v[158:159], v[154:155], -v[162:163]
	v_fmac_f64_e32 v[156:157], v[160:161], v[154:155]
	v_add_f64 v[2:3], v[2:3], v[158:159]
	v_add_f64 v[4:5], v[4:5], v[156:157]
	s_andn2_b64 exec, exec, s[0:1]
	s_cbranch_execnz .LBB47_32
; %bb.33:
	s_or_b64 exec, exec, s[0:1]
.LBB47_34:
	s_or_b64 exec, exec, s[8:9]
	v_mov_b32_e32 v6, 0
	ds_read_b128 v[154:157], v6 offset:688
	s_waitcnt lgkmcnt(0)
	v_mul_f64 v[6:7], v[4:5], v[156:157]
	v_mul_f64 v[158:159], v[2:3], v[156:157]
	v_fma_f64 v[156:157], v[2:3], v[154:155], -v[6:7]
	v_fmac_f64_e32 v[158:159], v[4:5], v[154:155]
	scratch_store_dwordx4 off, v[156:159], off offset:688
.LBB47_35:
	;; [unrolled: 63-line block ×10, first 2 shown]
	s_or_b64 exec, exec, s[4:5]
	scratch_load_dwordx4 v[2:5], v119, off
	v_cmp_lt_u32_e64 s[0:1], 34, v0
	s_waitcnt vmcnt(0)
	ds_write_b128 v9, v[2:5]
	s_waitcnt lgkmcnt(0)
	; wave barrier
	s_waitcnt lgkmcnt(0)
	s_and_saveexec_b64 s[4:5], s[0:1]
	s_cbranch_execz .LBB47_107
; %bb.100:
	ds_read_b128 v[2:5], v9
	s_andn2_b64 vcc, exec, s[6:7]
	s_cbranch_vccnz .LBB47_102
; %bb.101:
	scratch_load_dwordx4 v[154:157], v8, off
	s_waitcnt vmcnt(0) lgkmcnt(0)
	v_mul_f64 v[6:7], v[4:5], v[156:157]
	v_mul_f64 v[156:157], v[2:3], v[156:157]
	v_fmac_f64_e32 v[156:157], v[4:5], v[154:155]
	v_fma_f64 v[2:3], v[2:3], v[154:155], -v[6:7]
	v_mov_b64_e32 v[4:5], v[156:157]
.LBB47_102:
	s_and_saveexec_b64 s[8:9], s[2:3]
	s_cbranch_execz .LBB47_106
; %bb.103:
	v_mov_b32_e32 v7, 0
	v_subrev_u32_e32 v6, 35, v0
	v_add_u32_e32 v7, 0x238, v7
	s_movk_i32 s10, 0x530
	s_mov_b64 s[2:3], 0
.LBB47_104:                             ; =>This Inner Loop Header: Depth=1
	v_add_u32_e32 v153, -8, v7
	scratch_load_dwordx4 v[154:157], v153, off
	v_mov_b32_e32 v153, s10
	ds_read_b128 v[158:161], v153
	v_add_u32_e32 v6, -1, v6
	s_add_i32 s10, s10, 16
	v_cmp_eq_u32_e32 vcc, 0, v6
	v_add_u32_e32 v7, 16, v7
	s_or_b64 s[2:3], vcc, s[2:3]
	s_waitcnt vmcnt(0) lgkmcnt(0)
	v_mul_f64 v[162:163], v[160:161], v[156:157]
	v_mul_f64 v[156:157], v[158:159], v[156:157]
	v_fma_f64 v[158:159], v[158:159], v[154:155], -v[162:163]
	v_fmac_f64_e32 v[156:157], v[160:161], v[154:155]
	v_add_f64 v[2:3], v[2:3], v[158:159]
	v_add_f64 v[4:5], v[4:5], v[156:157]
	s_andn2_b64 exec, exec, s[2:3]
	s_cbranch_execnz .LBB47_104
; %bb.105:
	s_or_b64 exec, exec, s[2:3]
.LBB47_106:
	s_or_b64 exec, exec, s[8:9]
	v_mov_b32_e32 v6, 0
	ds_read_b128 v[154:157], v6 offset:544
	s_waitcnt lgkmcnt(0)
	v_mul_f64 v[6:7], v[4:5], v[156:157]
	v_mul_f64 v[158:159], v[2:3], v[156:157]
	v_fma_f64 v[156:157], v[2:3], v[154:155], -v[6:7]
	v_fmac_f64_e32 v[158:159], v[4:5], v[154:155]
	scratch_store_dwordx4 off, v[156:159], off offset:544
.LBB47_107:
	s_or_b64 exec, exec, s[4:5]
	scratch_load_dwordx4 v[2:5], v120, off
	v_cmp_lt_u32_e64 s[2:3], 33, v0
	s_waitcnt vmcnt(0)
	ds_write_b128 v9, v[2:5]
	s_waitcnt lgkmcnt(0)
	; wave barrier
	s_waitcnt lgkmcnt(0)
	s_and_saveexec_b64 s[4:5], s[2:3]
	s_cbranch_execz .LBB47_115
; %bb.108:
	ds_read_b128 v[2:5], v9
	s_andn2_b64 vcc, exec, s[6:7]
	s_cbranch_vccnz .LBB47_110
; %bb.109:
	scratch_load_dwordx4 v[154:157], v8, off
	s_waitcnt vmcnt(0) lgkmcnt(0)
	v_mul_f64 v[6:7], v[4:5], v[156:157]
	v_mul_f64 v[156:157], v[2:3], v[156:157]
	v_fmac_f64_e32 v[156:157], v[4:5], v[154:155]
	v_fma_f64 v[2:3], v[2:3], v[154:155], -v[6:7]
	v_mov_b64_e32 v[4:5], v[156:157]
.LBB47_110:
	s_and_saveexec_b64 s[8:9], s[0:1]
	s_cbranch_execz .LBB47_114
; %bb.111:
	v_mov_b32_e32 v7, 0
	v_subrev_u32_e32 v6, 34, v0
	v_add_u32_e32 v7, 0x228, v7
	s_movk_i32 s10, 0x520
	s_mov_b64 s[0:1], 0
.LBB47_112:                             ; =>This Inner Loop Header: Depth=1
	v_add_u32_e32 v153, -8, v7
	scratch_load_dwordx4 v[154:157], v153, off
	v_mov_b32_e32 v153, s10
	ds_read_b128 v[158:161], v153
	v_add_u32_e32 v6, -1, v6
	s_add_i32 s10, s10, 16
	v_cmp_eq_u32_e32 vcc, 0, v6
	v_add_u32_e32 v7, 16, v7
	s_or_b64 s[0:1], vcc, s[0:1]
	s_waitcnt vmcnt(0) lgkmcnt(0)
	v_mul_f64 v[162:163], v[160:161], v[156:157]
	v_mul_f64 v[156:157], v[158:159], v[156:157]
	v_fma_f64 v[158:159], v[158:159], v[154:155], -v[162:163]
	v_fmac_f64_e32 v[156:157], v[160:161], v[154:155]
	v_add_f64 v[2:3], v[2:3], v[158:159]
	v_add_f64 v[4:5], v[4:5], v[156:157]
	s_andn2_b64 exec, exec, s[0:1]
	s_cbranch_execnz .LBB47_112
; %bb.113:
	s_or_b64 exec, exec, s[0:1]
.LBB47_114:
	s_or_b64 exec, exec, s[8:9]
	v_mov_b32_e32 v6, 0
	ds_read_b128 v[154:157], v6 offset:528
	s_waitcnt lgkmcnt(0)
	v_mul_f64 v[6:7], v[4:5], v[156:157]
	v_mul_f64 v[158:159], v[2:3], v[156:157]
	v_fma_f64 v[156:157], v[2:3], v[154:155], -v[6:7]
	v_fmac_f64_e32 v[158:159], v[4:5], v[154:155]
	scratch_store_dwordx4 off, v[156:159], off offset:528
.LBB47_115:
	s_or_b64 exec, exec, s[4:5]
	scratch_load_dwordx4 v[2:5], v121, off
	v_cmp_lt_u32_e64 s[0:1], 32, v0
	s_waitcnt vmcnt(0)
	ds_write_b128 v9, v[2:5]
	s_waitcnt lgkmcnt(0)
	; wave barrier
	s_waitcnt lgkmcnt(0)
	s_and_saveexec_b64 s[4:5], s[0:1]
	s_cbranch_execz .LBB47_123
; %bb.116:
	ds_read_b128 v[2:5], v9
	s_andn2_b64 vcc, exec, s[6:7]
	s_cbranch_vccnz .LBB47_118
; %bb.117:
	scratch_load_dwordx4 v[154:157], v8, off
	s_waitcnt vmcnt(0) lgkmcnt(0)
	v_mul_f64 v[6:7], v[4:5], v[156:157]
	v_mul_f64 v[156:157], v[2:3], v[156:157]
	v_fmac_f64_e32 v[156:157], v[4:5], v[154:155]
	v_fma_f64 v[2:3], v[2:3], v[154:155], -v[6:7]
	v_mov_b64_e32 v[4:5], v[156:157]
.LBB47_118:
	s_and_saveexec_b64 s[8:9], s[2:3]
	s_cbranch_execz .LBB47_122
; %bb.119:
	v_mov_b32_e32 v7, 0
	v_subrev_u32_e32 v6, 33, v0
	v_add_u32_e32 v7, 0x218, v7
	s_movk_i32 s10, 0x510
	s_mov_b64 s[2:3], 0
.LBB47_120:                             ; =>This Inner Loop Header: Depth=1
	v_add_u32_e32 v153, -8, v7
	scratch_load_dwordx4 v[154:157], v153, off
	v_mov_b32_e32 v153, s10
	ds_read_b128 v[158:161], v153
	v_add_u32_e32 v6, -1, v6
	s_add_i32 s10, s10, 16
	v_cmp_eq_u32_e32 vcc, 0, v6
	v_add_u32_e32 v7, 16, v7
	s_or_b64 s[2:3], vcc, s[2:3]
	s_waitcnt vmcnt(0) lgkmcnt(0)
	v_mul_f64 v[162:163], v[160:161], v[156:157]
	v_mul_f64 v[156:157], v[158:159], v[156:157]
	v_fma_f64 v[158:159], v[158:159], v[154:155], -v[162:163]
	v_fmac_f64_e32 v[156:157], v[160:161], v[154:155]
	v_add_f64 v[2:3], v[2:3], v[158:159]
	v_add_f64 v[4:5], v[4:5], v[156:157]
	s_andn2_b64 exec, exec, s[2:3]
	s_cbranch_execnz .LBB47_120
; %bb.121:
	s_or_b64 exec, exec, s[2:3]
.LBB47_122:
	s_or_b64 exec, exec, s[8:9]
	v_mov_b32_e32 v6, 0
	ds_read_b128 v[154:157], v6 offset:512
	s_waitcnt lgkmcnt(0)
	v_mul_f64 v[6:7], v[4:5], v[156:157]
	v_mul_f64 v[158:159], v[2:3], v[156:157]
	v_fma_f64 v[156:157], v[2:3], v[154:155], -v[6:7]
	v_fmac_f64_e32 v[158:159], v[4:5], v[154:155]
	scratch_store_dwordx4 off, v[156:159], off offset:512
.LBB47_123:
	s_or_b64 exec, exec, s[4:5]
	scratch_load_dwordx4 v[2:5], v122, off
	v_cmp_lt_u32_e64 s[2:3], 31, v0
	s_waitcnt vmcnt(0)
	ds_write_b128 v9, v[2:5]
	s_waitcnt lgkmcnt(0)
	; wave barrier
	s_waitcnt lgkmcnt(0)
	s_and_saveexec_b64 s[4:5], s[2:3]
	s_cbranch_execz .LBB47_131
; %bb.124:
	ds_read_b128 v[2:5], v9
	s_andn2_b64 vcc, exec, s[6:7]
	s_cbranch_vccnz .LBB47_126
; %bb.125:
	scratch_load_dwordx4 v[154:157], v8, off
	s_waitcnt vmcnt(0) lgkmcnt(0)
	v_mul_f64 v[6:7], v[4:5], v[156:157]
	v_mul_f64 v[156:157], v[2:3], v[156:157]
	v_fmac_f64_e32 v[156:157], v[4:5], v[154:155]
	v_fma_f64 v[2:3], v[2:3], v[154:155], -v[6:7]
	v_mov_b64_e32 v[4:5], v[156:157]
.LBB47_126:
	s_and_saveexec_b64 s[8:9], s[0:1]
	s_cbranch_execz .LBB47_130
; %bb.127:
	v_mov_b32_e32 v7, 0
	v_subrev_u32_e32 v6, 32, v0
	v_add_u32_e32 v7, 0x208, v7
	s_movk_i32 s10, 0x500
	s_mov_b64 s[0:1], 0
.LBB47_128:                             ; =>This Inner Loop Header: Depth=1
	v_add_u32_e32 v153, -8, v7
	scratch_load_dwordx4 v[154:157], v153, off
	v_mov_b32_e32 v153, s10
	ds_read_b128 v[158:161], v153
	v_add_u32_e32 v6, -1, v6
	s_add_i32 s10, s10, 16
	v_cmp_eq_u32_e32 vcc, 0, v6
	v_add_u32_e32 v7, 16, v7
	s_or_b64 s[0:1], vcc, s[0:1]
	s_waitcnt vmcnt(0) lgkmcnt(0)
	v_mul_f64 v[162:163], v[160:161], v[156:157]
	v_mul_f64 v[156:157], v[158:159], v[156:157]
	v_fma_f64 v[158:159], v[158:159], v[154:155], -v[162:163]
	v_fmac_f64_e32 v[156:157], v[160:161], v[154:155]
	v_add_f64 v[2:3], v[2:3], v[158:159]
	v_add_f64 v[4:5], v[4:5], v[156:157]
	s_andn2_b64 exec, exec, s[0:1]
	s_cbranch_execnz .LBB47_128
; %bb.129:
	s_or_b64 exec, exec, s[0:1]
.LBB47_130:
	s_or_b64 exec, exec, s[8:9]
	v_mov_b32_e32 v6, 0
	ds_read_b128 v[154:157], v6 offset:496
	s_waitcnt lgkmcnt(0)
	v_mul_f64 v[6:7], v[4:5], v[156:157]
	v_mul_f64 v[158:159], v[2:3], v[156:157]
	v_fma_f64 v[156:157], v[2:3], v[154:155], -v[6:7]
	v_fmac_f64_e32 v[158:159], v[4:5], v[154:155]
	scratch_store_dwordx4 off, v[156:159], off offset:496
.LBB47_131:
	s_or_b64 exec, exec, s[4:5]
	scratch_load_dwordx4 v[2:5], v123, off
	v_cmp_lt_u32_e64 s[0:1], 30, v0
	s_waitcnt vmcnt(0)
	ds_write_b128 v9, v[2:5]
	s_waitcnt lgkmcnt(0)
	; wave barrier
	s_waitcnt lgkmcnt(0)
	s_and_saveexec_b64 s[4:5], s[0:1]
	s_cbranch_execz .LBB47_139
; %bb.132:
	ds_read_b128 v[2:5], v9
	s_andn2_b64 vcc, exec, s[6:7]
	s_cbranch_vccnz .LBB47_134
; %bb.133:
	scratch_load_dwordx4 v[154:157], v8, off
	s_waitcnt vmcnt(0) lgkmcnt(0)
	v_mul_f64 v[6:7], v[4:5], v[156:157]
	v_mul_f64 v[156:157], v[2:3], v[156:157]
	v_fmac_f64_e32 v[156:157], v[4:5], v[154:155]
	v_fma_f64 v[2:3], v[2:3], v[154:155], -v[6:7]
	v_mov_b64_e32 v[4:5], v[156:157]
.LBB47_134:
	s_and_saveexec_b64 s[8:9], s[2:3]
	s_cbranch_execz .LBB47_138
; %bb.135:
	v_mov_b32_e32 v7, 0
	v_subrev_u32_e32 v6, 31, v0
	v_add_u32_e32 v7, 0x1f8, v7
	s_movk_i32 s10, 0x4f0
	s_mov_b64 s[2:3], 0
.LBB47_136:                             ; =>This Inner Loop Header: Depth=1
	v_add_u32_e32 v153, -8, v7
	scratch_load_dwordx4 v[154:157], v153, off
	v_mov_b32_e32 v153, s10
	ds_read_b128 v[158:161], v153
	v_add_u32_e32 v6, -1, v6
	s_add_i32 s10, s10, 16
	v_cmp_eq_u32_e32 vcc, 0, v6
	v_add_u32_e32 v7, 16, v7
	s_or_b64 s[2:3], vcc, s[2:3]
	s_waitcnt vmcnt(0) lgkmcnt(0)
	v_mul_f64 v[162:163], v[160:161], v[156:157]
	v_mul_f64 v[156:157], v[158:159], v[156:157]
	v_fma_f64 v[158:159], v[158:159], v[154:155], -v[162:163]
	v_fmac_f64_e32 v[156:157], v[160:161], v[154:155]
	v_add_f64 v[2:3], v[2:3], v[158:159]
	v_add_f64 v[4:5], v[4:5], v[156:157]
	s_andn2_b64 exec, exec, s[2:3]
	s_cbranch_execnz .LBB47_136
; %bb.137:
	s_or_b64 exec, exec, s[2:3]
.LBB47_138:
	s_or_b64 exec, exec, s[8:9]
	v_mov_b32_e32 v6, 0
	ds_read_b128 v[154:157], v6 offset:480
	s_waitcnt lgkmcnt(0)
	v_mul_f64 v[6:7], v[4:5], v[156:157]
	v_mul_f64 v[158:159], v[2:3], v[156:157]
	v_fma_f64 v[156:157], v[2:3], v[154:155], -v[6:7]
	v_fmac_f64_e32 v[158:159], v[4:5], v[154:155]
	scratch_store_dwordx4 off, v[156:159], off offset:480
.LBB47_139:
	s_or_b64 exec, exec, s[4:5]
	scratch_load_dwordx4 v[2:5], v124, off
	v_cmp_lt_u32_e64 s[2:3], 29, v0
	s_waitcnt vmcnt(0)
	ds_write_b128 v9, v[2:5]
	s_waitcnt lgkmcnt(0)
	; wave barrier
	s_waitcnt lgkmcnt(0)
	s_and_saveexec_b64 s[4:5], s[2:3]
	s_cbranch_execz .LBB47_147
; %bb.140:
	ds_read_b128 v[2:5], v9
	s_andn2_b64 vcc, exec, s[6:7]
	s_cbranch_vccnz .LBB47_142
; %bb.141:
	scratch_load_dwordx4 v[154:157], v8, off
	s_waitcnt vmcnt(0) lgkmcnt(0)
	v_mul_f64 v[6:7], v[4:5], v[156:157]
	v_mul_f64 v[156:157], v[2:3], v[156:157]
	v_fmac_f64_e32 v[156:157], v[4:5], v[154:155]
	v_fma_f64 v[2:3], v[2:3], v[154:155], -v[6:7]
	v_mov_b64_e32 v[4:5], v[156:157]
.LBB47_142:
	s_and_saveexec_b64 s[8:9], s[0:1]
	s_cbranch_execz .LBB47_146
; %bb.143:
	v_mov_b32_e32 v7, 0
	v_subrev_u32_e32 v6, 30, v0
	v_add_u32_e32 v7, 0x1e8, v7
	s_movk_i32 s10, 0x4e0
	s_mov_b64 s[0:1], 0
.LBB47_144:                             ; =>This Inner Loop Header: Depth=1
	v_add_u32_e32 v153, -8, v7
	scratch_load_dwordx4 v[154:157], v153, off
	v_mov_b32_e32 v153, s10
	ds_read_b128 v[158:161], v153
	v_add_u32_e32 v6, -1, v6
	s_add_i32 s10, s10, 16
	v_cmp_eq_u32_e32 vcc, 0, v6
	v_add_u32_e32 v7, 16, v7
	s_or_b64 s[0:1], vcc, s[0:1]
	s_waitcnt vmcnt(0) lgkmcnt(0)
	v_mul_f64 v[162:163], v[160:161], v[156:157]
	v_mul_f64 v[156:157], v[158:159], v[156:157]
	v_fma_f64 v[158:159], v[158:159], v[154:155], -v[162:163]
	v_fmac_f64_e32 v[156:157], v[160:161], v[154:155]
	v_add_f64 v[2:3], v[2:3], v[158:159]
	v_add_f64 v[4:5], v[4:5], v[156:157]
	s_andn2_b64 exec, exec, s[0:1]
	s_cbranch_execnz .LBB47_144
; %bb.145:
	s_or_b64 exec, exec, s[0:1]
.LBB47_146:
	s_or_b64 exec, exec, s[8:9]
	v_mov_b32_e32 v6, 0
	ds_read_b128 v[154:157], v6 offset:464
	s_waitcnt lgkmcnt(0)
	v_mul_f64 v[6:7], v[4:5], v[156:157]
	v_mul_f64 v[158:159], v[2:3], v[156:157]
	v_fma_f64 v[156:157], v[2:3], v[154:155], -v[6:7]
	v_fmac_f64_e32 v[158:159], v[4:5], v[154:155]
	scratch_store_dwordx4 off, v[156:159], off offset:464
.LBB47_147:
	s_or_b64 exec, exec, s[4:5]
	scratch_load_dwordx4 v[2:5], v125, off
	v_cmp_lt_u32_e64 s[0:1], 28, v0
	s_waitcnt vmcnt(0)
	ds_write_b128 v9, v[2:5]
	s_waitcnt lgkmcnt(0)
	; wave barrier
	s_waitcnt lgkmcnt(0)
	s_and_saveexec_b64 s[4:5], s[0:1]
	s_cbranch_execz .LBB47_155
; %bb.148:
	ds_read_b128 v[2:5], v9
	s_andn2_b64 vcc, exec, s[6:7]
	s_cbranch_vccnz .LBB47_150
; %bb.149:
	scratch_load_dwordx4 v[154:157], v8, off
	s_waitcnt vmcnt(0) lgkmcnt(0)
	v_mul_f64 v[6:7], v[4:5], v[156:157]
	v_mul_f64 v[156:157], v[2:3], v[156:157]
	v_fmac_f64_e32 v[156:157], v[4:5], v[154:155]
	v_fma_f64 v[2:3], v[2:3], v[154:155], -v[6:7]
	v_mov_b64_e32 v[4:5], v[156:157]
.LBB47_150:
	s_and_saveexec_b64 s[8:9], s[2:3]
	s_cbranch_execz .LBB47_154
; %bb.151:
	v_mov_b32_e32 v7, 0
	v_subrev_u32_e32 v6, 29, v0
	v_add_u32_e32 v7, 0x1d8, v7
	s_movk_i32 s10, 0x4d0
	s_mov_b64 s[2:3], 0
.LBB47_152:                             ; =>This Inner Loop Header: Depth=1
	v_add_u32_e32 v153, -8, v7
	scratch_load_dwordx4 v[154:157], v153, off
	v_mov_b32_e32 v153, s10
	ds_read_b128 v[158:161], v153
	v_add_u32_e32 v6, -1, v6
	s_add_i32 s10, s10, 16
	v_cmp_eq_u32_e32 vcc, 0, v6
	v_add_u32_e32 v7, 16, v7
	s_or_b64 s[2:3], vcc, s[2:3]
	s_waitcnt vmcnt(0) lgkmcnt(0)
	v_mul_f64 v[162:163], v[160:161], v[156:157]
	v_mul_f64 v[156:157], v[158:159], v[156:157]
	v_fma_f64 v[158:159], v[158:159], v[154:155], -v[162:163]
	v_fmac_f64_e32 v[156:157], v[160:161], v[154:155]
	v_add_f64 v[2:3], v[2:3], v[158:159]
	v_add_f64 v[4:5], v[4:5], v[156:157]
	s_andn2_b64 exec, exec, s[2:3]
	s_cbranch_execnz .LBB47_152
; %bb.153:
	s_or_b64 exec, exec, s[2:3]
.LBB47_154:
	s_or_b64 exec, exec, s[8:9]
	v_mov_b32_e32 v6, 0
	ds_read_b128 v[154:157], v6 offset:448
	s_waitcnt lgkmcnt(0)
	v_mul_f64 v[6:7], v[4:5], v[156:157]
	v_mul_f64 v[158:159], v[2:3], v[156:157]
	v_fma_f64 v[156:157], v[2:3], v[154:155], -v[6:7]
	v_fmac_f64_e32 v[158:159], v[4:5], v[154:155]
	scratch_store_dwordx4 off, v[156:159], off offset:448
.LBB47_155:
	s_or_b64 exec, exec, s[4:5]
	scratch_load_dwordx4 v[2:5], v126, off
	v_cmp_lt_u32_e64 s[2:3], 27, v0
	s_waitcnt vmcnt(0)
	ds_write_b128 v9, v[2:5]
	s_waitcnt lgkmcnt(0)
	; wave barrier
	s_waitcnt lgkmcnt(0)
	s_and_saveexec_b64 s[4:5], s[2:3]
	s_cbranch_execz .LBB47_163
; %bb.156:
	ds_read_b128 v[2:5], v9
	s_andn2_b64 vcc, exec, s[6:7]
	s_cbranch_vccnz .LBB47_158
; %bb.157:
	scratch_load_dwordx4 v[154:157], v8, off
	s_waitcnt vmcnt(0) lgkmcnt(0)
	v_mul_f64 v[6:7], v[4:5], v[156:157]
	v_mul_f64 v[156:157], v[2:3], v[156:157]
	v_fmac_f64_e32 v[156:157], v[4:5], v[154:155]
	v_fma_f64 v[2:3], v[2:3], v[154:155], -v[6:7]
	v_mov_b64_e32 v[4:5], v[156:157]
.LBB47_158:
	s_and_saveexec_b64 s[8:9], s[0:1]
	s_cbranch_execz .LBB47_162
; %bb.159:
	v_mov_b32_e32 v7, 0
	v_subrev_u32_e32 v6, 28, v0
	v_add_u32_e32 v7, 0x1c8, v7
	s_movk_i32 s10, 0x4c0
	s_mov_b64 s[0:1], 0
.LBB47_160:                             ; =>This Inner Loop Header: Depth=1
	v_add_u32_e32 v153, -8, v7
	scratch_load_dwordx4 v[154:157], v153, off
	v_mov_b32_e32 v153, s10
	ds_read_b128 v[158:161], v153
	v_add_u32_e32 v6, -1, v6
	s_add_i32 s10, s10, 16
	v_cmp_eq_u32_e32 vcc, 0, v6
	v_add_u32_e32 v7, 16, v7
	s_or_b64 s[0:1], vcc, s[0:1]
	s_waitcnt vmcnt(0) lgkmcnt(0)
	v_mul_f64 v[162:163], v[160:161], v[156:157]
	v_mul_f64 v[156:157], v[158:159], v[156:157]
	v_fma_f64 v[158:159], v[158:159], v[154:155], -v[162:163]
	v_fmac_f64_e32 v[156:157], v[160:161], v[154:155]
	v_add_f64 v[2:3], v[2:3], v[158:159]
	v_add_f64 v[4:5], v[4:5], v[156:157]
	s_andn2_b64 exec, exec, s[0:1]
	s_cbranch_execnz .LBB47_160
; %bb.161:
	s_or_b64 exec, exec, s[0:1]
.LBB47_162:
	s_or_b64 exec, exec, s[8:9]
	v_mov_b32_e32 v6, 0
	ds_read_b128 v[154:157], v6 offset:432
	s_waitcnt lgkmcnt(0)
	v_mul_f64 v[6:7], v[4:5], v[156:157]
	v_mul_f64 v[158:159], v[2:3], v[156:157]
	v_fma_f64 v[156:157], v[2:3], v[154:155], -v[6:7]
	v_fmac_f64_e32 v[158:159], v[4:5], v[154:155]
	scratch_store_dwordx4 off, v[156:159], off offset:432
.LBB47_163:
	s_or_b64 exec, exec, s[4:5]
	scratch_load_dwordx4 v[2:5], v127, off
	v_cmp_lt_u32_e64 s[0:1], 26, v0
	s_waitcnt vmcnt(0)
	ds_write_b128 v9, v[2:5]
	s_waitcnt lgkmcnt(0)
	; wave barrier
	s_waitcnt lgkmcnt(0)
	s_and_saveexec_b64 s[4:5], s[0:1]
	s_cbranch_execz .LBB47_171
; %bb.164:
	ds_read_b128 v[2:5], v9
	s_andn2_b64 vcc, exec, s[6:7]
	s_cbranch_vccnz .LBB47_166
; %bb.165:
	scratch_load_dwordx4 v[154:157], v8, off
	s_waitcnt vmcnt(0) lgkmcnt(0)
	v_mul_f64 v[6:7], v[4:5], v[156:157]
	v_mul_f64 v[156:157], v[2:3], v[156:157]
	v_fmac_f64_e32 v[156:157], v[4:5], v[154:155]
	v_fma_f64 v[2:3], v[2:3], v[154:155], -v[6:7]
	v_mov_b64_e32 v[4:5], v[156:157]
.LBB47_166:
	s_and_saveexec_b64 s[8:9], s[2:3]
	s_cbranch_execz .LBB47_170
; %bb.167:
	v_mov_b32_e32 v7, 0
	v_subrev_u32_e32 v6, 27, v0
	v_add_u32_e32 v7, 0x1b8, v7
	s_movk_i32 s10, 0x4b0
	s_mov_b64 s[2:3], 0
.LBB47_168:                             ; =>This Inner Loop Header: Depth=1
	v_add_u32_e32 v153, -8, v7
	scratch_load_dwordx4 v[154:157], v153, off
	v_mov_b32_e32 v153, s10
	ds_read_b128 v[158:161], v153
	v_add_u32_e32 v6, -1, v6
	s_add_i32 s10, s10, 16
	v_cmp_eq_u32_e32 vcc, 0, v6
	v_add_u32_e32 v7, 16, v7
	s_or_b64 s[2:3], vcc, s[2:3]
	s_waitcnt vmcnt(0) lgkmcnt(0)
	v_mul_f64 v[162:163], v[160:161], v[156:157]
	v_mul_f64 v[156:157], v[158:159], v[156:157]
	v_fma_f64 v[158:159], v[158:159], v[154:155], -v[162:163]
	v_fmac_f64_e32 v[156:157], v[160:161], v[154:155]
	v_add_f64 v[2:3], v[2:3], v[158:159]
	v_add_f64 v[4:5], v[4:5], v[156:157]
	s_andn2_b64 exec, exec, s[2:3]
	s_cbranch_execnz .LBB47_168
; %bb.169:
	s_or_b64 exec, exec, s[2:3]
.LBB47_170:
	s_or_b64 exec, exec, s[8:9]
	v_mov_b32_e32 v6, 0
	ds_read_b128 v[154:157], v6 offset:416
	s_waitcnt lgkmcnt(0)
	v_mul_f64 v[6:7], v[4:5], v[156:157]
	v_mul_f64 v[158:159], v[2:3], v[156:157]
	v_fma_f64 v[156:157], v[2:3], v[154:155], -v[6:7]
	v_fmac_f64_e32 v[158:159], v[4:5], v[154:155]
	scratch_store_dwordx4 off, v[156:159], off offset:416
.LBB47_171:
	s_or_b64 exec, exec, s[4:5]
	scratch_load_dwordx4 v[2:5], v128, off
	v_cmp_lt_u32_e64 s[2:3], 25, v0
	s_waitcnt vmcnt(0)
	ds_write_b128 v9, v[2:5]
	s_waitcnt lgkmcnt(0)
	; wave barrier
	s_waitcnt lgkmcnt(0)
	s_and_saveexec_b64 s[4:5], s[2:3]
	s_cbranch_execz .LBB47_179
; %bb.172:
	ds_read_b128 v[2:5], v9
	s_andn2_b64 vcc, exec, s[6:7]
	s_cbranch_vccnz .LBB47_174
; %bb.173:
	scratch_load_dwordx4 v[154:157], v8, off
	s_waitcnt vmcnt(0) lgkmcnt(0)
	v_mul_f64 v[6:7], v[4:5], v[156:157]
	v_mul_f64 v[156:157], v[2:3], v[156:157]
	v_fmac_f64_e32 v[156:157], v[4:5], v[154:155]
	v_fma_f64 v[2:3], v[2:3], v[154:155], -v[6:7]
	v_mov_b64_e32 v[4:5], v[156:157]
.LBB47_174:
	s_and_saveexec_b64 s[8:9], s[0:1]
	s_cbranch_execz .LBB47_178
; %bb.175:
	v_mov_b32_e32 v7, 0
	v_subrev_u32_e32 v6, 26, v0
	v_add_u32_e32 v7, 0x1a8, v7
	s_movk_i32 s10, 0x4a0
	s_mov_b64 s[0:1], 0
.LBB47_176:                             ; =>This Inner Loop Header: Depth=1
	v_add_u32_e32 v153, -8, v7
	scratch_load_dwordx4 v[154:157], v153, off
	v_mov_b32_e32 v153, s10
	ds_read_b128 v[158:161], v153
	v_add_u32_e32 v6, -1, v6
	s_add_i32 s10, s10, 16
	v_cmp_eq_u32_e32 vcc, 0, v6
	v_add_u32_e32 v7, 16, v7
	s_or_b64 s[0:1], vcc, s[0:1]
	s_waitcnt vmcnt(0) lgkmcnt(0)
	v_mul_f64 v[162:163], v[160:161], v[156:157]
	v_mul_f64 v[156:157], v[158:159], v[156:157]
	v_fma_f64 v[158:159], v[158:159], v[154:155], -v[162:163]
	v_fmac_f64_e32 v[156:157], v[160:161], v[154:155]
	v_add_f64 v[2:3], v[2:3], v[158:159]
	v_add_f64 v[4:5], v[4:5], v[156:157]
	s_andn2_b64 exec, exec, s[0:1]
	s_cbranch_execnz .LBB47_176
; %bb.177:
	s_or_b64 exec, exec, s[0:1]
.LBB47_178:
	s_or_b64 exec, exec, s[8:9]
	v_mov_b32_e32 v6, 0
	ds_read_b128 v[154:157], v6 offset:400
	s_waitcnt lgkmcnt(0)
	v_mul_f64 v[6:7], v[4:5], v[156:157]
	v_mul_f64 v[158:159], v[2:3], v[156:157]
	v_fma_f64 v[156:157], v[2:3], v[154:155], -v[6:7]
	v_fmac_f64_e32 v[158:159], v[4:5], v[154:155]
	scratch_store_dwordx4 off, v[156:159], off offset:400
.LBB47_179:
	s_or_b64 exec, exec, s[4:5]
	scratch_load_dwordx4 v[2:5], v129, off
	v_cmp_lt_u32_e64 s[0:1], 24, v0
	s_waitcnt vmcnt(0)
	ds_write_b128 v9, v[2:5]
	s_waitcnt lgkmcnt(0)
	; wave barrier
	s_waitcnt lgkmcnt(0)
	s_and_saveexec_b64 s[4:5], s[0:1]
	s_cbranch_execz .LBB47_187
; %bb.180:
	ds_read_b128 v[2:5], v9
	s_andn2_b64 vcc, exec, s[6:7]
	s_cbranch_vccnz .LBB47_182
; %bb.181:
	scratch_load_dwordx4 v[154:157], v8, off
	s_waitcnt vmcnt(0) lgkmcnt(0)
	v_mul_f64 v[6:7], v[4:5], v[156:157]
	v_mul_f64 v[156:157], v[2:3], v[156:157]
	v_fmac_f64_e32 v[156:157], v[4:5], v[154:155]
	v_fma_f64 v[2:3], v[2:3], v[154:155], -v[6:7]
	v_mov_b64_e32 v[4:5], v[156:157]
.LBB47_182:
	s_and_saveexec_b64 s[8:9], s[2:3]
	s_cbranch_execz .LBB47_186
; %bb.183:
	v_mov_b32_e32 v7, 0
	v_subrev_u32_e32 v6, 25, v0
	v_add_u32_e32 v7, 0x198, v7
	s_movk_i32 s10, 0x490
	s_mov_b64 s[2:3], 0
.LBB47_184:                             ; =>This Inner Loop Header: Depth=1
	v_add_u32_e32 v153, -8, v7
	scratch_load_dwordx4 v[154:157], v153, off
	v_mov_b32_e32 v153, s10
	ds_read_b128 v[158:161], v153
	v_add_u32_e32 v6, -1, v6
	s_add_i32 s10, s10, 16
	v_cmp_eq_u32_e32 vcc, 0, v6
	v_add_u32_e32 v7, 16, v7
	s_or_b64 s[2:3], vcc, s[2:3]
	s_waitcnt vmcnt(0) lgkmcnt(0)
	v_mul_f64 v[162:163], v[160:161], v[156:157]
	v_mul_f64 v[156:157], v[158:159], v[156:157]
	v_fma_f64 v[158:159], v[158:159], v[154:155], -v[162:163]
	v_fmac_f64_e32 v[156:157], v[160:161], v[154:155]
	v_add_f64 v[2:3], v[2:3], v[158:159]
	v_add_f64 v[4:5], v[4:5], v[156:157]
	s_andn2_b64 exec, exec, s[2:3]
	s_cbranch_execnz .LBB47_184
; %bb.185:
	s_or_b64 exec, exec, s[2:3]
.LBB47_186:
	s_or_b64 exec, exec, s[8:9]
	v_mov_b32_e32 v6, 0
	ds_read_b128 v[154:157], v6 offset:384
	s_waitcnt lgkmcnt(0)
	v_mul_f64 v[6:7], v[4:5], v[156:157]
	v_mul_f64 v[158:159], v[2:3], v[156:157]
	v_fma_f64 v[156:157], v[2:3], v[154:155], -v[6:7]
	v_fmac_f64_e32 v[158:159], v[4:5], v[154:155]
	scratch_store_dwordx4 off, v[156:159], off offset:384
.LBB47_187:
	s_or_b64 exec, exec, s[4:5]
	scratch_load_dwordx4 v[2:5], v130, off
	v_cmp_lt_u32_e64 s[2:3], 23, v0
	s_waitcnt vmcnt(0)
	ds_write_b128 v9, v[2:5]
	s_waitcnt lgkmcnt(0)
	; wave barrier
	s_waitcnt lgkmcnt(0)
	s_and_saveexec_b64 s[4:5], s[2:3]
	s_cbranch_execz .LBB47_195
; %bb.188:
	ds_read_b128 v[2:5], v9
	s_andn2_b64 vcc, exec, s[6:7]
	s_cbranch_vccnz .LBB47_190
; %bb.189:
	scratch_load_dwordx4 v[154:157], v8, off
	s_waitcnt vmcnt(0) lgkmcnt(0)
	v_mul_f64 v[6:7], v[4:5], v[156:157]
	v_mul_f64 v[156:157], v[2:3], v[156:157]
	v_fmac_f64_e32 v[156:157], v[4:5], v[154:155]
	v_fma_f64 v[2:3], v[2:3], v[154:155], -v[6:7]
	v_mov_b64_e32 v[4:5], v[156:157]
.LBB47_190:
	s_and_saveexec_b64 s[8:9], s[0:1]
	s_cbranch_execz .LBB47_194
; %bb.191:
	v_mov_b32_e32 v7, 0
	v_subrev_u32_e32 v6, 24, v0
	v_add_u32_e32 v7, 0x188, v7
	s_movk_i32 s10, 0x480
	s_mov_b64 s[0:1], 0
.LBB47_192:                             ; =>This Inner Loop Header: Depth=1
	v_add_u32_e32 v153, -8, v7
	scratch_load_dwordx4 v[154:157], v153, off
	v_mov_b32_e32 v153, s10
	ds_read_b128 v[158:161], v153
	v_add_u32_e32 v6, -1, v6
	s_add_i32 s10, s10, 16
	v_cmp_eq_u32_e32 vcc, 0, v6
	v_add_u32_e32 v7, 16, v7
	s_or_b64 s[0:1], vcc, s[0:1]
	s_waitcnt vmcnt(0) lgkmcnt(0)
	v_mul_f64 v[162:163], v[160:161], v[156:157]
	v_mul_f64 v[156:157], v[158:159], v[156:157]
	v_fma_f64 v[158:159], v[158:159], v[154:155], -v[162:163]
	v_fmac_f64_e32 v[156:157], v[160:161], v[154:155]
	v_add_f64 v[2:3], v[2:3], v[158:159]
	v_add_f64 v[4:5], v[4:5], v[156:157]
	s_andn2_b64 exec, exec, s[0:1]
	s_cbranch_execnz .LBB47_192
; %bb.193:
	s_or_b64 exec, exec, s[0:1]
.LBB47_194:
	s_or_b64 exec, exec, s[8:9]
	v_mov_b32_e32 v6, 0
	ds_read_b128 v[154:157], v6 offset:368
	s_waitcnt lgkmcnt(0)
	v_mul_f64 v[6:7], v[4:5], v[156:157]
	v_mul_f64 v[158:159], v[2:3], v[156:157]
	v_fma_f64 v[156:157], v[2:3], v[154:155], -v[6:7]
	v_fmac_f64_e32 v[158:159], v[4:5], v[154:155]
	scratch_store_dwordx4 off, v[156:159], off offset:368
.LBB47_195:
	s_or_b64 exec, exec, s[4:5]
	scratch_load_dwordx4 v[2:5], v131, off
	v_cmp_lt_u32_e64 s[0:1], 22, v0
	s_waitcnt vmcnt(0)
	ds_write_b128 v9, v[2:5]
	s_waitcnt lgkmcnt(0)
	; wave barrier
	s_waitcnt lgkmcnt(0)
	s_and_saveexec_b64 s[4:5], s[0:1]
	s_cbranch_execz .LBB47_203
; %bb.196:
	ds_read_b128 v[2:5], v9
	s_andn2_b64 vcc, exec, s[6:7]
	s_cbranch_vccnz .LBB47_198
; %bb.197:
	scratch_load_dwordx4 v[154:157], v8, off
	s_waitcnt vmcnt(0) lgkmcnt(0)
	v_mul_f64 v[6:7], v[4:5], v[156:157]
	v_mul_f64 v[156:157], v[2:3], v[156:157]
	v_fmac_f64_e32 v[156:157], v[4:5], v[154:155]
	v_fma_f64 v[2:3], v[2:3], v[154:155], -v[6:7]
	v_mov_b64_e32 v[4:5], v[156:157]
.LBB47_198:
	s_and_saveexec_b64 s[8:9], s[2:3]
	s_cbranch_execz .LBB47_202
; %bb.199:
	v_mov_b32_e32 v7, 0
	v_subrev_u32_e32 v6, 23, v0
	v_add_u32_e32 v7, 0x178, v7
	s_movk_i32 s10, 0x470
	s_mov_b64 s[2:3], 0
.LBB47_200:                             ; =>This Inner Loop Header: Depth=1
	v_add_u32_e32 v153, -8, v7
	scratch_load_dwordx4 v[154:157], v153, off
	v_mov_b32_e32 v153, s10
	ds_read_b128 v[158:161], v153
	v_add_u32_e32 v6, -1, v6
	s_add_i32 s10, s10, 16
	v_cmp_eq_u32_e32 vcc, 0, v6
	v_add_u32_e32 v7, 16, v7
	s_or_b64 s[2:3], vcc, s[2:3]
	s_waitcnt vmcnt(0) lgkmcnt(0)
	v_mul_f64 v[162:163], v[160:161], v[156:157]
	v_mul_f64 v[156:157], v[158:159], v[156:157]
	v_fma_f64 v[158:159], v[158:159], v[154:155], -v[162:163]
	v_fmac_f64_e32 v[156:157], v[160:161], v[154:155]
	v_add_f64 v[2:3], v[2:3], v[158:159]
	v_add_f64 v[4:5], v[4:5], v[156:157]
	s_andn2_b64 exec, exec, s[2:3]
	s_cbranch_execnz .LBB47_200
; %bb.201:
	s_or_b64 exec, exec, s[2:3]
.LBB47_202:
	s_or_b64 exec, exec, s[8:9]
	v_mov_b32_e32 v6, 0
	ds_read_b128 v[154:157], v6 offset:352
	s_waitcnt lgkmcnt(0)
	v_mul_f64 v[6:7], v[4:5], v[156:157]
	v_mul_f64 v[158:159], v[2:3], v[156:157]
	v_fma_f64 v[156:157], v[2:3], v[154:155], -v[6:7]
	v_fmac_f64_e32 v[158:159], v[4:5], v[154:155]
	scratch_store_dwordx4 off, v[156:159], off offset:352
.LBB47_203:
	s_or_b64 exec, exec, s[4:5]
	scratch_load_dwordx4 v[2:5], v132, off
	v_cmp_lt_u32_e64 s[2:3], 21, v0
	s_waitcnt vmcnt(0)
	ds_write_b128 v9, v[2:5]
	s_waitcnt lgkmcnt(0)
	; wave barrier
	s_waitcnt lgkmcnt(0)
	s_and_saveexec_b64 s[4:5], s[2:3]
	s_cbranch_execz .LBB47_211
; %bb.204:
	ds_read_b128 v[2:5], v9
	s_andn2_b64 vcc, exec, s[6:7]
	s_cbranch_vccnz .LBB47_206
; %bb.205:
	scratch_load_dwordx4 v[154:157], v8, off
	s_waitcnt vmcnt(0) lgkmcnt(0)
	v_mul_f64 v[6:7], v[4:5], v[156:157]
	v_mul_f64 v[156:157], v[2:3], v[156:157]
	v_fmac_f64_e32 v[156:157], v[4:5], v[154:155]
	v_fma_f64 v[2:3], v[2:3], v[154:155], -v[6:7]
	v_mov_b64_e32 v[4:5], v[156:157]
.LBB47_206:
	s_and_saveexec_b64 s[8:9], s[0:1]
	s_cbranch_execz .LBB47_210
; %bb.207:
	v_mov_b32_e32 v7, 0
	v_subrev_u32_e32 v6, 22, v0
	v_add_u32_e32 v7, 0x168, v7
	s_movk_i32 s10, 0x460
	s_mov_b64 s[0:1], 0
.LBB47_208:                             ; =>This Inner Loop Header: Depth=1
	v_add_u32_e32 v153, -8, v7
	scratch_load_dwordx4 v[154:157], v153, off
	v_mov_b32_e32 v153, s10
	ds_read_b128 v[158:161], v153
	v_add_u32_e32 v6, -1, v6
	s_add_i32 s10, s10, 16
	v_cmp_eq_u32_e32 vcc, 0, v6
	v_add_u32_e32 v7, 16, v7
	s_or_b64 s[0:1], vcc, s[0:1]
	s_waitcnt vmcnt(0) lgkmcnt(0)
	v_mul_f64 v[162:163], v[160:161], v[156:157]
	v_mul_f64 v[156:157], v[158:159], v[156:157]
	v_fma_f64 v[158:159], v[158:159], v[154:155], -v[162:163]
	v_fmac_f64_e32 v[156:157], v[160:161], v[154:155]
	v_add_f64 v[2:3], v[2:3], v[158:159]
	v_add_f64 v[4:5], v[4:5], v[156:157]
	s_andn2_b64 exec, exec, s[0:1]
	s_cbranch_execnz .LBB47_208
; %bb.209:
	s_or_b64 exec, exec, s[0:1]
.LBB47_210:
	s_or_b64 exec, exec, s[8:9]
	v_mov_b32_e32 v6, 0
	ds_read_b128 v[154:157], v6 offset:336
	s_waitcnt lgkmcnt(0)
	v_mul_f64 v[6:7], v[4:5], v[156:157]
	v_mul_f64 v[158:159], v[2:3], v[156:157]
	v_fma_f64 v[156:157], v[2:3], v[154:155], -v[6:7]
	v_fmac_f64_e32 v[158:159], v[4:5], v[154:155]
	scratch_store_dwordx4 off, v[156:159], off offset:336
.LBB47_211:
	s_or_b64 exec, exec, s[4:5]
	scratch_load_dwordx4 v[2:5], v133, off
	v_cmp_lt_u32_e64 s[0:1], 20, v0
	s_waitcnt vmcnt(0)
	ds_write_b128 v9, v[2:5]
	s_waitcnt lgkmcnt(0)
	; wave barrier
	s_waitcnt lgkmcnt(0)
	s_and_saveexec_b64 s[4:5], s[0:1]
	s_cbranch_execz .LBB47_219
; %bb.212:
	ds_read_b128 v[2:5], v9
	s_andn2_b64 vcc, exec, s[6:7]
	s_cbranch_vccnz .LBB47_214
; %bb.213:
	scratch_load_dwordx4 v[154:157], v8, off
	s_waitcnt vmcnt(0) lgkmcnt(0)
	v_mul_f64 v[6:7], v[4:5], v[156:157]
	v_mul_f64 v[156:157], v[2:3], v[156:157]
	v_fmac_f64_e32 v[156:157], v[4:5], v[154:155]
	v_fma_f64 v[2:3], v[2:3], v[154:155], -v[6:7]
	v_mov_b64_e32 v[4:5], v[156:157]
.LBB47_214:
	s_and_saveexec_b64 s[8:9], s[2:3]
	s_cbranch_execz .LBB47_218
; %bb.215:
	v_mov_b32_e32 v7, 0
	v_subrev_u32_e32 v6, 21, v0
	v_add_u32_e32 v7, 0x158, v7
	s_movk_i32 s10, 0x450
	s_mov_b64 s[2:3], 0
.LBB47_216:                             ; =>This Inner Loop Header: Depth=1
	v_add_u32_e32 v153, -8, v7
	scratch_load_dwordx4 v[154:157], v153, off
	v_mov_b32_e32 v153, s10
	ds_read_b128 v[158:161], v153
	v_add_u32_e32 v6, -1, v6
	s_add_i32 s10, s10, 16
	v_cmp_eq_u32_e32 vcc, 0, v6
	v_add_u32_e32 v7, 16, v7
	s_or_b64 s[2:3], vcc, s[2:3]
	s_waitcnt vmcnt(0) lgkmcnt(0)
	v_mul_f64 v[162:163], v[160:161], v[156:157]
	v_mul_f64 v[156:157], v[158:159], v[156:157]
	v_fma_f64 v[158:159], v[158:159], v[154:155], -v[162:163]
	v_fmac_f64_e32 v[156:157], v[160:161], v[154:155]
	v_add_f64 v[2:3], v[2:3], v[158:159]
	v_add_f64 v[4:5], v[4:5], v[156:157]
	s_andn2_b64 exec, exec, s[2:3]
	s_cbranch_execnz .LBB47_216
; %bb.217:
	s_or_b64 exec, exec, s[2:3]
.LBB47_218:
	s_or_b64 exec, exec, s[8:9]
	v_mov_b32_e32 v6, 0
	ds_read_b128 v[154:157], v6 offset:320
	s_waitcnt lgkmcnt(0)
	v_mul_f64 v[6:7], v[4:5], v[156:157]
	v_mul_f64 v[158:159], v[2:3], v[156:157]
	v_fma_f64 v[156:157], v[2:3], v[154:155], -v[6:7]
	v_fmac_f64_e32 v[158:159], v[4:5], v[154:155]
	scratch_store_dwordx4 off, v[156:159], off offset:320
.LBB47_219:
	s_or_b64 exec, exec, s[4:5]
	scratch_load_dwordx4 v[2:5], v134, off
	v_cmp_lt_u32_e64 s[2:3], 19, v0
	s_waitcnt vmcnt(0)
	ds_write_b128 v9, v[2:5]
	s_waitcnt lgkmcnt(0)
	; wave barrier
	s_waitcnt lgkmcnt(0)
	s_and_saveexec_b64 s[4:5], s[2:3]
	s_cbranch_execz .LBB47_227
; %bb.220:
	ds_read_b128 v[2:5], v9
	s_andn2_b64 vcc, exec, s[6:7]
	s_cbranch_vccnz .LBB47_222
; %bb.221:
	scratch_load_dwordx4 v[154:157], v8, off
	s_waitcnt vmcnt(0) lgkmcnt(0)
	v_mul_f64 v[6:7], v[4:5], v[156:157]
	v_mul_f64 v[156:157], v[2:3], v[156:157]
	v_fmac_f64_e32 v[156:157], v[4:5], v[154:155]
	v_fma_f64 v[2:3], v[2:3], v[154:155], -v[6:7]
	v_mov_b64_e32 v[4:5], v[156:157]
.LBB47_222:
	s_and_saveexec_b64 s[8:9], s[0:1]
	s_cbranch_execz .LBB47_226
; %bb.223:
	v_mov_b32_e32 v7, 0
	v_subrev_u32_e32 v6, 20, v0
	v_add_u32_e32 v7, 0x148, v7
	s_movk_i32 s10, 0x440
	s_mov_b64 s[0:1], 0
.LBB47_224:                             ; =>This Inner Loop Header: Depth=1
	v_add_u32_e32 v153, -8, v7
	scratch_load_dwordx4 v[154:157], v153, off
	v_mov_b32_e32 v153, s10
	ds_read_b128 v[158:161], v153
	v_add_u32_e32 v6, -1, v6
	s_add_i32 s10, s10, 16
	v_cmp_eq_u32_e32 vcc, 0, v6
	v_add_u32_e32 v7, 16, v7
	s_or_b64 s[0:1], vcc, s[0:1]
	s_waitcnt vmcnt(0) lgkmcnt(0)
	v_mul_f64 v[162:163], v[160:161], v[156:157]
	v_mul_f64 v[156:157], v[158:159], v[156:157]
	v_fma_f64 v[158:159], v[158:159], v[154:155], -v[162:163]
	v_fmac_f64_e32 v[156:157], v[160:161], v[154:155]
	v_add_f64 v[2:3], v[2:3], v[158:159]
	v_add_f64 v[4:5], v[4:5], v[156:157]
	s_andn2_b64 exec, exec, s[0:1]
	s_cbranch_execnz .LBB47_224
; %bb.225:
	s_or_b64 exec, exec, s[0:1]
.LBB47_226:
	s_or_b64 exec, exec, s[8:9]
	v_mov_b32_e32 v6, 0
	ds_read_b128 v[154:157], v6 offset:304
	s_waitcnt lgkmcnt(0)
	v_mul_f64 v[6:7], v[4:5], v[156:157]
	v_mul_f64 v[158:159], v[2:3], v[156:157]
	v_fma_f64 v[156:157], v[2:3], v[154:155], -v[6:7]
	v_fmac_f64_e32 v[158:159], v[4:5], v[154:155]
	scratch_store_dwordx4 off, v[156:159], off offset:304
.LBB47_227:
	s_or_b64 exec, exec, s[4:5]
	scratch_load_dwordx4 v[2:5], v135, off
	v_cmp_lt_u32_e64 s[0:1], 18, v0
	s_waitcnt vmcnt(0)
	ds_write_b128 v9, v[2:5]
	s_waitcnt lgkmcnt(0)
	; wave barrier
	s_waitcnt lgkmcnt(0)
	s_and_saveexec_b64 s[4:5], s[0:1]
	s_cbranch_execz .LBB47_235
; %bb.228:
	ds_read_b128 v[2:5], v9
	s_andn2_b64 vcc, exec, s[6:7]
	s_cbranch_vccnz .LBB47_230
; %bb.229:
	scratch_load_dwordx4 v[154:157], v8, off
	s_waitcnt vmcnt(0) lgkmcnt(0)
	v_mul_f64 v[6:7], v[4:5], v[156:157]
	v_mul_f64 v[156:157], v[2:3], v[156:157]
	v_fmac_f64_e32 v[156:157], v[4:5], v[154:155]
	v_fma_f64 v[2:3], v[2:3], v[154:155], -v[6:7]
	v_mov_b64_e32 v[4:5], v[156:157]
.LBB47_230:
	s_and_saveexec_b64 s[8:9], s[2:3]
	s_cbranch_execz .LBB47_234
; %bb.231:
	v_mov_b32_e32 v7, 0
	v_subrev_u32_e32 v6, 19, v0
	v_add_u32_e32 v7, 0x138, v7
	s_movk_i32 s10, 0x430
	s_mov_b64 s[2:3], 0
.LBB47_232:                             ; =>This Inner Loop Header: Depth=1
	v_add_u32_e32 v153, -8, v7
	scratch_load_dwordx4 v[154:157], v153, off
	v_mov_b32_e32 v153, s10
	ds_read_b128 v[158:161], v153
	v_add_u32_e32 v6, -1, v6
	s_add_i32 s10, s10, 16
	v_cmp_eq_u32_e32 vcc, 0, v6
	v_add_u32_e32 v7, 16, v7
	s_or_b64 s[2:3], vcc, s[2:3]
	s_waitcnt vmcnt(0) lgkmcnt(0)
	v_mul_f64 v[162:163], v[160:161], v[156:157]
	v_mul_f64 v[156:157], v[158:159], v[156:157]
	v_fma_f64 v[158:159], v[158:159], v[154:155], -v[162:163]
	v_fmac_f64_e32 v[156:157], v[160:161], v[154:155]
	v_add_f64 v[2:3], v[2:3], v[158:159]
	v_add_f64 v[4:5], v[4:5], v[156:157]
	s_andn2_b64 exec, exec, s[2:3]
	s_cbranch_execnz .LBB47_232
; %bb.233:
	s_or_b64 exec, exec, s[2:3]
.LBB47_234:
	s_or_b64 exec, exec, s[8:9]
	v_mov_b32_e32 v6, 0
	ds_read_b128 v[154:157], v6 offset:288
	s_waitcnt lgkmcnt(0)
	v_mul_f64 v[6:7], v[4:5], v[156:157]
	v_mul_f64 v[158:159], v[2:3], v[156:157]
	v_fma_f64 v[156:157], v[2:3], v[154:155], -v[6:7]
	v_fmac_f64_e32 v[158:159], v[4:5], v[154:155]
	scratch_store_dwordx4 off, v[156:159], off offset:288
.LBB47_235:
	s_or_b64 exec, exec, s[4:5]
	scratch_load_dwordx4 v[2:5], v136, off
	v_cmp_lt_u32_e64 s[2:3], 17, v0
	s_waitcnt vmcnt(0)
	ds_write_b128 v9, v[2:5]
	s_waitcnt lgkmcnt(0)
	; wave barrier
	s_waitcnt lgkmcnt(0)
	s_and_saveexec_b64 s[4:5], s[2:3]
	s_cbranch_execz .LBB47_243
; %bb.236:
	ds_read_b128 v[2:5], v9
	s_andn2_b64 vcc, exec, s[6:7]
	s_cbranch_vccnz .LBB47_238
; %bb.237:
	scratch_load_dwordx4 v[154:157], v8, off
	s_waitcnt vmcnt(0) lgkmcnt(0)
	v_mul_f64 v[6:7], v[4:5], v[156:157]
	v_mul_f64 v[156:157], v[2:3], v[156:157]
	v_fmac_f64_e32 v[156:157], v[4:5], v[154:155]
	v_fma_f64 v[2:3], v[2:3], v[154:155], -v[6:7]
	v_mov_b64_e32 v[4:5], v[156:157]
.LBB47_238:
	s_and_saveexec_b64 s[8:9], s[0:1]
	s_cbranch_execz .LBB47_242
; %bb.239:
	v_mov_b32_e32 v7, 0
	v_subrev_u32_e32 v6, 18, v0
	v_add_u32_e32 v7, 0x128, v7
	s_movk_i32 s10, 0x420
	s_mov_b64 s[0:1], 0
.LBB47_240:                             ; =>This Inner Loop Header: Depth=1
	v_add_u32_e32 v153, -8, v7
	scratch_load_dwordx4 v[154:157], v153, off
	v_mov_b32_e32 v153, s10
	ds_read_b128 v[158:161], v153
	v_add_u32_e32 v6, -1, v6
	s_add_i32 s10, s10, 16
	v_cmp_eq_u32_e32 vcc, 0, v6
	v_add_u32_e32 v7, 16, v7
	s_or_b64 s[0:1], vcc, s[0:1]
	s_waitcnt vmcnt(0) lgkmcnt(0)
	v_mul_f64 v[162:163], v[160:161], v[156:157]
	v_mul_f64 v[156:157], v[158:159], v[156:157]
	v_fma_f64 v[158:159], v[158:159], v[154:155], -v[162:163]
	v_fmac_f64_e32 v[156:157], v[160:161], v[154:155]
	v_add_f64 v[2:3], v[2:3], v[158:159]
	v_add_f64 v[4:5], v[4:5], v[156:157]
	s_andn2_b64 exec, exec, s[0:1]
	s_cbranch_execnz .LBB47_240
; %bb.241:
	s_or_b64 exec, exec, s[0:1]
.LBB47_242:
	s_or_b64 exec, exec, s[8:9]
	v_mov_b32_e32 v6, 0
	ds_read_b128 v[154:157], v6 offset:272
	s_waitcnt lgkmcnt(0)
	v_mul_f64 v[6:7], v[4:5], v[156:157]
	v_mul_f64 v[158:159], v[2:3], v[156:157]
	v_fma_f64 v[156:157], v[2:3], v[154:155], -v[6:7]
	v_fmac_f64_e32 v[158:159], v[4:5], v[154:155]
	scratch_store_dwordx4 off, v[156:159], off offset:272
.LBB47_243:
	s_or_b64 exec, exec, s[4:5]
	scratch_load_dwordx4 v[2:5], v137, off
	v_cmp_lt_u32_e64 s[0:1], 16, v0
	s_waitcnt vmcnt(0)
	ds_write_b128 v9, v[2:5]
	s_waitcnt lgkmcnt(0)
	; wave barrier
	s_waitcnt lgkmcnt(0)
	s_and_saveexec_b64 s[4:5], s[0:1]
	s_cbranch_execz .LBB47_251
; %bb.244:
	ds_read_b128 v[2:5], v9
	s_andn2_b64 vcc, exec, s[6:7]
	s_cbranch_vccnz .LBB47_246
; %bb.245:
	scratch_load_dwordx4 v[154:157], v8, off
	s_waitcnt vmcnt(0) lgkmcnt(0)
	v_mul_f64 v[6:7], v[4:5], v[156:157]
	v_mul_f64 v[156:157], v[2:3], v[156:157]
	v_fmac_f64_e32 v[156:157], v[4:5], v[154:155]
	v_fma_f64 v[2:3], v[2:3], v[154:155], -v[6:7]
	v_mov_b64_e32 v[4:5], v[156:157]
.LBB47_246:
	s_and_saveexec_b64 s[8:9], s[2:3]
	s_cbranch_execz .LBB47_250
; %bb.247:
	v_mov_b32_e32 v7, 0
	v_subrev_u32_e32 v6, 17, v0
	v_add_u32_e32 v7, 0x118, v7
	s_movk_i32 s10, 0x410
	s_mov_b64 s[2:3], 0
.LBB47_248:                             ; =>This Inner Loop Header: Depth=1
	v_add_u32_e32 v153, -8, v7
	scratch_load_dwordx4 v[154:157], v153, off
	v_mov_b32_e32 v153, s10
	ds_read_b128 v[158:161], v153
	v_add_u32_e32 v6, -1, v6
	s_add_i32 s10, s10, 16
	v_cmp_eq_u32_e32 vcc, 0, v6
	v_add_u32_e32 v7, 16, v7
	s_or_b64 s[2:3], vcc, s[2:3]
	s_waitcnt vmcnt(0) lgkmcnt(0)
	v_mul_f64 v[162:163], v[160:161], v[156:157]
	v_mul_f64 v[156:157], v[158:159], v[156:157]
	v_fma_f64 v[158:159], v[158:159], v[154:155], -v[162:163]
	v_fmac_f64_e32 v[156:157], v[160:161], v[154:155]
	v_add_f64 v[2:3], v[2:3], v[158:159]
	v_add_f64 v[4:5], v[4:5], v[156:157]
	s_andn2_b64 exec, exec, s[2:3]
	s_cbranch_execnz .LBB47_248
; %bb.249:
	s_or_b64 exec, exec, s[2:3]
.LBB47_250:
	s_or_b64 exec, exec, s[8:9]
	v_mov_b32_e32 v6, 0
	ds_read_b128 v[154:157], v6 offset:256
	s_waitcnt lgkmcnt(0)
	v_mul_f64 v[6:7], v[4:5], v[156:157]
	v_mul_f64 v[158:159], v[2:3], v[156:157]
	v_fma_f64 v[156:157], v[2:3], v[154:155], -v[6:7]
	v_fmac_f64_e32 v[158:159], v[4:5], v[154:155]
	scratch_store_dwordx4 off, v[156:159], off offset:256
.LBB47_251:
	s_or_b64 exec, exec, s[4:5]
	scratch_load_dwordx4 v[2:5], v138, off
	v_cmp_lt_u32_e64 s[2:3], 15, v0
	s_waitcnt vmcnt(0)
	ds_write_b128 v9, v[2:5]
	s_waitcnt lgkmcnt(0)
	; wave barrier
	s_waitcnt lgkmcnt(0)
	s_and_saveexec_b64 s[4:5], s[2:3]
	s_cbranch_execz .LBB47_259
; %bb.252:
	ds_read_b128 v[2:5], v9
	s_andn2_b64 vcc, exec, s[6:7]
	s_cbranch_vccnz .LBB47_254
; %bb.253:
	scratch_load_dwordx4 v[154:157], v8, off
	s_waitcnt vmcnt(0) lgkmcnt(0)
	v_mul_f64 v[6:7], v[4:5], v[156:157]
	v_mul_f64 v[156:157], v[2:3], v[156:157]
	v_fmac_f64_e32 v[156:157], v[4:5], v[154:155]
	v_fma_f64 v[2:3], v[2:3], v[154:155], -v[6:7]
	v_mov_b64_e32 v[4:5], v[156:157]
.LBB47_254:
	s_and_saveexec_b64 s[8:9], s[0:1]
	s_cbranch_execz .LBB47_258
; %bb.255:
	v_mov_b32_e32 v7, 0
	v_add_u32_e32 v6, -16, v0
	v_add_u32_e32 v7, 0x108, v7
	s_movk_i32 s10, 0x400
	s_mov_b64 s[0:1], 0
.LBB47_256:                             ; =>This Inner Loop Header: Depth=1
	v_add_u32_e32 v153, -8, v7
	scratch_load_dwordx4 v[154:157], v153, off
	v_mov_b32_e32 v153, s10
	ds_read_b128 v[158:161], v153
	v_add_u32_e32 v6, -1, v6
	s_add_i32 s10, s10, 16
	v_cmp_eq_u32_e32 vcc, 0, v6
	v_add_u32_e32 v7, 16, v7
	s_or_b64 s[0:1], vcc, s[0:1]
	s_waitcnt vmcnt(0) lgkmcnt(0)
	v_mul_f64 v[162:163], v[160:161], v[156:157]
	v_mul_f64 v[156:157], v[158:159], v[156:157]
	v_fma_f64 v[158:159], v[158:159], v[154:155], -v[162:163]
	v_fmac_f64_e32 v[156:157], v[160:161], v[154:155]
	v_add_f64 v[2:3], v[2:3], v[158:159]
	v_add_f64 v[4:5], v[4:5], v[156:157]
	s_andn2_b64 exec, exec, s[0:1]
	s_cbranch_execnz .LBB47_256
; %bb.257:
	s_or_b64 exec, exec, s[0:1]
.LBB47_258:
	s_or_b64 exec, exec, s[8:9]
	v_mov_b32_e32 v6, 0
	ds_read_b128 v[154:157], v6 offset:240
	s_waitcnt lgkmcnt(0)
	v_mul_f64 v[6:7], v[4:5], v[156:157]
	v_mul_f64 v[158:159], v[2:3], v[156:157]
	v_fma_f64 v[156:157], v[2:3], v[154:155], -v[6:7]
	v_fmac_f64_e32 v[158:159], v[4:5], v[154:155]
	scratch_store_dwordx4 off, v[156:159], off offset:240
.LBB47_259:
	s_or_b64 exec, exec, s[4:5]
	scratch_load_dwordx4 v[2:5], v139, off
	v_cmp_lt_u32_e64 s[0:1], 14, v0
	s_waitcnt vmcnt(0)
	ds_write_b128 v9, v[2:5]
	s_waitcnt lgkmcnt(0)
	; wave barrier
	s_waitcnt lgkmcnt(0)
	s_and_saveexec_b64 s[4:5], s[0:1]
	s_cbranch_execz .LBB47_267
; %bb.260:
	ds_read_b128 v[2:5], v9
	s_andn2_b64 vcc, exec, s[6:7]
	s_cbranch_vccnz .LBB47_262
; %bb.261:
	scratch_load_dwordx4 v[154:157], v8, off
	s_waitcnt vmcnt(0) lgkmcnt(0)
	v_mul_f64 v[6:7], v[4:5], v[156:157]
	v_mul_f64 v[156:157], v[2:3], v[156:157]
	v_fmac_f64_e32 v[156:157], v[4:5], v[154:155]
	v_fma_f64 v[2:3], v[2:3], v[154:155], -v[6:7]
	v_mov_b64_e32 v[4:5], v[156:157]
.LBB47_262:
	s_and_saveexec_b64 s[8:9], s[2:3]
	s_cbranch_execz .LBB47_266
; %bb.263:
	v_mov_b32_e32 v7, 0
	v_add_u32_e32 v6, -15, v0
	v_add_u32_e32 v7, 0xf8, v7
	s_movk_i32 s10, 0x3f0
	s_mov_b64 s[2:3], 0
.LBB47_264:                             ; =>This Inner Loop Header: Depth=1
	v_add_u32_e32 v153, -8, v7
	scratch_load_dwordx4 v[154:157], v153, off
	v_mov_b32_e32 v153, s10
	ds_read_b128 v[158:161], v153
	v_add_u32_e32 v6, -1, v6
	s_add_i32 s10, s10, 16
	v_cmp_eq_u32_e32 vcc, 0, v6
	v_add_u32_e32 v7, 16, v7
	s_or_b64 s[2:3], vcc, s[2:3]
	s_waitcnt vmcnt(0) lgkmcnt(0)
	v_mul_f64 v[162:163], v[160:161], v[156:157]
	v_mul_f64 v[156:157], v[158:159], v[156:157]
	v_fma_f64 v[158:159], v[158:159], v[154:155], -v[162:163]
	v_fmac_f64_e32 v[156:157], v[160:161], v[154:155]
	v_add_f64 v[2:3], v[2:3], v[158:159]
	v_add_f64 v[4:5], v[4:5], v[156:157]
	s_andn2_b64 exec, exec, s[2:3]
	s_cbranch_execnz .LBB47_264
; %bb.265:
	s_or_b64 exec, exec, s[2:3]
.LBB47_266:
	s_or_b64 exec, exec, s[8:9]
	v_mov_b32_e32 v6, 0
	ds_read_b128 v[154:157], v6 offset:224
	s_waitcnt lgkmcnt(0)
	v_mul_f64 v[6:7], v[4:5], v[156:157]
	v_mul_f64 v[158:159], v[2:3], v[156:157]
	v_fma_f64 v[156:157], v[2:3], v[154:155], -v[6:7]
	v_fmac_f64_e32 v[158:159], v[4:5], v[154:155]
	scratch_store_dwordx4 off, v[156:159], off offset:224
.LBB47_267:
	;; [unrolled: 63-line block ×15, first 2 shown]
	s_or_b64 exec, exec, s[2:3]
	scratch_load_dwordx4 v[2:5], off, off
	v_cmp_ne_u32_e32 vcc, 0, v0
	s_mov_b64 s[2:3], 0
	s_mov_b64 s[4:5], 0
                                        ; implicit-def: $vgpr6_vgpr7
                                        ; implicit-def: $vgpr153
	s_waitcnt vmcnt(0)
	ds_write_b128 v9, v[2:5]
	s_waitcnt lgkmcnt(0)
	; wave barrier
	s_waitcnt lgkmcnt(0)
	s_and_saveexec_b64 s[8:9], vcc
	s_cbranch_execz .LBB47_379
; %bb.372:
	ds_read_b128 v[2:5], v9
	s_andn2_b64 vcc, exec, s[6:7]
	s_cbranch_vccnz .LBB47_374
; %bb.373:
	scratch_load_dwordx4 v[154:157], v8, off
	s_waitcnt vmcnt(0) lgkmcnt(0)
	v_mul_f64 v[6:7], v[4:5], v[156:157]
	v_mul_f64 v[156:157], v[2:3], v[156:157]
	v_fmac_f64_e32 v[156:157], v[4:5], v[154:155]
	v_fma_f64 v[2:3], v[2:3], v[154:155], -v[6:7]
	v_mov_b64_e32 v[4:5], v[156:157]
.LBB47_374:
	s_and_saveexec_b64 s[4:5], s[0:1]
	s_cbranch_execz .LBB47_378
; %bb.375:
	v_mov_b32_e32 v7, 0
	v_add_u32_e32 v6, -1, v0
	v_add_u32_e32 v7, 24, v7
	s_movk_i32 s10, 0x310
	s_mov_b64 s[0:1], 0
.LBB47_376:                             ; =>This Inner Loop Header: Depth=1
	v_add_u32_e32 v153, -8, v7
	scratch_load_dwordx4 v[154:157], v153, off
	v_mov_b32_e32 v153, s10
	ds_read_b128 v[158:161], v153
	v_add_u32_e32 v6, -1, v6
	s_add_i32 s10, s10, 16
	v_cmp_eq_u32_e32 vcc, 0, v6
	v_add_u32_e32 v7, 16, v7
	s_or_b64 s[0:1], vcc, s[0:1]
	s_waitcnt vmcnt(0) lgkmcnt(0)
	v_mul_f64 v[162:163], v[160:161], v[156:157]
	v_mul_f64 v[156:157], v[158:159], v[156:157]
	v_fma_f64 v[158:159], v[158:159], v[154:155], -v[162:163]
	v_fmac_f64_e32 v[156:157], v[160:161], v[154:155]
	v_add_f64 v[2:3], v[2:3], v[158:159]
	v_add_f64 v[4:5], v[4:5], v[156:157]
	s_andn2_b64 exec, exec, s[0:1]
	s_cbranch_execnz .LBB47_376
; %bb.377:
	s_or_b64 exec, exec, s[0:1]
.LBB47_378:
	s_or_b64 exec, exec, s[4:5]
	v_mov_b32_e32 v6, 0
	ds_read_b128 v[154:157], v6
	v_mov_b32_e32 v6, 0
	v_or_b32_e32 v153, 8, v6
	s_mov_b64 s[4:5], exec
	s_waitcnt lgkmcnt(0)
	v_mul_f64 v[158:159], v[4:5], v[156:157]
	v_mul_f64 v[6:7], v[2:3], v[156:157]
	v_fma_f64 v[2:3], v[2:3], v[154:155], -v[158:159]
	v_fmac_f64_e32 v[6:7], v[4:5], v[154:155]
	scratch_store_dwordx2 off, v[2:3], off
.LBB47_379:
	s_or_b64 exec, exec, s[8:9]
	s_and_b64 vcc, exec, s[2:3]
	s_cbranch_vccnz .LBB47_381
	s_branch .LBB47_752
.LBB47_380:
	s_mov_b64 s[4:5], 0
                                        ; implicit-def: $vgpr6_vgpr7
                                        ; implicit-def: $vgpr153
	s_cbranch_execz .LBB47_752
.LBB47_381:
	scratch_load_dwordx4 v[2:5], v152, off
	v_cndmask_b32_e64 v6, 0, 1, s[6:7]
	v_cmp_eq_u32_e64 s[2:3], 0, v0
	v_cmp_ne_u32_e64 s[0:1], 1, v6
	s_waitcnt vmcnt(0)
	ds_write_b128 v9, v[2:5]
	s_waitcnt lgkmcnt(0)
	; wave barrier
	s_waitcnt lgkmcnt(0)
	s_and_saveexec_b64 s[6:7], s[2:3]
	s_cbranch_execz .LBB47_385
; %bb.382:
	ds_read_b128 v[2:5], v9
	s_and_b64 vcc, exec, s[0:1]
	s_cbranch_vccnz .LBB47_384
; %bb.383:
	scratch_load_dwordx4 v[154:157], v8, off
	s_waitcnt vmcnt(0) lgkmcnt(0)
	v_mul_f64 v[6:7], v[4:5], v[156:157]
	v_mul_f64 v[156:157], v[2:3], v[156:157]
	v_fmac_f64_e32 v[156:157], v[4:5], v[154:155]
	v_fma_f64 v[2:3], v[2:3], v[154:155], -v[6:7]
	v_mov_b64_e32 v[4:5], v[156:157]
.LBB47_384:
	v_mov_b32_e32 v6, 0
	ds_read_b128 v[154:157], v6 offset:16
	s_waitcnt lgkmcnt(0)
	v_mul_f64 v[6:7], v[4:5], v[156:157]
	v_mul_f64 v[158:159], v[2:3], v[156:157]
	v_fma_f64 v[156:157], v[2:3], v[154:155], -v[6:7]
	v_fmac_f64_e32 v[158:159], v[4:5], v[154:155]
	scratch_store_dwordx4 off, v[156:159], off offset:16
.LBB47_385:
	s_or_b64 exec, exec, s[6:7]
	scratch_load_dwordx4 v[2:5], v151, off
	v_cmp_gt_u32_e32 vcc, 2, v0
	s_waitcnt vmcnt(0)
	ds_write_b128 v9, v[2:5]
	s_waitcnt lgkmcnt(0)
	; wave barrier
	s_waitcnt lgkmcnt(0)
	s_and_saveexec_b64 s[6:7], vcc
	s_cbranch_execz .LBB47_391
; %bb.386:
	ds_read_b128 v[2:5], v9
	s_and_b64 vcc, exec, s[0:1]
	s_cbranch_vccnz .LBB47_388
; %bb.387:
	scratch_load_dwordx4 v[154:157], v8, off
	s_waitcnt vmcnt(0) lgkmcnt(0)
	v_mul_f64 v[6:7], v[4:5], v[156:157]
	v_mul_f64 v[156:157], v[2:3], v[156:157]
	v_fmac_f64_e32 v[156:157], v[4:5], v[154:155]
	v_fma_f64 v[2:3], v[2:3], v[154:155], -v[6:7]
	v_mov_b64_e32 v[4:5], v[156:157]
.LBB47_388:
	s_and_saveexec_b64 s[8:9], s[2:3]
	s_cbranch_execz .LBB47_390
; %bb.389:
	scratch_load_dwordx4 v[154:157], v8, off offset:16
	ds_read_b128 v[158:161], v9 offset:16
	s_waitcnt vmcnt(0) lgkmcnt(0)
	v_mul_f64 v[6:7], v[160:161], v[156:157]
	v_mul_f64 v[156:157], v[158:159], v[156:157]
	v_fma_f64 v[6:7], v[158:159], v[154:155], -v[6:7]
	v_fmac_f64_e32 v[156:157], v[160:161], v[154:155]
	v_add_f64 v[2:3], v[2:3], v[6:7]
	v_add_f64 v[4:5], v[4:5], v[156:157]
.LBB47_390:
	s_or_b64 exec, exec, s[8:9]
	v_mov_b32_e32 v6, 0
	ds_read_b128 v[154:157], v6 offset:32
	s_waitcnt lgkmcnt(0)
	v_mul_f64 v[6:7], v[4:5], v[156:157]
	v_mul_f64 v[158:159], v[2:3], v[156:157]
	v_fma_f64 v[156:157], v[2:3], v[154:155], -v[6:7]
	v_fmac_f64_e32 v[158:159], v[4:5], v[154:155]
	scratch_store_dwordx4 off, v[156:159], off offset:32
.LBB47_391:
	s_or_b64 exec, exec, s[6:7]
	scratch_load_dwordx4 v[2:5], v150, off
	v_cmp_gt_u32_e32 vcc, 3, v0
	s_waitcnt vmcnt(0)
	ds_write_b128 v9, v[2:5]
	s_waitcnt lgkmcnt(0)
	; wave barrier
	s_waitcnt lgkmcnt(0)
	s_and_saveexec_b64 s[6:7], vcc
	s_cbranch_execz .LBB47_399
; %bb.392:
	ds_read_b128 v[2:5], v9
	s_and_b64 vcc, exec, s[0:1]
	s_cbranch_vccnz .LBB47_394
; %bb.393:
	scratch_load_dwordx4 v[154:157], v8, off
	s_waitcnt vmcnt(0) lgkmcnt(0)
	v_mul_f64 v[6:7], v[4:5], v[156:157]
	v_mul_f64 v[156:157], v[2:3], v[156:157]
	v_fmac_f64_e32 v[156:157], v[4:5], v[154:155]
	v_fma_f64 v[2:3], v[2:3], v[154:155], -v[6:7]
	v_mov_b64_e32 v[4:5], v[156:157]
.LBB47_394:
	v_cmp_ne_u32_e32 vcc, 2, v0
	s_and_saveexec_b64 s[8:9], vcc
	s_cbranch_execz .LBB47_398
; %bb.395:
	scratch_load_dwordx4 v[154:157], v8, off offset:16
	ds_read_b128 v[158:161], v9 offset:16
	s_waitcnt vmcnt(0) lgkmcnt(0)
	v_mul_f64 v[6:7], v[160:161], v[156:157]
	v_mul_f64 v[156:157], v[158:159], v[156:157]
	v_fma_f64 v[6:7], v[158:159], v[154:155], -v[6:7]
	v_fmac_f64_e32 v[156:157], v[160:161], v[154:155]
	v_add_f64 v[2:3], v[2:3], v[6:7]
	v_add_f64 v[4:5], v[4:5], v[156:157]
	s_and_saveexec_b64 s[10:11], s[2:3]
	s_cbranch_execz .LBB47_397
; %bb.396:
	scratch_load_dwordx4 v[154:157], off, off offset:32
	v_mov_b32_e32 v6, 0
	ds_read_b128 v[158:161], v6 offset:800
	s_waitcnt vmcnt(0) lgkmcnt(0)
	v_mul_f64 v[6:7], v[158:159], v[156:157]
	v_mul_f64 v[156:157], v[160:161], v[156:157]
	v_fmac_f64_e32 v[6:7], v[160:161], v[154:155]
	v_fma_f64 v[154:155], v[158:159], v[154:155], -v[156:157]
	v_add_f64 v[4:5], v[4:5], v[6:7]
	v_add_f64 v[2:3], v[2:3], v[154:155]
.LBB47_397:
	s_or_b64 exec, exec, s[10:11]
.LBB47_398:
	s_or_b64 exec, exec, s[8:9]
	v_mov_b32_e32 v6, 0
	ds_read_b128 v[154:157], v6 offset:48
	s_waitcnt lgkmcnt(0)
	v_mul_f64 v[6:7], v[4:5], v[156:157]
	v_mul_f64 v[158:159], v[2:3], v[156:157]
	v_fma_f64 v[156:157], v[2:3], v[154:155], -v[6:7]
	v_fmac_f64_e32 v[158:159], v[4:5], v[154:155]
	scratch_store_dwordx4 off, v[156:159], off offset:48
.LBB47_399:
	s_or_b64 exec, exec, s[6:7]
	scratch_load_dwordx4 v[2:5], v149, off
	v_cmp_gt_u32_e32 vcc, 4, v0
	s_waitcnt vmcnt(0)
	ds_write_b128 v9, v[2:5]
	s_waitcnt lgkmcnt(0)
	; wave barrier
	s_waitcnt lgkmcnt(0)
	s_and_saveexec_b64 s[2:3], vcc
	s_cbranch_execz .LBB47_407
; %bb.400:
	ds_read_b128 v[2:5], v9
	s_and_b64 vcc, exec, s[0:1]
	s_cbranch_vccnz .LBB47_402
; %bb.401:
	scratch_load_dwordx4 v[154:157], v8, off
	s_waitcnt vmcnt(0) lgkmcnt(0)
	v_mul_f64 v[6:7], v[4:5], v[156:157]
	v_mul_f64 v[156:157], v[2:3], v[156:157]
	v_fmac_f64_e32 v[156:157], v[4:5], v[154:155]
	v_fma_f64 v[2:3], v[2:3], v[154:155], -v[6:7]
	v_mov_b64_e32 v[4:5], v[156:157]
.LBB47_402:
	v_cmp_ne_u32_e32 vcc, 3, v0
	s_and_saveexec_b64 s[6:7], vcc
	s_cbranch_execz .LBB47_406
; %bb.403:
	v_mov_b32_e32 v7, 0
	v_add_u32_e32 v6, 0x310, v100
	v_add3_u32 v7, v100, v7, 24
	s_mov_b64 s[8:9], 0
	v_mov_b32_e32 v153, v0
.LBB47_404:                             ; =>This Inner Loop Header: Depth=1
	v_add_u32_e32 v154, -8, v7
	scratch_load_dwordx4 v[154:157], v154, off
	ds_read_b128 v[158:161], v6
	v_add_u32_e32 v153, 1, v153
	v_cmp_lt_u32_e32 vcc, 2, v153
	v_add_u32_e32 v6, 16, v6
	v_add_u32_e32 v7, 16, v7
	s_or_b64 s[8:9], vcc, s[8:9]
	s_waitcnt vmcnt(0) lgkmcnt(0)
	v_mul_f64 v[162:163], v[160:161], v[156:157]
	v_mul_f64 v[156:157], v[158:159], v[156:157]
	v_fma_f64 v[158:159], v[158:159], v[154:155], -v[162:163]
	v_fmac_f64_e32 v[156:157], v[160:161], v[154:155]
	v_add_f64 v[2:3], v[2:3], v[158:159]
	v_add_f64 v[4:5], v[4:5], v[156:157]
	s_andn2_b64 exec, exec, s[8:9]
	s_cbranch_execnz .LBB47_404
; %bb.405:
	s_or_b64 exec, exec, s[8:9]
.LBB47_406:
	s_or_b64 exec, exec, s[6:7]
	v_mov_b32_e32 v6, 0
	ds_read_b128 v[154:157], v6 offset:64
	s_waitcnt lgkmcnt(0)
	v_mul_f64 v[6:7], v[4:5], v[156:157]
	v_mul_f64 v[158:159], v[2:3], v[156:157]
	v_fma_f64 v[156:157], v[2:3], v[154:155], -v[6:7]
	v_fmac_f64_e32 v[158:159], v[4:5], v[154:155]
	scratch_store_dwordx4 off, v[156:159], off offset:64
.LBB47_407:
	s_or_b64 exec, exec, s[2:3]
	scratch_load_dwordx4 v[2:5], v148, off
	v_cmp_gt_u32_e32 vcc, 5, v0
	s_waitcnt vmcnt(0)
	ds_write_b128 v9, v[2:5]
	s_waitcnt lgkmcnt(0)
	; wave barrier
	s_waitcnt lgkmcnt(0)
	s_and_saveexec_b64 s[2:3], vcc
	s_cbranch_execz .LBB47_415
; %bb.408:
	ds_read_b128 v[2:5], v9
	s_and_b64 vcc, exec, s[0:1]
	s_cbranch_vccnz .LBB47_410
; %bb.409:
	scratch_load_dwordx4 v[154:157], v8, off
	s_waitcnt vmcnt(0) lgkmcnt(0)
	v_mul_f64 v[6:7], v[4:5], v[156:157]
	v_mul_f64 v[156:157], v[2:3], v[156:157]
	v_fmac_f64_e32 v[156:157], v[4:5], v[154:155]
	v_fma_f64 v[2:3], v[2:3], v[154:155], -v[6:7]
	v_mov_b64_e32 v[4:5], v[156:157]
.LBB47_410:
	v_cmp_ne_u32_e32 vcc, 4, v0
	s_and_saveexec_b64 s[6:7], vcc
	s_cbranch_execz .LBB47_414
; %bb.411:
	v_mov_b32_e32 v7, 0
	v_add_u32_e32 v6, 0x310, v100
	v_add3_u32 v7, v100, v7, 24
	s_mov_b64 s[8:9], 0
	v_mov_b32_e32 v153, v0
.LBB47_412:                             ; =>This Inner Loop Header: Depth=1
	v_add_u32_e32 v154, -8, v7
	scratch_load_dwordx4 v[154:157], v154, off
	ds_read_b128 v[158:161], v6
	v_add_u32_e32 v153, 1, v153
	v_cmp_lt_u32_e32 vcc, 3, v153
	v_add_u32_e32 v6, 16, v6
	v_add_u32_e32 v7, 16, v7
	s_or_b64 s[8:9], vcc, s[8:9]
	s_waitcnt vmcnt(0) lgkmcnt(0)
	v_mul_f64 v[162:163], v[160:161], v[156:157]
	v_mul_f64 v[156:157], v[158:159], v[156:157]
	v_fma_f64 v[158:159], v[158:159], v[154:155], -v[162:163]
	v_fmac_f64_e32 v[156:157], v[160:161], v[154:155]
	v_add_f64 v[2:3], v[2:3], v[158:159]
	v_add_f64 v[4:5], v[4:5], v[156:157]
	s_andn2_b64 exec, exec, s[8:9]
	s_cbranch_execnz .LBB47_412
; %bb.413:
	s_or_b64 exec, exec, s[8:9]
.LBB47_414:
	s_or_b64 exec, exec, s[6:7]
	v_mov_b32_e32 v6, 0
	ds_read_b128 v[154:157], v6 offset:80
	s_waitcnt lgkmcnt(0)
	v_mul_f64 v[6:7], v[4:5], v[156:157]
	v_mul_f64 v[158:159], v[2:3], v[156:157]
	v_fma_f64 v[156:157], v[2:3], v[154:155], -v[6:7]
	v_fmac_f64_e32 v[158:159], v[4:5], v[154:155]
	scratch_store_dwordx4 off, v[156:159], off offset:80
.LBB47_415:
	;; [unrolled: 63-line block ×42, first 2 shown]
	s_or_b64 exec, exec, s[2:3]
	scratch_load_dwordx4 v[2:5], v10, off
	v_cmp_gt_u32_e64 s[2:3], 46, v0
	s_waitcnt vmcnt(0)
	ds_write_b128 v9, v[2:5]
	s_waitcnt lgkmcnt(0)
	; wave barrier
	s_waitcnt lgkmcnt(0)
	s_and_saveexec_b64 s[6:7], s[2:3]
	s_cbranch_execz .LBB47_743
; %bb.736:
	ds_read_b128 v[2:5], v9
	s_and_b64 vcc, exec, s[0:1]
	s_cbranch_vccnz .LBB47_738
; %bb.737:
	scratch_load_dwordx4 v[154:157], v8, off
	s_waitcnt vmcnt(0) lgkmcnt(0)
	v_mul_f64 v[6:7], v[4:5], v[156:157]
	v_mul_f64 v[156:157], v[2:3], v[156:157]
	v_fmac_f64_e32 v[156:157], v[4:5], v[154:155]
	v_fma_f64 v[2:3], v[2:3], v[154:155], -v[6:7]
	v_mov_b64_e32 v[4:5], v[156:157]
.LBB47_738:
	v_cmp_ne_u32_e32 vcc, 45, v0
	s_and_saveexec_b64 s[8:9], vcc
	s_cbranch_execz .LBB47_742
; %bb.739:
	v_mov_b32_e32 v7, 0
	v_add_u32_e32 v6, 0x310, v100
	v_add3_u32 v7, v100, v7, 24
	s_mov_b64 s[10:11], 0
	v_mov_b32_e32 v153, v0
.LBB47_740:                             ; =>This Inner Loop Header: Depth=1
	v_add_u32_e32 v154, -8, v7
	scratch_load_dwordx4 v[154:157], v154, off
	ds_read_b128 v[158:161], v6
	v_add_u32_e32 v153, 1, v153
	v_cmp_lt_u32_e32 vcc, 44, v153
	v_add_u32_e32 v6, 16, v6
	v_add_u32_e32 v7, 16, v7
	s_or_b64 s[10:11], vcc, s[10:11]
	s_waitcnt vmcnt(0) lgkmcnt(0)
	v_mul_f64 v[162:163], v[160:161], v[156:157]
	v_mul_f64 v[156:157], v[158:159], v[156:157]
	v_fma_f64 v[158:159], v[158:159], v[154:155], -v[162:163]
	v_fmac_f64_e32 v[156:157], v[160:161], v[154:155]
	v_add_f64 v[2:3], v[2:3], v[158:159]
	v_add_f64 v[4:5], v[4:5], v[156:157]
	s_andn2_b64 exec, exec, s[10:11]
	s_cbranch_execnz .LBB47_740
; %bb.741:
	s_or_b64 exec, exec, s[10:11]
.LBB47_742:
	s_or_b64 exec, exec, s[8:9]
	v_mov_b32_e32 v6, 0
	ds_read_b128 v[154:157], v6 offset:736
	s_waitcnt lgkmcnt(0)
	v_mul_f64 v[6:7], v[4:5], v[156:157]
	v_mul_f64 v[158:159], v[2:3], v[156:157]
	v_fma_f64 v[156:157], v[2:3], v[154:155], -v[6:7]
	v_fmac_f64_e32 v[158:159], v[4:5], v[154:155]
	scratch_store_dwordx4 off, v[156:159], off offset:736
.LBB47_743:
	s_or_b64 exec, exec, s[6:7]
	scratch_load_dwordx4 v[2:5], v1, off
	v_cmp_ne_u32_e32 vcc, 47, v0
                                        ; implicit-def: $vgpr6_vgpr7
                                        ; implicit-def: $vgpr153
	s_waitcnt vmcnt(0)
	ds_write_b128 v9, v[2:5]
	s_waitcnt lgkmcnt(0)
	; wave barrier
	s_waitcnt lgkmcnt(0)
	s_and_saveexec_b64 s[6:7], vcc
	s_cbranch_execz .LBB47_751
; %bb.744:
	ds_read_b128 v[2:5], v9
	s_and_b64 vcc, exec, s[0:1]
	s_cbranch_vccnz .LBB47_746
; %bb.745:
	scratch_load_dwordx4 v[6:9], v8, off
	s_waitcnt vmcnt(0) lgkmcnt(0)
	v_mul_f64 v[154:155], v[4:5], v[8:9]
	v_mul_f64 v[8:9], v[2:3], v[8:9]
	v_fmac_f64_e32 v[8:9], v[4:5], v[6:7]
	v_fma_f64 v[2:3], v[2:3], v[6:7], -v[154:155]
	v_mov_b64_e32 v[4:5], v[8:9]
.LBB47_746:
	s_and_saveexec_b64 s[0:1], s[2:3]
	s_cbranch_execz .LBB47_750
; %bb.747:
	v_mov_b32_e32 v7, 0
	v_add_u32_e32 v6, 0x310, v100
	v_add3_u32 v7, v100, v7, 24
	s_mov_b64 s[2:3], 0
.LBB47_748:                             ; =>This Inner Loop Header: Depth=1
	v_add_u32_e32 v8, -8, v7
	scratch_load_dwordx4 v[154:157], v8, off
	ds_read_b128 v[158:161], v6
	v_add_u32_e32 v0, 1, v0
	v_cmp_lt_u32_e32 vcc, 45, v0
	v_add_u32_e32 v6, 16, v6
	v_add_u32_e32 v7, 16, v7
	s_or_b64 s[2:3], vcc, s[2:3]
	s_waitcnt vmcnt(0) lgkmcnt(0)
	v_mul_f64 v[8:9], v[160:161], v[156:157]
	v_mul_f64 v[156:157], v[158:159], v[156:157]
	v_fma_f64 v[8:9], v[158:159], v[154:155], -v[8:9]
	v_fmac_f64_e32 v[156:157], v[160:161], v[154:155]
	v_add_f64 v[2:3], v[2:3], v[8:9]
	v_add_f64 v[4:5], v[4:5], v[156:157]
	s_andn2_b64 exec, exec, s[2:3]
	s_cbranch_execnz .LBB47_748
; %bb.749:
	s_or_b64 exec, exec, s[2:3]
.LBB47_750:
	s_or_b64 exec, exec, s[0:1]
	v_mov_b32_e32 v0, 0
	ds_read_b128 v[154:157], v0 offset:752
	v_mov_b32_e32 v0, 0
	v_add_u32_e32 v153, 0x2f8, v0
	s_or_b64 s[4:5], s[4:5], exec
	s_waitcnt lgkmcnt(0)
	v_mul_f64 v[8:9], v[4:5], v[156:157]
	v_mul_f64 v[6:7], v[2:3], v[156:157]
	v_fma_f64 v[2:3], v[2:3], v[154:155], -v[8:9]
	v_fmac_f64_e32 v[6:7], v[4:5], v[154:155]
	scratch_store_dwordx2 off, v[2:3], off offset:752
.LBB47_751:
	s_or_b64 exec, exec, s[6:7]
.LBB47_752:
	s_and_saveexec_b64 s[0:1], s[4:5]
	s_cbranch_execz .LBB47_754
; %bb.753:
	scratch_store_dwordx2 v153, v[6:7], off
.LBB47_754:
	s_or_b64 exec, exec, s[0:1]
	scratch_load_dwordx4 v[2:5], off, off
	scratch_load_dwordx4 v[6:9], v152, off
	s_nop 0
	scratch_load_dwordx4 v[152:155], v151, off
	scratch_load_dwordx4 v[156:159], v150, off
	;; [unrolled: 1-line block ×3, first 2 shown]
	s_nop 0
	scratch_load_dwordx4 v[148:151], v148, off
	s_waitcnt vmcnt(5)
	global_store_dwordx4 v[24:25], v[2:5], off
	scratch_load_dwordx4 v[2:5], v147, off
	s_nop 0
	scratch_load_dwordx4 v[164:167], v146, off
	s_waitcnt vmcnt(7)
	global_store_dwordx4 v[18:19], v[6:9], off
	scratch_load_dwordx4 v[6:9], v145, off
	;; [unrolled: 5-line block ×21, first 2 shown]
	s_nop 0
	scratch_load_dwordx4 v[160:163], v1, off
	s_waitcnt vmcnt(39)
	global_store_dwordx4 v[50:51], v[132:135], off
	s_waitcnt vmcnt(38)
	global_store_dwordx4 v[54:55], v[6:9], off
	;; [unrolled: 2-line block ×27, first 2 shown]
.LBB47_755:
	s_endpgm
	.section	.rodata,"a",@progbits
	.p2align	6, 0x0
	.amdhsa_kernel _ZN9rocsolver6v33100L18trti2_kernel_smallILi48E19rocblas_complex_numIdEPS3_EEv13rocblas_fill_17rocblas_diagonal_T1_iil
		.amdhsa_group_segment_fixed_size 1536
		.amdhsa_private_segment_fixed_size 784
		.amdhsa_kernarg_size 32
		.amdhsa_user_sgpr_count 2
		.amdhsa_user_sgpr_dispatch_ptr 0
		.amdhsa_user_sgpr_queue_ptr 0
		.amdhsa_user_sgpr_kernarg_segment_ptr 1
		.amdhsa_user_sgpr_dispatch_id 0
		.amdhsa_user_sgpr_kernarg_preload_length 0
		.amdhsa_user_sgpr_kernarg_preload_offset 0
		.amdhsa_user_sgpr_private_segment_size 0
		.amdhsa_uses_dynamic_stack 0
		.amdhsa_enable_private_segment 1
		.amdhsa_system_sgpr_workgroup_id_x 1
		.amdhsa_system_sgpr_workgroup_id_y 0
		.amdhsa_system_sgpr_workgroup_id_z 0
		.amdhsa_system_sgpr_workgroup_info 0
		.amdhsa_system_vgpr_workitem_id 0
		.amdhsa_next_free_vgpr 176
		.amdhsa_next_free_sgpr 12
		.amdhsa_accum_offset 176
		.amdhsa_reserve_vcc 1
		.amdhsa_float_round_mode_32 0
		.amdhsa_float_round_mode_16_64 0
		.amdhsa_float_denorm_mode_32 3
		.amdhsa_float_denorm_mode_16_64 3
		.amdhsa_dx10_clamp 1
		.amdhsa_ieee_mode 1
		.amdhsa_fp16_overflow 0
		.amdhsa_tg_split 0
		.amdhsa_exception_fp_ieee_invalid_op 0
		.amdhsa_exception_fp_denorm_src 0
		.amdhsa_exception_fp_ieee_div_zero 0
		.amdhsa_exception_fp_ieee_overflow 0
		.amdhsa_exception_fp_ieee_underflow 0
		.amdhsa_exception_fp_ieee_inexact 0
		.amdhsa_exception_int_div_zero 0
	.end_amdhsa_kernel
	.section	.text._ZN9rocsolver6v33100L18trti2_kernel_smallILi48E19rocblas_complex_numIdEPS3_EEv13rocblas_fill_17rocblas_diagonal_T1_iil,"axG",@progbits,_ZN9rocsolver6v33100L18trti2_kernel_smallILi48E19rocblas_complex_numIdEPS3_EEv13rocblas_fill_17rocblas_diagonal_T1_iil,comdat
.Lfunc_end47:
	.size	_ZN9rocsolver6v33100L18trti2_kernel_smallILi48E19rocblas_complex_numIdEPS3_EEv13rocblas_fill_17rocblas_diagonal_T1_iil, .Lfunc_end47-_ZN9rocsolver6v33100L18trti2_kernel_smallILi48E19rocblas_complex_numIdEPS3_EEv13rocblas_fill_17rocblas_diagonal_T1_iil
                                        ; -- End function
	.section	.AMDGPU.csdata,"",@progbits
; Kernel info:
; codeLenInByte = 31664
; NumSgprs: 18
; NumVgprs: 176
; NumAgprs: 0
; TotalNumVgprs: 176
; ScratchSize: 784
; MemoryBound: 0
; FloatMode: 240
; IeeeMode: 1
; LDSByteSize: 1536 bytes/workgroup (compile time only)
; SGPRBlocks: 2
; VGPRBlocks: 21
; NumSGPRsForWavesPerEU: 18
; NumVGPRsForWavesPerEU: 176
; AccumOffset: 176
; Occupancy: 2
; WaveLimiterHint : 0
; COMPUTE_PGM_RSRC2:SCRATCH_EN: 1
; COMPUTE_PGM_RSRC2:USER_SGPR: 2
; COMPUTE_PGM_RSRC2:TRAP_HANDLER: 0
; COMPUTE_PGM_RSRC2:TGID_X_EN: 1
; COMPUTE_PGM_RSRC2:TGID_Y_EN: 0
; COMPUTE_PGM_RSRC2:TGID_Z_EN: 0
; COMPUTE_PGM_RSRC2:TIDIG_COMP_CNT: 0
; COMPUTE_PGM_RSRC3_GFX90A:ACCUM_OFFSET: 43
; COMPUTE_PGM_RSRC3_GFX90A:TG_SPLIT: 0
	.section	.text._ZN9rocsolver6v33100L18trti2_kernel_smallILi49E19rocblas_complex_numIdEPS3_EEv13rocblas_fill_17rocblas_diagonal_T1_iil,"axG",@progbits,_ZN9rocsolver6v33100L18trti2_kernel_smallILi49E19rocblas_complex_numIdEPS3_EEv13rocblas_fill_17rocblas_diagonal_T1_iil,comdat
	.globl	_ZN9rocsolver6v33100L18trti2_kernel_smallILi49E19rocblas_complex_numIdEPS3_EEv13rocblas_fill_17rocblas_diagonal_T1_iil ; -- Begin function _ZN9rocsolver6v33100L18trti2_kernel_smallILi49E19rocblas_complex_numIdEPS3_EEv13rocblas_fill_17rocblas_diagonal_T1_iil
	.p2align	8
	.type	_ZN9rocsolver6v33100L18trti2_kernel_smallILi49E19rocblas_complex_numIdEPS3_EEv13rocblas_fill_17rocblas_diagonal_T1_iil,@function
_ZN9rocsolver6v33100L18trti2_kernel_smallILi49E19rocblas_complex_numIdEPS3_EEv13rocblas_fill_17rocblas_diagonal_T1_iil: ; @_ZN9rocsolver6v33100L18trti2_kernel_smallILi49E19rocblas_complex_numIdEPS3_EEv13rocblas_fill_17rocblas_diagonal_T1_iil
; %bb.0:
	v_cmp_gt_u32_e32 vcc, 49, v0
	s_and_saveexec_b64 s[4:5], vcc
	s_cbranch_execz .LBB48_771
; %bb.1:
	s_load_dwordx8 s[4:11], s[0:1], 0x0
	s_ashr_i32 s3, s2, 31
	v_lshlrev_b32_e32 v80, 4, v0
	v_mov_b32_e32 v81, 0
	v_mov_b32_e32 v1, 0
	s_waitcnt lgkmcnt(0)
	s_ashr_i32 s1, s8, 31
	s_mov_b32 s0, s8
	s_mul_i32 s8, s2, s11
	s_mul_hi_u32 s11, s2, s10
	s_add_i32 s8, s11, s8
	s_mul_i32 s3, s3, s10
	s_add_i32 s3, s8, s3
	s_mul_i32 s2, s2, s10
	s_lshl_b64 s[2:3], s[2:3], 4
	s_add_u32 s2, s6, s2
	s_addc_u32 s3, s7, s3
	s_lshl_b64 s[0:1], s[0:1], 4
	s_add_u32 s0, s2, s0
	s_addc_u32 s1, s3, s1
	v_lshl_add_u64 v[30:31], s[0:1], 0, v[80:81]
	s_ashr_i32 s3, s9, 31
	s_mov_b32 s2, s9
	v_lshl_add_u64 v[32:33], s[2:3], 4, v[30:31]
	s_add_i32 s2, s9, s9
	v_add_u32_e32 v2, s2, v0
	v_ashrrev_i32_e32 v3, 31, v2
	v_lshl_add_u64 v[34:35], v[2:3], 4, s[0:1]
	v_add_u32_e32 v2, s9, v2
	v_ashrrev_i32_e32 v3, 31, v2
	v_lshl_add_u64 v[36:37], v[2:3], 4, s[0:1]
	;; [unrolled: 3-line block ×6, first 2 shown]
	v_add_u32_e32 v2, s9, v2
	v_ashrrev_i32_e32 v3, 31, v2
	v_add_u32_e32 v4, s9, v2
	v_lshl_add_u64 v[46:47], v[2:3], 4, s[0:1]
	v_ashrrev_i32_e32 v5, 31, v4
	v_add_u32_e32 v2, s9, v4
	v_lshl_add_u64 v[48:49], v[4:5], 4, s[0:1]
	v_ashrrev_i32_e32 v3, 31, v2
	global_load_dwordx4 v[68:71], v80, s[0:1]
	global_load_dwordx4 v[72:75], v[32:33], off
	global_load_dwordx4 v[76:79], v[34:35], off
	;; [unrolled: 1-line block ×8, first 2 shown]
	v_lshl_add_u64 v[50:51], v[2:3], 4, s[0:1]
	global_load_dwordx4 v[106:109], v[48:49], off
	global_load_dwordx4 v[110:113], v[50:51], off
	v_add_u32_e32 v4, s9, v2
	v_ashrrev_i32_e32 v5, 31, v4
	v_lshl_add_u64 v[52:53], v[4:5], 4, s[0:1]
	global_load_dwordx4 v[114:117], v[52:53], off
	v_add_u32_e32 v2, s9, v4
	v_add_u32_e32 v6, s9, v2
	;; [unrolled: 1-line block ×7, first 2 shown]
	v_ashrrev_i32_e32 v3, 31, v2
	v_ashrrev_i32_e32 v7, 31, v6
	;; [unrolled: 1-line block ×4, first 2 shown]
	v_add_u32_e32 v44, s9, v24
	v_lshl_add_u64 v[54:55], v[2:3], 4, s[0:1]
	global_load_dwordx4 v[2:5], v[54:55], off
	v_lshl_add_u64 v[56:57], v[6:7], 4, s[0:1]
	v_ashrrev_i32_e32 v9, 31, v8
	v_lshl_add_u64 v[60:61], v[14:15], 4, s[0:1]
	v_ashrrev_i32_e32 v17, 31, v16
	;; [unrolled: 2-line block ×3, first 2 shown]
	v_ashrrev_i32_e32 v45, 31, v44
	v_lshl_add_u64 v[58:59], v[8:9], 4, s[0:1]
	global_load_dwordx4 v[6:9], v[56:57], off
	global_load_dwordx4 v[10:13], v[58:59], off
	v_lshl_add_u64 v[62:63], v[16:17], 4, s[0:1]
	global_load_dwordx4 v[14:17], v[60:61], off
	global_load_dwordx4 v[18:21], v[62:63], off
	;; [unrolled: 3-line block ×3, first 2 shown]
	s_cmpk_lg_i32 s5, 0x84
	s_cselect_b64 s[6:7], -1, 0
	s_cmpk_eq_i32 s5, 0x84
	s_waitcnt vmcnt(18)
	scratch_store_dwordx4 off, v[68:71], off
	s_waitcnt vmcnt(18)
	scratch_store_dwordx4 off, v[72:75], off offset:16
	s_waitcnt vmcnt(18)
	scratch_store_dwordx4 off, v[76:79], off offset:32
	;; [unrolled: 2-line block ×11, first 2 shown]
	v_lshl_add_u64 v[68:69], v[44:45], 4, s[0:1]
	v_add_u32_e32 v44, s9, v44
	v_ashrrev_i32_e32 v45, 31, v44
	v_lshl_add_u64 v[70:71], v[44:45], 4, s[0:1]
	v_add_u32_e32 v44, s9, v44
	v_ashrrev_i32_e32 v45, 31, v44
	;; [unrolled: 3-line block ×29, first 2 shown]
	global_load_dwordx4 v[130:133], v[68:69], off
	global_load_dwordx4 v[134:137], v[70:71], off
	;; [unrolled: 1-line block ×28, first 2 shown]
	v_lshl_add_u64 v[128:129], v[44:45], 4, s[0:1]
	global_load_dwordx4 v[242:245], v[126:127], off
	global_load_dwordx4 v[246:249], v[128:129], off
	s_waitcnt vmcnt(48)
	scratch_store_dwordx4 off, v[2:5], off offset:192
	s_waitcnt vmcnt(48)
	scratch_store_dwordx4 off, v[6:9], off offset:208
	s_waitcnt vmcnt(48)
	scratch_store_dwordx4 off, v[10:13], off offset:224
	s_waitcnt vmcnt(48)
	scratch_store_dwordx4 off, v[14:17], off offset:240
	s_waitcnt vmcnt(48)
	scratch_store_dwordx4 off, v[18:21], off offset:256
	s_waitcnt vmcnt(48)
	scratch_store_dwordx4 off, v[22:25], off offset:272
	s_waitcnt vmcnt(48)
	scratch_store_dwordx4 off, v[26:29], off offset:288
	s_waitcnt vmcnt(36)
	scratch_store_dwordx4 off, v[130:133], off offset:304
	s_waitcnt vmcnt(36)
	scratch_store_dwordx4 off, v[134:137], off offset:320
	s_waitcnt vmcnt(36)
	scratch_store_dwordx4 off, v[138:141], off offset:336
	s_waitcnt vmcnt(36)
	scratch_store_dwordx4 off, v[142:145], off offset:352
	s_waitcnt vmcnt(36)
	scratch_store_dwordx4 off, v[146:149], off offset:368
	s_waitcnt vmcnt(36)
	scratch_store_dwordx4 off, v[150:153], off offset:384
	s_waitcnt vmcnt(36)
	scratch_store_dwordx4 off, v[154:157], off offset:400
	s_waitcnt vmcnt(36)
	scratch_store_dwordx4 off, v[158:161], off offset:416
	s_waitcnt vmcnt(36)
	scratch_store_dwordx4 off, v[162:165], off offset:432
	s_waitcnt vmcnt(36)
	scratch_store_dwordx4 off, v[166:169], off offset:448
	s_waitcnt vmcnt(36)
	scratch_store_dwordx4 off, v[170:173], off offset:464
	s_waitcnt vmcnt(36)
	scratch_store_dwordx4 off, v[174:177], off offset:480
	s_waitcnt vmcnt(36)
	scratch_store_dwordx4 off, v[178:181], off offset:496
	s_waitcnt vmcnt(36)
	scratch_store_dwordx4 off, v[182:185], off offset:512
	s_waitcnt vmcnt(36)
	scratch_store_dwordx4 off, v[186:189], off offset:528
	s_waitcnt vmcnt(36)
	scratch_store_dwordx4 off, v[190:193], off offset:544
	s_waitcnt vmcnt(36)
	scratch_store_dwordx4 off, v[194:197], off offset:560
	s_waitcnt vmcnt(36)
	scratch_store_dwordx4 off, v[198:201], off offset:576
	s_waitcnt vmcnt(36)
	scratch_store_dwordx4 off, v[202:205], off offset:592
	s_waitcnt vmcnt(36)
	scratch_store_dwordx4 off, v[206:209], off offset:608
	s_waitcnt vmcnt(36)
	scratch_store_dwordx4 off, v[210:213], off offset:624
	s_waitcnt vmcnt(36)
	scratch_store_dwordx4 off, v[214:217], off offset:640
	s_waitcnt vmcnt(36)
	scratch_store_dwordx4 off, v[218:221], off offset:656
	s_waitcnt vmcnt(36)
	scratch_store_dwordx4 off, v[222:225], off offset:672
	s_waitcnt vmcnt(36)
	scratch_store_dwordx4 off, v[226:229], off offset:688
	s_waitcnt vmcnt(36)
	scratch_store_dwordx4 off, v[230:233], off offset:704
	s_waitcnt vmcnt(36)
	scratch_store_dwordx4 off, v[234:237], off offset:720
	s_waitcnt vmcnt(36)
	scratch_store_dwordx4 off, v[238:241], off offset:736
	s_waitcnt vmcnt(36)
	scratch_store_dwordx4 off, v[242:245], off offset:752
	s_waitcnt vmcnt(36)
	scratch_store_dwordx4 off, v[246:249], off offset:768
	s_cbranch_scc1 .LBB48_7
; %bb.2:
	scratch_load_dwordx4 v[8:11], v80, off
                                        ; implicit-def: $vgpr6_vgpr7
	s_waitcnt vmcnt(0)
	v_xor_b32_e32 v3, 0x80000000, v9
	v_cmp_gt_f64_e32 vcc, 0, v[8:9]
	v_xor_b32_e32 v4, 0x80000000, v11
	v_mov_b32_e32 v2, v8
	v_cndmask_b32_e32 v3, v9, v3, vcc
	v_cmp_gt_f64_e32 vcc, 0, v[10:11]
	s_nop 1
	v_cndmask_b32_e32 v5, v11, v4, vcc
	v_mov_b32_e32 v4, v10
	v_cmp_ngt_f64_e32 vcc, v[2:3], v[4:5]
                                        ; implicit-def: $vgpr2_vgpr3
	s_and_saveexec_b64 s[0:1], vcc
	s_xor_b64 s[0:1], exec, s[0:1]
	s_cbranch_execz .LBB48_4
; %bb.3:
	v_div_scale_f64 v[2:3], s[2:3], v[10:11], v[10:11], v[8:9]
	v_rcp_f64_e32 v[4:5], v[2:3]
	v_div_scale_f64 v[6:7], vcc, v[8:9], v[10:11], v[8:9]
	v_fma_f64 v[12:13], -v[2:3], v[4:5], 1.0
	v_fmac_f64_e32 v[4:5], v[4:5], v[12:13]
	v_fma_f64 v[12:13], -v[2:3], v[4:5], 1.0
	v_fmac_f64_e32 v[4:5], v[4:5], v[12:13]
	v_mul_f64 v[12:13], v[6:7], v[4:5]
	v_fma_f64 v[2:3], -v[2:3], v[12:13], v[6:7]
	v_div_fmas_f64 v[2:3], v[2:3], v[4:5], v[12:13]
	v_div_fixup_f64 v[2:3], v[2:3], v[10:11], v[8:9]
	v_fmac_f64_e32 v[10:11], v[8:9], v[2:3]
	v_div_scale_f64 v[4:5], s[2:3], v[10:11], v[10:11], 1.0
	v_rcp_f64_e32 v[6:7], v[4:5]
	s_nop 0
	v_fma_f64 v[8:9], -v[4:5], v[6:7], 1.0
	v_fmac_f64_e32 v[6:7], v[6:7], v[8:9]
	v_fma_f64 v[8:9], -v[4:5], v[6:7], 1.0
	v_fmac_f64_e32 v[6:7], v[6:7], v[8:9]
	v_div_scale_f64 v[8:9], vcc, 1.0, v[10:11], 1.0
	v_mul_f64 v[12:13], v[8:9], v[6:7]
	v_fma_f64 v[4:5], -v[4:5], v[12:13], v[8:9]
                                        ; implicit-def: $vgpr8_vgpr9
	s_nop 1
	v_div_fmas_f64 v[4:5], v[4:5], v[6:7], v[12:13]
	v_div_fixup_f64 v[4:5], v[4:5], v[10:11], 1.0
	v_mul_f64 v[2:3], v[2:3], v[4:5]
	v_xor_b32_e32 v5, 0x80000000, v5
	v_xor_b32_e32 v7, 0x80000000, v3
	v_mov_b32_e32 v6, v2
.LBB48_4:
	s_or_saveexec_b64 s[0:1], s[0:1]
	v_add_u32_e32 v12, 0, v80
	s_xor_b64 exec, exec, s[0:1]
	s_cbranch_execz .LBB48_6
; %bb.5:
	v_div_scale_f64 v[2:3], s[2:3], v[8:9], v[8:9], v[10:11]
	v_rcp_f64_e32 v[4:5], v[2:3]
	v_div_scale_f64 v[6:7], vcc, v[10:11], v[8:9], v[10:11]
	v_fma_f64 v[14:15], -v[2:3], v[4:5], 1.0
	v_fmac_f64_e32 v[4:5], v[4:5], v[14:15]
	v_fma_f64 v[14:15], -v[2:3], v[4:5], 1.0
	v_fmac_f64_e32 v[4:5], v[4:5], v[14:15]
	v_mul_f64 v[14:15], v[6:7], v[4:5]
	v_fma_f64 v[2:3], -v[2:3], v[14:15], v[6:7]
	v_div_fmas_f64 v[2:3], v[2:3], v[4:5], v[14:15]
	v_div_fixup_f64 v[4:5], v[2:3], v[8:9], v[10:11]
	v_fmac_f64_e32 v[8:9], v[10:11], v[4:5]
	v_div_scale_f64 v[2:3], s[2:3], v[8:9], v[8:9], 1.0
	v_rcp_f64_e32 v[6:7], v[2:3]
	s_nop 0
	v_fma_f64 v[10:11], -v[2:3], v[6:7], 1.0
	v_fmac_f64_e32 v[6:7], v[6:7], v[10:11]
	v_fma_f64 v[10:11], -v[2:3], v[6:7], 1.0
	v_fmac_f64_e32 v[6:7], v[6:7], v[10:11]
	v_div_scale_f64 v[10:11], vcc, 1.0, v[8:9], 1.0
	v_mul_f64 v[14:15], v[10:11], v[6:7]
	v_fma_f64 v[2:3], -v[2:3], v[14:15], v[10:11]
	s_nop 1
	v_div_fmas_f64 v[2:3], v[2:3], v[6:7], v[14:15]
	v_div_fixup_f64 v[2:3], v[2:3], v[8:9], 1.0
	v_xor_b32_e32 v7, 0x80000000, v3
	v_mov_b32_e32 v6, v2
	v_mul_f64 v[4:5], v[4:5], -v[2:3]
.LBB48_6:
	s_or_b64 exec, exec, s[0:1]
	scratch_store_dwordx4 v12, v[2:5], off
	s_nop 1
	v_xor_b32_e32 v5, 0x80000000, v5
	s_branch .LBB48_8
.LBB48_7:
	v_mov_b64_e32 v[4:5], 0
	v_mov_b64_e32 v[6:7], -1.0
.LBB48_8:
	v_mov_b32_e32 v8, v4
	v_mov_b32_e32 v9, v5
	v_add_u32_e32 v155, 16, v1
	v_add_u32_e32 v154, 32, v1
	;; [unrolled: 1-line block ×48, first 2 shown]
	ds_write_b128 v80, v[6:9]
	s_cmpk_eq_i32 s4, 0x79
	v_add_u32_e32 v9, 0x310, v80
	v_add_u32_e32 v8, 0, v80
	s_cbranch_scc1 .LBB48_388
; %bb.9:
	scratch_load_dwordx4 v[2:5], v44, off
	v_cmp_eq_u32_e64 s[0:1], 48, v0
	s_waitcnt vmcnt(0)
	ds_write_b128 v9, v[2:5]
	s_waitcnt lgkmcnt(0)
	; wave barrier
	s_waitcnt lgkmcnt(0)
	s_and_saveexec_b64 s[2:3], s[0:1]
	s_cbranch_execz .LBB48_13
; %bb.10:
	ds_read_b128 v[2:5], v9
	s_andn2_b64 vcc, exec, s[6:7]
	s_cbranch_vccnz .LBB48_12
; %bb.11:
	scratch_load_dwordx4 v[156:159], v8, off
	s_waitcnt vmcnt(0) lgkmcnt(0)
	v_mul_f64 v[10:11], v[2:3], v[158:159]
	v_mul_f64 v[6:7], v[4:5], v[158:159]
	v_fmac_f64_e32 v[10:11], v[4:5], v[156:157]
	v_fma_f64 v[2:3], v[2:3], v[156:157], -v[6:7]
	v_mov_b64_e32 v[4:5], v[10:11]
.LBB48_12:
	v_mov_b32_e32 v6, 0
	ds_read_b128 v[156:159], v6 offset:752
	s_waitcnt lgkmcnt(0)
	v_mul_f64 v[6:7], v[4:5], v[158:159]
	v_mul_f64 v[160:161], v[2:3], v[158:159]
	v_fma_f64 v[158:159], v[2:3], v[156:157], -v[6:7]
	v_fmac_f64_e32 v[160:161], v[4:5], v[156:157]
	scratch_store_dwordx4 off, v[158:161], off offset:752
.LBB48_13:
	s_or_b64 exec, exec, s[2:3]
	scratch_load_dwordx4 v[2:5], v45, off
	v_cmp_lt_u32_e64 s[2:3], 46, v0
	s_waitcnt vmcnt(0)
	ds_write_b128 v9, v[2:5]
	s_waitcnt lgkmcnt(0)
	; wave barrier
	s_waitcnt lgkmcnt(0)
	s_and_saveexec_b64 s[4:5], s[2:3]
	s_cbranch_execz .LBB48_19
; %bb.14:
	ds_read_b128 v[2:5], v9
	s_andn2_b64 vcc, exec, s[6:7]
	s_cbranch_vccnz .LBB48_16
; %bb.15:
	scratch_load_dwordx4 v[156:159], v8, off
	s_waitcnt vmcnt(0) lgkmcnt(0)
	v_mul_f64 v[10:11], v[2:3], v[158:159]
	v_mul_f64 v[6:7], v[4:5], v[158:159]
	v_fmac_f64_e32 v[10:11], v[4:5], v[156:157]
	v_fma_f64 v[2:3], v[2:3], v[156:157], -v[6:7]
	v_mov_b64_e32 v[4:5], v[10:11]
.LBB48_16:
	s_and_saveexec_b64 s[8:9], s[0:1]
	s_cbranch_execz .LBB48_18
; %bb.17:
	scratch_load_dwordx4 v[156:159], off, off offset:752
	v_mov_b32_e32 v6, 0
	ds_read_b128 v[160:163], v6 offset:1536
	s_waitcnt vmcnt(0) lgkmcnt(0)
	v_mul_f64 v[6:7], v[160:161], v[158:159]
	v_mul_f64 v[10:11], v[162:163], v[158:159]
	v_fmac_f64_e32 v[6:7], v[162:163], v[156:157]
	v_fma_f64 v[10:11], v[160:161], v[156:157], -v[10:11]
	v_add_f64 v[4:5], v[4:5], v[6:7]
	v_add_f64 v[2:3], v[2:3], v[10:11]
.LBB48_18:
	s_or_b64 exec, exec, s[8:9]
	v_mov_b32_e32 v6, 0
	ds_read_b128 v[156:159], v6 offset:736
	s_waitcnt lgkmcnt(0)
	v_mul_f64 v[6:7], v[4:5], v[158:159]
	v_mul_f64 v[160:161], v[2:3], v[158:159]
	v_fma_f64 v[158:159], v[2:3], v[156:157], -v[6:7]
	v_fmac_f64_e32 v[160:161], v[4:5], v[156:157]
	scratch_store_dwordx4 off, v[158:161], off offset:736
.LBB48_19:
	s_or_b64 exec, exec, s[4:5]
	scratch_load_dwordx4 v[2:5], v166, off
	v_cmp_lt_u32_e64 s[0:1], 45, v0
	s_waitcnt vmcnt(0)
	ds_write_b128 v9, v[2:5]
	s_waitcnt lgkmcnt(0)
	; wave barrier
	s_waitcnt lgkmcnt(0)
	s_and_saveexec_b64 s[4:5], s[0:1]
	s_cbranch_execz .LBB48_27
; %bb.20:
	ds_read_b128 v[2:5], v9
	s_andn2_b64 vcc, exec, s[6:7]
	s_cbranch_vccnz .LBB48_22
; %bb.21:
	scratch_load_dwordx4 v[156:159], v8, off
	s_waitcnt vmcnt(0) lgkmcnt(0)
	v_mul_f64 v[10:11], v[2:3], v[158:159]
	v_mul_f64 v[6:7], v[4:5], v[158:159]
	v_fmac_f64_e32 v[10:11], v[4:5], v[156:157]
	v_fma_f64 v[2:3], v[2:3], v[156:157], -v[6:7]
	v_mov_b64_e32 v[4:5], v[10:11]
.LBB48_22:
	s_and_saveexec_b64 s[8:9], s[2:3]
	s_cbranch_execz .LBB48_26
; %bb.23:
	v_mov_b32_e32 v7, 0
	v_subrev_u32_e32 v6, 46, v0
	v_add_u32_e32 v7, 0x2e8, v7
	s_movk_i32 s10, 0x5f0
	s_mov_b64 s[2:3], 0
.LBB48_24:                              ; =>This Inner Loop Header: Depth=1
	v_add_u32_e32 v10, -8, v7
	scratch_load_dwordx4 v[156:159], v10, off
	v_mov_b32_e32 v10, s10
	ds_read_b128 v[160:163], v10
	v_add_u32_e32 v6, -1, v6
	s_add_i32 s10, s10, 16
	v_cmp_eq_u32_e32 vcc, 0, v6
	v_add_u32_e32 v7, 16, v7
	s_or_b64 s[2:3], vcc, s[2:3]
	s_waitcnt vmcnt(0) lgkmcnt(0)
	v_mul_f64 v[10:11], v[162:163], v[158:159]
	v_mul_f64 v[12:13], v[160:161], v[158:159]
	v_fma_f64 v[10:11], v[160:161], v[156:157], -v[10:11]
	v_fmac_f64_e32 v[12:13], v[162:163], v[156:157]
	v_add_f64 v[2:3], v[2:3], v[10:11]
	v_add_f64 v[4:5], v[4:5], v[12:13]
	s_andn2_b64 exec, exec, s[2:3]
	s_cbranch_execnz .LBB48_24
; %bb.25:
	s_or_b64 exec, exec, s[2:3]
.LBB48_26:
	s_or_b64 exec, exec, s[8:9]
	v_mov_b32_e32 v6, 0
	ds_read_b128 v[156:159], v6 offset:720
	s_waitcnt lgkmcnt(0)
	v_mul_f64 v[6:7], v[4:5], v[158:159]
	v_mul_f64 v[160:161], v[2:3], v[158:159]
	v_fma_f64 v[158:159], v[2:3], v[156:157], -v[6:7]
	v_fmac_f64_e32 v[160:161], v[4:5], v[156:157]
	scratch_store_dwordx4 off, v[158:161], off offset:720
.LBB48_27:
	s_or_b64 exec, exec, s[4:5]
	scratch_load_dwordx4 v[2:5], v167, off
	v_cmp_lt_u32_e64 s[2:3], 44, v0
	s_waitcnt vmcnt(0)
	ds_write_b128 v9, v[2:5]
	s_waitcnt lgkmcnt(0)
	; wave barrier
	s_waitcnt lgkmcnt(0)
	s_and_saveexec_b64 s[4:5], s[2:3]
	s_cbranch_execz .LBB48_35
; %bb.28:
	ds_read_b128 v[2:5], v9
	s_andn2_b64 vcc, exec, s[6:7]
	s_cbranch_vccnz .LBB48_30
; %bb.29:
	scratch_load_dwordx4 v[156:159], v8, off
	s_waitcnt vmcnt(0) lgkmcnt(0)
	v_mul_f64 v[10:11], v[2:3], v[158:159]
	v_mul_f64 v[6:7], v[4:5], v[158:159]
	v_fmac_f64_e32 v[10:11], v[4:5], v[156:157]
	v_fma_f64 v[2:3], v[2:3], v[156:157], -v[6:7]
	v_mov_b64_e32 v[4:5], v[10:11]
.LBB48_30:
	s_and_saveexec_b64 s[8:9], s[0:1]
	s_cbranch_execz .LBB48_34
; %bb.31:
	v_mov_b32_e32 v7, 0
	v_subrev_u32_e32 v6, 45, v0
	v_add_u32_e32 v7, 0x2d8, v7
	s_movk_i32 s10, 0x5e0
	s_mov_b64 s[0:1], 0
.LBB48_32:                              ; =>This Inner Loop Header: Depth=1
	v_add_u32_e32 v10, -8, v7
	scratch_load_dwordx4 v[156:159], v10, off
	v_mov_b32_e32 v10, s10
	ds_read_b128 v[160:163], v10
	v_add_u32_e32 v6, -1, v6
	s_add_i32 s10, s10, 16
	v_cmp_eq_u32_e32 vcc, 0, v6
	v_add_u32_e32 v7, 16, v7
	s_or_b64 s[0:1], vcc, s[0:1]
	s_waitcnt vmcnt(0) lgkmcnt(0)
	v_mul_f64 v[10:11], v[162:163], v[158:159]
	v_mul_f64 v[12:13], v[160:161], v[158:159]
	v_fma_f64 v[10:11], v[160:161], v[156:157], -v[10:11]
	v_fmac_f64_e32 v[12:13], v[162:163], v[156:157]
	v_add_f64 v[2:3], v[2:3], v[10:11]
	v_add_f64 v[4:5], v[4:5], v[12:13]
	s_andn2_b64 exec, exec, s[0:1]
	s_cbranch_execnz .LBB48_32
; %bb.33:
	s_or_b64 exec, exec, s[0:1]
.LBB48_34:
	s_or_b64 exec, exec, s[8:9]
	v_mov_b32_e32 v6, 0
	ds_read_b128 v[156:159], v6 offset:704
	s_waitcnt lgkmcnt(0)
	v_mul_f64 v[6:7], v[4:5], v[158:159]
	v_mul_f64 v[160:161], v[2:3], v[158:159]
	v_fma_f64 v[158:159], v[2:3], v[156:157], -v[6:7]
	v_fmac_f64_e32 v[160:161], v[4:5], v[156:157]
	scratch_store_dwordx4 off, v[158:161], off offset:704
.LBB48_35:
	;; [unrolled: 63-line block ×10, first 2 shown]
	s_or_b64 exec, exec, s[4:5]
	scratch_load_dwordx4 v[2:5], v22, off
	v_cmp_lt_u32_e64 s[0:1], 35, v0
	s_waitcnt vmcnt(0)
	ds_write_b128 v9, v[2:5]
	s_waitcnt lgkmcnt(0)
	; wave barrier
	s_waitcnt lgkmcnt(0)
	s_and_saveexec_b64 s[4:5], s[0:1]
	s_cbranch_execz .LBB48_107
; %bb.100:
	ds_read_b128 v[2:5], v9
	s_andn2_b64 vcc, exec, s[6:7]
	s_cbranch_vccnz .LBB48_102
; %bb.101:
	scratch_load_dwordx4 v[156:159], v8, off
	s_waitcnt vmcnt(0) lgkmcnt(0)
	v_mul_f64 v[10:11], v[2:3], v[158:159]
	v_mul_f64 v[6:7], v[4:5], v[158:159]
	v_fmac_f64_e32 v[10:11], v[4:5], v[156:157]
	v_fma_f64 v[2:3], v[2:3], v[156:157], -v[6:7]
	v_mov_b64_e32 v[4:5], v[10:11]
.LBB48_102:
	s_and_saveexec_b64 s[8:9], s[2:3]
	s_cbranch_execz .LBB48_106
; %bb.103:
	v_mov_b32_e32 v7, 0
	v_subrev_u32_e32 v6, 36, v0
	v_add_u32_e32 v7, 0x248, v7
	s_movk_i32 s10, 0x550
	s_mov_b64 s[2:3], 0
.LBB48_104:                             ; =>This Inner Loop Header: Depth=1
	v_add_u32_e32 v10, -8, v7
	scratch_load_dwordx4 v[156:159], v10, off
	v_mov_b32_e32 v10, s10
	ds_read_b128 v[160:163], v10
	v_add_u32_e32 v6, -1, v6
	s_add_i32 s10, s10, 16
	v_cmp_eq_u32_e32 vcc, 0, v6
	v_add_u32_e32 v7, 16, v7
	s_or_b64 s[2:3], vcc, s[2:3]
	s_waitcnt vmcnt(0) lgkmcnt(0)
	v_mul_f64 v[10:11], v[162:163], v[158:159]
	v_mul_f64 v[12:13], v[160:161], v[158:159]
	v_fma_f64 v[10:11], v[160:161], v[156:157], -v[10:11]
	v_fmac_f64_e32 v[12:13], v[162:163], v[156:157]
	v_add_f64 v[2:3], v[2:3], v[10:11]
	v_add_f64 v[4:5], v[4:5], v[12:13]
	s_andn2_b64 exec, exec, s[2:3]
	s_cbranch_execnz .LBB48_104
; %bb.105:
	s_or_b64 exec, exec, s[2:3]
.LBB48_106:
	s_or_b64 exec, exec, s[8:9]
	v_mov_b32_e32 v6, 0
	ds_read_b128 v[156:159], v6 offset:560
	s_waitcnt lgkmcnt(0)
	v_mul_f64 v[6:7], v[4:5], v[158:159]
	v_mul_f64 v[160:161], v[2:3], v[158:159]
	v_fma_f64 v[158:159], v[2:3], v[156:157], -v[6:7]
	v_fmac_f64_e32 v[160:161], v[4:5], v[156:157]
	scratch_store_dwordx4 off, v[158:161], off offset:560
.LBB48_107:
	s_or_b64 exec, exec, s[4:5]
	scratch_load_dwordx4 v[2:5], v23, off
	v_cmp_lt_u32_e64 s[2:3], 34, v0
	s_waitcnt vmcnt(0)
	ds_write_b128 v9, v[2:5]
	s_waitcnt lgkmcnt(0)
	; wave barrier
	s_waitcnt lgkmcnt(0)
	s_and_saveexec_b64 s[4:5], s[2:3]
	s_cbranch_execz .LBB48_115
; %bb.108:
	ds_read_b128 v[2:5], v9
	s_andn2_b64 vcc, exec, s[6:7]
	s_cbranch_vccnz .LBB48_110
; %bb.109:
	scratch_load_dwordx4 v[156:159], v8, off
	s_waitcnt vmcnt(0) lgkmcnt(0)
	v_mul_f64 v[10:11], v[2:3], v[158:159]
	v_mul_f64 v[6:7], v[4:5], v[158:159]
	v_fmac_f64_e32 v[10:11], v[4:5], v[156:157]
	v_fma_f64 v[2:3], v[2:3], v[156:157], -v[6:7]
	v_mov_b64_e32 v[4:5], v[10:11]
.LBB48_110:
	s_and_saveexec_b64 s[8:9], s[0:1]
	s_cbranch_execz .LBB48_114
; %bb.111:
	v_mov_b32_e32 v7, 0
	v_subrev_u32_e32 v6, 35, v0
	v_add_u32_e32 v7, 0x238, v7
	s_movk_i32 s10, 0x540
	s_mov_b64 s[0:1], 0
.LBB48_112:                             ; =>This Inner Loop Header: Depth=1
	v_add_u32_e32 v10, -8, v7
	scratch_load_dwordx4 v[156:159], v10, off
	v_mov_b32_e32 v10, s10
	ds_read_b128 v[160:163], v10
	v_add_u32_e32 v6, -1, v6
	s_add_i32 s10, s10, 16
	v_cmp_eq_u32_e32 vcc, 0, v6
	v_add_u32_e32 v7, 16, v7
	s_or_b64 s[0:1], vcc, s[0:1]
	s_waitcnt vmcnt(0) lgkmcnt(0)
	v_mul_f64 v[10:11], v[162:163], v[158:159]
	v_mul_f64 v[12:13], v[160:161], v[158:159]
	v_fma_f64 v[10:11], v[160:161], v[156:157], -v[10:11]
	v_fmac_f64_e32 v[12:13], v[162:163], v[156:157]
	v_add_f64 v[2:3], v[2:3], v[10:11]
	v_add_f64 v[4:5], v[4:5], v[12:13]
	s_andn2_b64 exec, exec, s[0:1]
	s_cbranch_execnz .LBB48_112
; %bb.113:
	s_or_b64 exec, exec, s[0:1]
.LBB48_114:
	s_or_b64 exec, exec, s[8:9]
	v_mov_b32_e32 v6, 0
	ds_read_b128 v[156:159], v6 offset:544
	s_waitcnt lgkmcnt(0)
	v_mul_f64 v[6:7], v[4:5], v[158:159]
	v_mul_f64 v[160:161], v[2:3], v[158:159]
	v_fma_f64 v[158:159], v[2:3], v[156:157], -v[6:7]
	v_fmac_f64_e32 v[160:161], v[4:5], v[156:157]
	scratch_store_dwordx4 off, v[158:161], off offset:544
.LBB48_115:
	;; [unrolled: 63-line block ×20, first 2 shown]
	s_or_b64 exec, exec, s[4:5]
	scratch_load_dwordx4 v[2:5], v141, off
	v_cmp_lt_u32_e64 s[0:1], 15, v0
	s_waitcnt vmcnt(0)
	ds_write_b128 v9, v[2:5]
	s_waitcnt lgkmcnt(0)
	; wave barrier
	s_waitcnt lgkmcnt(0)
	s_and_saveexec_b64 s[4:5], s[0:1]
	s_cbranch_execz .LBB48_267
; %bb.260:
	ds_read_b128 v[2:5], v9
	s_andn2_b64 vcc, exec, s[6:7]
	s_cbranch_vccnz .LBB48_262
; %bb.261:
	scratch_load_dwordx4 v[156:159], v8, off
	s_waitcnt vmcnt(0) lgkmcnt(0)
	v_mul_f64 v[10:11], v[2:3], v[158:159]
	v_mul_f64 v[6:7], v[4:5], v[158:159]
	v_fmac_f64_e32 v[10:11], v[4:5], v[156:157]
	v_fma_f64 v[2:3], v[2:3], v[156:157], -v[6:7]
	v_mov_b64_e32 v[4:5], v[10:11]
.LBB48_262:
	s_and_saveexec_b64 s[8:9], s[2:3]
	s_cbranch_execz .LBB48_266
; %bb.263:
	v_mov_b32_e32 v7, 0
	v_add_u32_e32 v6, -16, v0
	v_add_u32_e32 v7, 0x108, v7
	s_movk_i32 s10, 0x410
	s_mov_b64 s[2:3], 0
.LBB48_264:                             ; =>This Inner Loop Header: Depth=1
	v_add_u32_e32 v10, -8, v7
	scratch_load_dwordx4 v[156:159], v10, off
	v_mov_b32_e32 v10, s10
	ds_read_b128 v[160:163], v10
	v_add_u32_e32 v6, -1, v6
	s_add_i32 s10, s10, 16
	v_cmp_eq_u32_e32 vcc, 0, v6
	v_add_u32_e32 v7, 16, v7
	s_or_b64 s[2:3], vcc, s[2:3]
	s_waitcnt vmcnt(0) lgkmcnt(0)
	v_mul_f64 v[10:11], v[162:163], v[158:159]
	v_mul_f64 v[12:13], v[160:161], v[158:159]
	v_fma_f64 v[10:11], v[160:161], v[156:157], -v[10:11]
	v_fmac_f64_e32 v[12:13], v[162:163], v[156:157]
	v_add_f64 v[2:3], v[2:3], v[10:11]
	v_add_f64 v[4:5], v[4:5], v[12:13]
	s_andn2_b64 exec, exec, s[2:3]
	s_cbranch_execnz .LBB48_264
; %bb.265:
	s_or_b64 exec, exec, s[2:3]
.LBB48_266:
	s_or_b64 exec, exec, s[8:9]
	v_mov_b32_e32 v6, 0
	ds_read_b128 v[156:159], v6 offset:240
	s_waitcnt lgkmcnt(0)
	v_mul_f64 v[6:7], v[4:5], v[158:159]
	v_mul_f64 v[160:161], v[2:3], v[158:159]
	v_fma_f64 v[158:159], v[2:3], v[156:157], -v[6:7]
	v_fmac_f64_e32 v[160:161], v[4:5], v[156:157]
	scratch_store_dwordx4 off, v[158:161], off offset:240
.LBB48_267:
	s_or_b64 exec, exec, s[4:5]
	scratch_load_dwordx4 v[2:5], v142, off
	v_cmp_lt_u32_e64 s[2:3], 14, v0
	s_waitcnt vmcnt(0)
	ds_write_b128 v9, v[2:5]
	s_waitcnt lgkmcnt(0)
	; wave barrier
	s_waitcnt lgkmcnt(0)
	s_and_saveexec_b64 s[4:5], s[2:3]
	s_cbranch_execz .LBB48_275
; %bb.268:
	ds_read_b128 v[2:5], v9
	s_andn2_b64 vcc, exec, s[6:7]
	s_cbranch_vccnz .LBB48_270
; %bb.269:
	scratch_load_dwordx4 v[156:159], v8, off
	s_waitcnt vmcnt(0) lgkmcnt(0)
	v_mul_f64 v[10:11], v[2:3], v[158:159]
	v_mul_f64 v[6:7], v[4:5], v[158:159]
	v_fmac_f64_e32 v[10:11], v[4:5], v[156:157]
	v_fma_f64 v[2:3], v[2:3], v[156:157], -v[6:7]
	v_mov_b64_e32 v[4:5], v[10:11]
.LBB48_270:
	s_and_saveexec_b64 s[8:9], s[0:1]
	s_cbranch_execz .LBB48_274
; %bb.271:
	v_mov_b32_e32 v7, 0
	v_add_u32_e32 v6, -15, v0
	v_add_u32_e32 v7, 0xf8, v7
	s_movk_i32 s10, 0x400
	s_mov_b64 s[0:1], 0
.LBB48_272:                             ; =>This Inner Loop Header: Depth=1
	v_add_u32_e32 v10, -8, v7
	scratch_load_dwordx4 v[156:159], v10, off
	v_mov_b32_e32 v10, s10
	ds_read_b128 v[160:163], v10
	v_add_u32_e32 v6, -1, v6
	s_add_i32 s10, s10, 16
	v_cmp_eq_u32_e32 vcc, 0, v6
	v_add_u32_e32 v7, 16, v7
	s_or_b64 s[0:1], vcc, s[0:1]
	s_waitcnt vmcnt(0) lgkmcnt(0)
	v_mul_f64 v[10:11], v[162:163], v[158:159]
	v_mul_f64 v[12:13], v[160:161], v[158:159]
	v_fma_f64 v[10:11], v[160:161], v[156:157], -v[10:11]
	v_fmac_f64_e32 v[12:13], v[162:163], v[156:157]
	v_add_f64 v[2:3], v[2:3], v[10:11]
	v_add_f64 v[4:5], v[4:5], v[12:13]
	s_andn2_b64 exec, exec, s[0:1]
	s_cbranch_execnz .LBB48_272
; %bb.273:
	s_or_b64 exec, exec, s[0:1]
.LBB48_274:
	s_or_b64 exec, exec, s[8:9]
	v_mov_b32_e32 v6, 0
	ds_read_b128 v[156:159], v6 offset:224
	s_waitcnt lgkmcnt(0)
	v_mul_f64 v[6:7], v[4:5], v[158:159]
	v_mul_f64 v[160:161], v[2:3], v[158:159]
	v_fma_f64 v[158:159], v[2:3], v[156:157], -v[6:7]
	v_fmac_f64_e32 v[160:161], v[4:5], v[156:157]
	scratch_store_dwordx4 off, v[158:161], off offset:224
.LBB48_275:
	s_or_b64 exec, exec, s[4:5]
	scratch_load_dwordx4 v[2:5], v143, off
	v_cmp_lt_u32_e64 s[0:1], 13, v0
	s_waitcnt vmcnt(0)
	ds_write_b128 v9, v[2:5]
	s_waitcnt lgkmcnt(0)
	; wave barrier
	s_waitcnt lgkmcnt(0)
	s_and_saveexec_b64 s[4:5], s[0:1]
	s_cbranch_execz .LBB48_283
; %bb.276:
	ds_read_b128 v[2:5], v9
	s_andn2_b64 vcc, exec, s[6:7]
	s_cbranch_vccnz .LBB48_278
; %bb.277:
	scratch_load_dwordx4 v[156:159], v8, off
	s_waitcnt vmcnt(0) lgkmcnt(0)
	v_mul_f64 v[10:11], v[2:3], v[158:159]
	v_mul_f64 v[6:7], v[4:5], v[158:159]
	v_fmac_f64_e32 v[10:11], v[4:5], v[156:157]
	v_fma_f64 v[2:3], v[2:3], v[156:157], -v[6:7]
	v_mov_b64_e32 v[4:5], v[10:11]
.LBB48_278:
	s_and_saveexec_b64 s[8:9], s[2:3]
	s_cbranch_execz .LBB48_282
; %bb.279:
	v_mov_b32_e32 v7, 0
	v_add_u32_e32 v6, -14, v0
	v_add_u32_e32 v7, 0xe8, v7
	s_movk_i32 s10, 0x3f0
	s_mov_b64 s[2:3], 0
.LBB48_280:                             ; =>This Inner Loop Header: Depth=1
	v_add_u32_e32 v10, -8, v7
	scratch_load_dwordx4 v[156:159], v10, off
	v_mov_b32_e32 v10, s10
	ds_read_b128 v[160:163], v10
	v_add_u32_e32 v6, -1, v6
	s_add_i32 s10, s10, 16
	v_cmp_eq_u32_e32 vcc, 0, v6
	v_add_u32_e32 v7, 16, v7
	s_or_b64 s[2:3], vcc, s[2:3]
	s_waitcnt vmcnt(0) lgkmcnt(0)
	v_mul_f64 v[10:11], v[162:163], v[158:159]
	v_mul_f64 v[12:13], v[160:161], v[158:159]
	v_fma_f64 v[10:11], v[160:161], v[156:157], -v[10:11]
	v_fmac_f64_e32 v[12:13], v[162:163], v[156:157]
	v_add_f64 v[2:3], v[2:3], v[10:11]
	v_add_f64 v[4:5], v[4:5], v[12:13]
	s_andn2_b64 exec, exec, s[2:3]
	s_cbranch_execnz .LBB48_280
; %bb.281:
	s_or_b64 exec, exec, s[2:3]
.LBB48_282:
	s_or_b64 exec, exec, s[8:9]
	v_mov_b32_e32 v6, 0
	ds_read_b128 v[156:159], v6 offset:208
	s_waitcnt lgkmcnt(0)
	v_mul_f64 v[6:7], v[4:5], v[158:159]
	v_mul_f64 v[160:161], v[2:3], v[158:159]
	v_fma_f64 v[158:159], v[2:3], v[156:157], -v[6:7]
	v_fmac_f64_e32 v[160:161], v[4:5], v[156:157]
	scratch_store_dwordx4 off, v[158:161], off offset:208
.LBB48_283:
	s_or_b64 exec, exec, s[4:5]
	scratch_load_dwordx4 v[2:5], v144, off
	v_cmp_lt_u32_e64 s[2:3], 12, v0
	s_waitcnt vmcnt(0)
	ds_write_b128 v9, v[2:5]
	s_waitcnt lgkmcnt(0)
	; wave barrier
	s_waitcnt lgkmcnt(0)
	s_and_saveexec_b64 s[4:5], s[2:3]
	s_cbranch_execz .LBB48_291
; %bb.284:
	ds_read_b128 v[2:5], v9
	s_andn2_b64 vcc, exec, s[6:7]
	s_cbranch_vccnz .LBB48_286
; %bb.285:
	scratch_load_dwordx4 v[156:159], v8, off
	s_waitcnt vmcnt(0) lgkmcnt(0)
	v_mul_f64 v[10:11], v[2:3], v[158:159]
	v_mul_f64 v[6:7], v[4:5], v[158:159]
	v_fmac_f64_e32 v[10:11], v[4:5], v[156:157]
	v_fma_f64 v[2:3], v[2:3], v[156:157], -v[6:7]
	v_mov_b64_e32 v[4:5], v[10:11]
.LBB48_286:
	s_and_saveexec_b64 s[8:9], s[0:1]
	s_cbranch_execz .LBB48_290
; %bb.287:
	v_mov_b32_e32 v7, 0
	v_add_u32_e32 v6, -13, v0
	v_add_u32_e32 v7, 0xd8, v7
	s_movk_i32 s10, 0x3e0
	s_mov_b64 s[0:1], 0
.LBB48_288:                             ; =>This Inner Loop Header: Depth=1
	v_add_u32_e32 v10, -8, v7
	scratch_load_dwordx4 v[156:159], v10, off
	v_mov_b32_e32 v10, s10
	ds_read_b128 v[160:163], v10
	v_add_u32_e32 v6, -1, v6
	s_add_i32 s10, s10, 16
	v_cmp_eq_u32_e32 vcc, 0, v6
	v_add_u32_e32 v7, 16, v7
	s_or_b64 s[0:1], vcc, s[0:1]
	s_waitcnt vmcnt(0) lgkmcnt(0)
	v_mul_f64 v[10:11], v[162:163], v[158:159]
	v_mul_f64 v[12:13], v[160:161], v[158:159]
	v_fma_f64 v[10:11], v[160:161], v[156:157], -v[10:11]
	v_fmac_f64_e32 v[12:13], v[162:163], v[156:157]
	v_add_f64 v[2:3], v[2:3], v[10:11]
	v_add_f64 v[4:5], v[4:5], v[12:13]
	s_andn2_b64 exec, exec, s[0:1]
	s_cbranch_execnz .LBB48_288
; %bb.289:
	s_or_b64 exec, exec, s[0:1]
.LBB48_290:
	s_or_b64 exec, exec, s[8:9]
	v_mov_b32_e32 v6, 0
	ds_read_b128 v[156:159], v6 offset:192
	s_waitcnt lgkmcnt(0)
	v_mul_f64 v[6:7], v[4:5], v[158:159]
	v_mul_f64 v[160:161], v[2:3], v[158:159]
	v_fma_f64 v[158:159], v[2:3], v[156:157], -v[6:7]
	v_fmac_f64_e32 v[160:161], v[4:5], v[156:157]
	scratch_store_dwordx4 off, v[158:161], off offset:192
.LBB48_291:
	s_or_b64 exec, exec, s[4:5]
	scratch_load_dwordx4 v[2:5], v145, off
	v_cmp_lt_u32_e64 s[0:1], 11, v0
	s_waitcnt vmcnt(0)
	ds_write_b128 v9, v[2:5]
	s_waitcnt lgkmcnt(0)
	; wave barrier
	s_waitcnt lgkmcnt(0)
	s_and_saveexec_b64 s[4:5], s[0:1]
	s_cbranch_execz .LBB48_299
; %bb.292:
	ds_read_b128 v[2:5], v9
	s_andn2_b64 vcc, exec, s[6:7]
	s_cbranch_vccnz .LBB48_294
; %bb.293:
	scratch_load_dwordx4 v[156:159], v8, off
	s_waitcnt vmcnt(0) lgkmcnt(0)
	v_mul_f64 v[10:11], v[2:3], v[158:159]
	v_mul_f64 v[6:7], v[4:5], v[158:159]
	v_fmac_f64_e32 v[10:11], v[4:5], v[156:157]
	v_fma_f64 v[2:3], v[2:3], v[156:157], -v[6:7]
	v_mov_b64_e32 v[4:5], v[10:11]
.LBB48_294:
	s_and_saveexec_b64 s[8:9], s[2:3]
	s_cbranch_execz .LBB48_298
; %bb.295:
	v_mov_b32_e32 v7, 0
	v_add_u32_e32 v6, -12, v0
	v_add_u32_e32 v7, 0xc8, v7
	s_movk_i32 s10, 0x3d0
	s_mov_b64 s[2:3], 0
.LBB48_296:                             ; =>This Inner Loop Header: Depth=1
	v_add_u32_e32 v10, -8, v7
	scratch_load_dwordx4 v[156:159], v10, off
	v_mov_b32_e32 v10, s10
	ds_read_b128 v[160:163], v10
	v_add_u32_e32 v6, -1, v6
	s_add_i32 s10, s10, 16
	v_cmp_eq_u32_e32 vcc, 0, v6
	v_add_u32_e32 v7, 16, v7
	s_or_b64 s[2:3], vcc, s[2:3]
	s_waitcnt vmcnt(0) lgkmcnt(0)
	v_mul_f64 v[10:11], v[162:163], v[158:159]
	v_mul_f64 v[12:13], v[160:161], v[158:159]
	v_fma_f64 v[10:11], v[160:161], v[156:157], -v[10:11]
	v_fmac_f64_e32 v[12:13], v[162:163], v[156:157]
	v_add_f64 v[2:3], v[2:3], v[10:11]
	v_add_f64 v[4:5], v[4:5], v[12:13]
	s_andn2_b64 exec, exec, s[2:3]
	s_cbranch_execnz .LBB48_296
; %bb.297:
	s_or_b64 exec, exec, s[2:3]
.LBB48_298:
	s_or_b64 exec, exec, s[8:9]
	v_mov_b32_e32 v6, 0
	ds_read_b128 v[156:159], v6 offset:176
	s_waitcnt lgkmcnt(0)
	v_mul_f64 v[6:7], v[4:5], v[158:159]
	v_mul_f64 v[160:161], v[2:3], v[158:159]
	v_fma_f64 v[158:159], v[2:3], v[156:157], -v[6:7]
	v_fmac_f64_e32 v[160:161], v[4:5], v[156:157]
	scratch_store_dwordx4 off, v[158:161], off offset:176
.LBB48_299:
	s_or_b64 exec, exec, s[4:5]
	scratch_load_dwordx4 v[2:5], v146, off
	v_cmp_lt_u32_e64 s[2:3], 10, v0
	s_waitcnt vmcnt(0)
	ds_write_b128 v9, v[2:5]
	s_waitcnt lgkmcnt(0)
	; wave barrier
	s_waitcnt lgkmcnt(0)
	s_and_saveexec_b64 s[4:5], s[2:3]
	s_cbranch_execz .LBB48_307
; %bb.300:
	ds_read_b128 v[2:5], v9
	s_andn2_b64 vcc, exec, s[6:7]
	s_cbranch_vccnz .LBB48_302
; %bb.301:
	scratch_load_dwordx4 v[156:159], v8, off
	s_waitcnt vmcnt(0) lgkmcnt(0)
	v_mul_f64 v[10:11], v[2:3], v[158:159]
	v_mul_f64 v[6:7], v[4:5], v[158:159]
	v_fmac_f64_e32 v[10:11], v[4:5], v[156:157]
	v_fma_f64 v[2:3], v[2:3], v[156:157], -v[6:7]
	v_mov_b64_e32 v[4:5], v[10:11]
.LBB48_302:
	s_and_saveexec_b64 s[8:9], s[0:1]
	s_cbranch_execz .LBB48_306
; %bb.303:
	v_mov_b32_e32 v7, 0
	v_add_u32_e32 v6, -11, v0
	v_add_u32_e32 v7, 0xb8, v7
	s_movk_i32 s10, 0x3c0
	s_mov_b64 s[0:1], 0
.LBB48_304:                             ; =>This Inner Loop Header: Depth=1
	v_add_u32_e32 v10, -8, v7
	scratch_load_dwordx4 v[156:159], v10, off
	v_mov_b32_e32 v10, s10
	ds_read_b128 v[160:163], v10
	v_add_u32_e32 v6, -1, v6
	s_add_i32 s10, s10, 16
	v_cmp_eq_u32_e32 vcc, 0, v6
	v_add_u32_e32 v7, 16, v7
	s_or_b64 s[0:1], vcc, s[0:1]
	s_waitcnt vmcnt(0) lgkmcnt(0)
	v_mul_f64 v[10:11], v[162:163], v[158:159]
	v_mul_f64 v[12:13], v[160:161], v[158:159]
	v_fma_f64 v[10:11], v[160:161], v[156:157], -v[10:11]
	v_fmac_f64_e32 v[12:13], v[162:163], v[156:157]
	v_add_f64 v[2:3], v[2:3], v[10:11]
	v_add_f64 v[4:5], v[4:5], v[12:13]
	s_andn2_b64 exec, exec, s[0:1]
	s_cbranch_execnz .LBB48_304
; %bb.305:
	s_or_b64 exec, exec, s[0:1]
.LBB48_306:
	s_or_b64 exec, exec, s[8:9]
	v_mov_b32_e32 v6, 0
	ds_read_b128 v[156:159], v6 offset:160
	s_waitcnt lgkmcnt(0)
	v_mul_f64 v[6:7], v[4:5], v[158:159]
	v_mul_f64 v[160:161], v[2:3], v[158:159]
	v_fma_f64 v[158:159], v[2:3], v[156:157], -v[6:7]
	v_fmac_f64_e32 v[160:161], v[4:5], v[156:157]
	scratch_store_dwordx4 off, v[158:161], off offset:160
.LBB48_307:
	s_or_b64 exec, exec, s[4:5]
	scratch_load_dwordx4 v[2:5], v147, off
	v_cmp_lt_u32_e64 s[0:1], 9, v0
	s_waitcnt vmcnt(0)
	ds_write_b128 v9, v[2:5]
	s_waitcnt lgkmcnt(0)
	; wave barrier
	s_waitcnt lgkmcnt(0)
	s_and_saveexec_b64 s[4:5], s[0:1]
	s_cbranch_execz .LBB48_315
; %bb.308:
	ds_read_b128 v[2:5], v9
	s_andn2_b64 vcc, exec, s[6:7]
	s_cbranch_vccnz .LBB48_310
; %bb.309:
	scratch_load_dwordx4 v[156:159], v8, off
	s_waitcnt vmcnt(0) lgkmcnt(0)
	v_mul_f64 v[10:11], v[2:3], v[158:159]
	v_mul_f64 v[6:7], v[4:5], v[158:159]
	v_fmac_f64_e32 v[10:11], v[4:5], v[156:157]
	v_fma_f64 v[2:3], v[2:3], v[156:157], -v[6:7]
	v_mov_b64_e32 v[4:5], v[10:11]
.LBB48_310:
	s_and_saveexec_b64 s[8:9], s[2:3]
	s_cbranch_execz .LBB48_314
; %bb.311:
	v_mov_b32_e32 v7, 0
	v_add_u32_e32 v6, -10, v0
	v_add_u32_e32 v7, 0xa8, v7
	s_movk_i32 s10, 0x3b0
	s_mov_b64 s[2:3], 0
.LBB48_312:                             ; =>This Inner Loop Header: Depth=1
	v_add_u32_e32 v10, -8, v7
	scratch_load_dwordx4 v[156:159], v10, off
	v_mov_b32_e32 v10, s10
	ds_read_b128 v[160:163], v10
	v_add_u32_e32 v6, -1, v6
	s_add_i32 s10, s10, 16
	v_cmp_eq_u32_e32 vcc, 0, v6
	v_add_u32_e32 v7, 16, v7
	s_or_b64 s[2:3], vcc, s[2:3]
	s_waitcnt vmcnt(0) lgkmcnt(0)
	v_mul_f64 v[10:11], v[162:163], v[158:159]
	v_mul_f64 v[12:13], v[160:161], v[158:159]
	v_fma_f64 v[10:11], v[160:161], v[156:157], -v[10:11]
	v_fmac_f64_e32 v[12:13], v[162:163], v[156:157]
	v_add_f64 v[2:3], v[2:3], v[10:11]
	v_add_f64 v[4:5], v[4:5], v[12:13]
	s_andn2_b64 exec, exec, s[2:3]
	s_cbranch_execnz .LBB48_312
; %bb.313:
	s_or_b64 exec, exec, s[2:3]
.LBB48_314:
	s_or_b64 exec, exec, s[8:9]
	v_mov_b32_e32 v6, 0
	ds_read_b128 v[156:159], v6 offset:144
	s_waitcnt lgkmcnt(0)
	v_mul_f64 v[6:7], v[4:5], v[158:159]
	v_mul_f64 v[160:161], v[2:3], v[158:159]
	v_fma_f64 v[158:159], v[2:3], v[156:157], -v[6:7]
	v_fmac_f64_e32 v[160:161], v[4:5], v[156:157]
	scratch_store_dwordx4 off, v[158:161], off offset:144
.LBB48_315:
	s_or_b64 exec, exec, s[4:5]
	scratch_load_dwordx4 v[2:5], v148, off
	v_cmp_lt_u32_e64 s[2:3], 8, v0
	s_waitcnt vmcnt(0)
	ds_write_b128 v9, v[2:5]
	s_waitcnt lgkmcnt(0)
	; wave barrier
	s_waitcnt lgkmcnt(0)
	s_and_saveexec_b64 s[4:5], s[2:3]
	s_cbranch_execz .LBB48_323
; %bb.316:
	ds_read_b128 v[2:5], v9
	s_andn2_b64 vcc, exec, s[6:7]
	s_cbranch_vccnz .LBB48_318
; %bb.317:
	scratch_load_dwordx4 v[156:159], v8, off
	s_waitcnt vmcnt(0) lgkmcnt(0)
	v_mul_f64 v[10:11], v[2:3], v[158:159]
	v_mul_f64 v[6:7], v[4:5], v[158:159]
	v_fmac_f64_e32 v[10:11], v[4:5], v[156:157]
	v_fma_f64 v[2:3], v[2:3], v[156:157], -v[6:7]
	v_mov_b64_e32 v[4:5], v[10:11]
.LBB48_318:
	s_and_saveexec_b64 s[8:9], s[0:1]
	s_cbranch_execz .LBB48_322
; %bb.319:
	v_mov_b32_e32 v7, 0
	v_add_u32_e32 v6, -9, v0
	v_add_u32_e32 v7, 0x98, v7
	s_movk_i32 s10, 0x3a0
	s_mov_b64 s[0:1], 0
.LBB48_320:                             ; =>This Inner Loop Header: Depth=1
	v_add_u32_e32 v10, -8, v7
	scratch_load_dwordx4 v[156:159], v10, off
	v_mov_b32_e32 v10, s10
	ds_read_b128 v[160:163], v10
	v_add_u32_e32 v6, -1, v6
	s_add_i32 s10, s10, 16
	v_cmp_eq_u32_e32 vcc, 0, v6
	v_add_u32_e32 v7, 16, v7
	s_or_b64 s[0:1], vcc, s[0:1]
	s_waitcnt vmcnt(0) lgkmcnt(0)
	v_mul_f64 v[10:11], v[162:163], v[158:159]
	v_mul_f64 v[12:13], v[160:161], v[158:159]
	v_fma_f64 v[10:11], v[160:161], v[156:157], -v[10:11]
	v_fmac_f64_e32 v[12:13], v[162:163], v[156:157]
	v_add_f64 v[2:3], v[2:3], v[10:11]
	v_add_f64 v[4:5], v[4:5], v[12:13]
	s_andn2_b64 exec, exec, s[0:1]
	s_cbranch_execnz .LBB48_320
; %bb.321:
	s_or_b64 exec, exec, s[0:1]
.LBB48_322:
	s_or_b64 exec, exec, s[8:9]
	v_mov_b32_e32 v6, 0
	ds_read_b128 v[156:159], v6 offset:128
	s_waitcnt lgkmcnt(0)
	v_mul_f64 v[6:7], v[4:5], v[158:159]
	v_mul_f64 v[160:161], v[2:3], v[158:159]
	v_fma_f64 v[158:159], v[2:3], v[156:157], -v[6:7]
	v_fmac_f64_e32 v[160:161], v[4:5], v[156:157]
	scratch_store_dwordx4 off, v[158:161], off offset:128
.LBB48_323:
	s_or_b64 exec, exec, s[4:5]
	scratch_load_dwordx4 v[2:5], v149, off
	v_cmp_lt_u32_e64 s[0:1], 7, v0
	s_waitcnt vmcnt(0)
	ds_write_b128 v9, v[2:5]
	s_waitcnt lgkmcnt(0)
	; wave barrier
	s_waitcnt lgkmcnt(0)
	s_and_saveexec_b64 s[4:5], s[0:1]
	s_cbranch_execz .LBB48_331
; %bb.324:
	ds_read_b128 v[2:5], v9
	s_andn2_b64 vcc, exec, s[6:7]
	s_cbranch_vccnz .LBB48_326
; %bb.325:
	scratch_load_dwordx4 v[156:159], v8, off
	s_waitcnt vmcnt(0) lgkmcnt(0)
	v_mul_f64 v[10:11], v[2:3], v[158:159]
	v_mul_f64 v[6:7], v[4:5], v[158:159]
	v_fmac_f64_e32 v[10:11], v[4:5], v[156:157]
	v_fma_f64 v[2:3], v[2:3], v[156:157], -v[6:7]
	v_mov_b64_e32 v[4:5], v[10:11]
.LBB48_326:
	s_and_saveexec_b64 s[8:9], s[2:3]
	s_cbranch_execz .LBB48_330
; %bb.327:
	v_mov_b32_e32 v7, 0
	v_add_u32_e32 v6, -8, v0
	v_add_u32_e32 v7, 0x88, v7
	s_movk_i32 s10, 0x390
	s_mov_b64 s[2:3], 0
.LBB48_328:                             ; =>This Inner Loop Header: Depth=1
	v_add_u32_e32 v10, -8, v7
	scratch_load_dwordx4 v[156:159], v10, off
	v_mov_b32_e32 v10, s10
	ds_read_b128 v[160:163], v10
	v_add_u32_e32 v6, -1, v6
	s_add_i32 s10, s10, 16
	v_cmp_eq_u32_e32 vcc, 0, v6
	v_add_u32_e32 v7, 16, v7
	s_or_b64 s[2:3], vcc, s[2:3]
	s_waitcnt vmcnt(0) lgkmcnt(0)
	v_mul_f64 v[10:11], v[162:163], v[158:159]
	v_mul_f64 v[12:13], v[160:161], v[158:159]
	v_fma_f64 v[10:11], v[160:161], v[156:157], -v[10:11]
	v_fmac_f64_e32 v[12:13], v[162:163], v[156:157]
	v_add_f64 v[2:3], v[2:3], v[10:11]
	v_add_f64 v[4:5], v[4:5], v[12:13]
	s_andn2_b64 exec, exec, s[2:3]
	s_cbranch_execnz .LBB48_328
; %bb.329:
	s_or_b64 exec, exec, s[2:3]
.LBB48_330:
	s_or_b64 exec, exec, s[8:9]
	v_mov_b32_e32 v6, 0
	ds_read_b128 v[156:159], v6 offset:112
	s_waitcnt lgkmcnt(0)
	v_mul_f64 v[6:7], v[4:5], v[158:159]
	v_mul_f64 v[160:161], v[2:3], v[158:159]
	v_fma_f64 v[158:159], v[2:3], v[156:157], -v[6:7]
	v_fmac_f64_e32 v[160:161], v[4:5], v[156:157]
	scratch_store_dwordx4 off, v[158:161], off offset:112
.LBB48_331:
	s_or_b64 exec, exec, s[4:5]
	scratch_load_dwordx4 v[2:5], v150, off
	v_cmp_lt_u32_e64 s[2:3], 6, v0
	s_waitcnt vmcnt(0)
	ds_write_b128 v9, v[2:5]
	s_waitcnt lgkmcnt(0)
	; wave barrier
	s_waitcnt lgkmcnt(0)
	s_and_saveexec_b64 s[4:5], s[2:3]
	s_cbranch_execz .LBB48_339
; %bb.332:
	ds_read_b128 v[2:5], v9
	s_andn2_b64 vcc, exec, s[6:7]
	s_cbranch_vccnz .LBB48_334
; %bb.333:
	scratch_load_dwordx4 v[156:159], v8, off
	s_waitcnt vmcnt(0) lgkmcnt(0)
	v_mul_f64 v[10:11], v[2:3], v[158:159]
	v_mul_f64 v[6:7], v[4:5], v[158:159]
	v_fmac_f64_e32 v[10:11], v[4:5], v[156:157]
	v_fma_f64 v[2:3], v[2:3], v[156:157], -v[6:7]
	v_mov_b64_e32 v[4:5], v[10:11]
.LBB48_334:
	s_and_saveexec_b64 s[8:9], s[0:1]
	s_cbranch_execz .LBB48_338
; %bb.335:
	v_mov_b32_e32 v7, 0
	v_add_u32_e32 v6, -7, v0
	v_add_u32_e32 v7, 0x78, v7
	s_movk_i32 s10, 0x380
	s_mov_b64 s[0:1], 0
.LBB48_336:                             ; =>This Inner Loop Header: Depth=1
	v_add_u32_e32 v10, -8, v7
	scratch_load_dwordx4 v[156:159], v10, off
	v_mov_b32_e32 v10, s10
	ds_read_b128 v[160:163], v10
	v_add_u32_e32 v6, -1, v6
	s_add_i32 s10, s10, 16
	v_cmp_eq_u32_e32 vcc, 0, v6
	v_add_u32_e32 v7, 16, v7
	s_or_b64 s[0:1], vcc, s[0:1]
	s_waitcnt vmcnt(0) lgkmcnt(0)
	v_mul_f64 v[10:11], v[162:163], v[158:159]
	v_mul_f64 v[12:13], v[160:161], v[158:159]
	v_fma_f64 v[10:11], v[160:161], v[156:157], -v[10:11]
	v_fmac_f64_e32 v[12:13], v[162:163], v[156:157]
	v_add_f64 v[2:3], v[2:3], v[10:11]
	v_add_f64 v[4:5], v[4:5], v[12:13]
	s_andn2_b64 exec, exec, s[0:1]
	s_cbranch_execnz .LBB48_336
; %bb.337:
	s_or_b64 exec, exec, s[0:1]
.LBB48_338:
	s_or_b64 exec, exec, s[8:9]
	v_mov_b32_e32 v6, 0
	ds_read_b128 v[156:159], v6 offset:96
	s_waitcnt lgkmcnt(0)
	v_mul_f64 v[6:7], v[4:5], v[158:159]
	v_mul_f64 v[160:161], v[2:3], v[158:159]
	v_fma_f64 v[158:159], v[2:3], v[156:157], -v[6:7]
	v_fmac_f64_e32 v[160:161], v[4:5], v[156:157]
	scratch_store_dwordx4 off, v[158:161], off offset:96
.LBB48_339:
	s_or_b64 exec, exec, s[4:5]
	scratch_load_dwordx4 v[2:5], v151, off
	v_cmp_lt_u32_e64 s[0:1], 5, v0
	s_waitcnt vmcnt(0)
	ds_write_b128 v9, v[2:5]
	s_waitcnt lgkmcnt(0)
	; wave barrier
	s_waitcnt lgkmcnt(0)
	s_and_saveexec_b64 s[4:5], s[0:1]
	s_cbranch_execz .LBB48_347
; %bb.340:
	ds_read_b128 v[2:5], v9
	s_andn2_b64 vcc, exec, s[6:7]
	s_cbranch_vccnz .LBB48_342
; %bb.341:
	scratch_load_dwordx4 v[156:159], v8, off
	s_waitcnt vmcnt(0) lgkmcnt(0)
	v_mul_f64 v[10:11], v[2:3], v[158:159]
	v_mul_f64 v[6:7], v[4:5], v[158:159]
	v_fmac_f64_e32 v[10:11], v[4:5], v[156:157]
	v_fma_f64 v[2:3], v[2:3], v[156:157], -v[6:7]
	v_mov_b64_e32 v[4:5], v[10:11]
.LBB48_342:
	s_and_saveexec_b64 s[8:9], s[2:3]
	s_cbranch_execz .LBB48_346
; %bb.343:
	v_mov_b32_e32 v7, 0
	v_add_u32_e32 v6, -6, v0
	v_add_u32_e32 v7, 0x68, v7
	s_movk_i32 s10, 0x370
	s_mov_b64 s[2:3], 0
.LBB48_344:                             ; =>This Inner Loop Header: Depth=1
	v_add_u32_e32 v10, -8, v7
	scratch_load_dwordx4 v[156:159], v10, off
	v_mov_b32_e32 v10, s10
	ds_read_b128 v[160:163], v10
	v_add_u32_e32 v6, -1, v6
	s_add_i32 s10, s10, 16
	v_cmp_eq_u32_e32 vcc, 0, v6
	v_add_u32_e32 v7, 16, v7
	s_or_b64 s[2:3], vcc, s[2:3]
	s_waitcnt vmcnt(0) lgkmcnt(0)
	v_mul_f64 v[10:11], v[162:163], v[158:159]
	v_mul_f64 v[12:13], v[160:161], v[158:159]
	v_fma_f64 v[10:11], v[160:161], v[156:157], -v[10:11]
	v_fmac_f64_e32 v[12:13], v[162:163], v[156:157]
	v_add_f64 v[2:3], v[2:3], v[10:11]
	v_add_f64 v[4:5], v[4:5], v[12:13]
	s_andn2_b64 exec, exec, s[2:3]
	s_cbranch_execnz .LBB48_344
; %bb.345:
	s_or_b64 exec, exec, s[2:3]
.LBB48_346:
	s_or_b64 exec, exec, s[8:9]
	v_mov_b32_e32 v6, 0
	ds_read_b128 v[156:159], v6 offset:80
	s_waitcnt lgkmcnt(0)
	v_mul_f64 v[6:7], v[4:5], v[158:159]
	v_mul_f64 v[160:161], v[2:3], v[158:159]
	v_fma_f64 v[158:159], v[2:3], v[156:157], -v[6:7]
	v_fmac_f64_e32 v[160:161], v[4:5], v[156:157]
	scratch_store_dwordx4 off, v[158:161], off offset:80
.LBB48_347:
	s_or_b64 exec, exec, s[4:5]
	scratch_load_dwordx4 v[2:5], v152, off
	v_cmp_lt_u32_e64 s[2:3], 4, v0
	s_waitcnt vmcnt(0)
	ds_write_b128 v9, v[2:5]
	s_waitcnt lgkmcnt(0)
	; wave barrier
	s_waitcnt lgkmcnt(0)
	s_and_saveexec_b64 s[4:5], s[2:3]
	s_cbranch_execz .LBB48_355
; %bb.348:
	ds_read_b128 v[2:5], v9
	s_andn2_b64 vcc, exec, s[6:7]
	s_cbranch_vccnz .LBB48_350
; %bb.349:
	scratch_load_dwordx4 v[156:159], v8, off
	s_waitcnt vmcnt(0) lgkmcnt(0)
	v_mul_f64 v[10:11], v[2:3], v[158:159]
	v_mul_f64 v[6:7], v[4:5], v[158:159]
	v_fmac_f64_e32 v[10:11], v[4:5], v[156:157]
	v_fma_f64 v[2:3], v[2:3], v[156:157], -v[6:7]
	v_mov_b64_e32 v[4:5], v[10:11]
.LBB48_350:
	s_and_saveexec_b64 s[8:9], s[0:1]
	s_cbranch_execz .LBB48_354
; %bb.351:
	v_mov_b32_e32 v7, 0
	v_add_u32_e32 v6, -5, v0
	v_add_u32_e32 v7, 0x58, v7
	s_movk_i32 s10, 0x360
	s_mov_b64 s[0:1], 0
.LBB48_352:                             ; =>This Inner Loop Header: Depth=1
	v_add_u32_e32 v10, -8, v7
	scratch_load_dwordx4 v[156:159], v10, off
	v_mov_b32_e32 v10, s10
	ds_read_b128 v[160:163], v10
	v_add_u32_e32 v6, -1, v6
	s_add_i32 s10, s10, 16
	v_cmp_eq_u32_e32 vcc, 0, v6
	v_add_u32_e32 v7, 16, v7
	s_or_b64 s[0:1], vcc, s[0:1]
	s_waitcnt vmcnt(0) lgkmcnt(0)
	v_mul_f64 v[10:11], v[162:163], v[158:159]
	v_mul_f64 v[12:13], v[160:161], v[158:159]
	v_fma_f64 v[10:11], v[160:161], v[156:157], -v[10:11]
	v_fmac_f64_e32 v[12:13], v[162:163], v[156:157]
	v_add_f64 v[2:3], v[2:3], v[10:11]
	v_add_f64 v[4:5], v[4:5], v[12:13]
	s_andn2_b64 exec, exec, s[0:1]
	s_cbranch_execnz .LBB48_352
; %bb.353:
	s_or_b64 exec, exec, s[0:1]
.LBB48_354:
	s_or_b64 exec, exec, s[8:9]
	v_mov_b32_e32 v6, 0
	ds_read_b128 v[156:159], v6 offset:64
	s_waitcnt lgkmcnt(0)
	v_mul_f64 v[6:7], v[4:5], v[158:159]
	v_mul_f64 v[160:161], v[2:3], v[158:159]
	v_fma_f64 v[158:159], v[2:3], v[156:157], -v[6:7]
	v_fmac_f64_e32 v[160:161], v[4:5], v[156:157]
	scratch_store_dwordx4 off, v[158:161], off offset:64
.LBB48_355:
	s_or_b64 exec, exec, s[4:5]
	scratch_load_dwordx4 v[2:5], v153, off
	v_cmp_lt_u32_e64 s[0:1], 3, v0
	s_waitcnt vmcnt(0)
	ds_write_b128 v9, v[2:5]
	s_waitcnt lgkmcnt(0)
	; wave barrier
	s_waitcnt lgkmcnt(0)
	s_and_saveexec_b64 s[4:5], s[0:1]
	s_cbranch_execz .LBB48_363
; %bb.356:
	ds_read_b128 v[2:5], v9
	s_andn2_b64 vcc, exec, s[6:7]
	s_cbranch_vccnz .LBB48_358
; %bb.357:
	scratch_load_dwordx4 v[156:159], v8, off
	s_waitcnt vmcnt(0) lgkmcnt(0)
	v_mul_f64 v[10:11], v[2:3], v[158:159]
	v_mul_f64 v[6:7], v[4:5], v[158:159]
	v_fmac_f64_e32 v[10:11], v[4:5], v[156:157]
	v_fma_f64 v[2:3], v[2:3], v[156:157], -v[6:7]
	v_mov_b64_e32 v[4:5], v[10:11]
.LBB48_358:
	s_and_saveexec_b64 s[8:9], s[2:3]
	s_cbranch_execz .LBB48_362
; %bb.359:
	v_mov_b32_e32 v7, 0
	v_add_u32_e32 v6, -4, v0
	v_add_u32_e32 v7, 0x48, v7
	s_movk_i32 s10, 0x350
	s_mov_b64 s[2:3], 0
.LBB48_360:                             ; =>This Inner Loop Header: Depth=1
	v_add_u32_e32 v10, -8, v7
	scratch_load_dwordx4 v[156:159], v10, off
	v_mov_b32_e32 v10, s10
	ds_read_b128 v[160:163], v10
	v_add_u32_e32 v6, -1, v6
	s_add_i32 s10, s10, 16
	v_cmp_eq_u32_e32 vcc, 0, v6
	v_add_u32_e32 v7, 16, v7
	s_or_b64 s[2:3], vcc, s[2:3]
	s_waitcnt vmcnt(0) lgkmcnt(0)
	v_mul_f64 v[10:11], v[162:163], v[158:159]
	v_mul_f64 v[12:13], v[160:161], v[158:159]
	v_fma_f64 v[10:11], v[160:161], v[156:157], -v[10:11]
	v_fmac_f64_e32 v[12:13], v[162:163], v[156:157]
	v_add_f64 v[2:3], v[2:3], v[10:11]
	v_add_f64 v[4:5], v[4:5], v[12:13]
	s_andn2_b64 exec, exec, s[2:3]
	s_cbranch_execnz .LBB48_360
; %bb.361:
	s_or_b64 exec, exec, s[2:3]
.LBB48_362:
	s_or_b64 exec, exec, s[8:9]
	v_mov_b32_e32 v6, 0
	ds_read_b128 v[156:159], v6 offset:48
	s_waitcnt lgkmcnt(0)
	v_mul_f64 v[6:7], v[4:5], v[158:159]
	v_mul_f64 v[160:161], v[2:3], v[158:159]
	v_fma_f64 v[158:159], v[2:3], v[156:157], -v[6:7]
	v_fmac_f64_e32 v[160:161], v[4:5], v[156:157]
	scratch_store_dwordx4 off, v[158:161], off offset:48
.LBB48_363:
	s_or_b64 exec, exec, s[4:5]
	scratch_load_dwordx4 v[2:5], v154, off
	v_cmp_lt_u32_e64 s[2:3], 2, v0
	s_waitcnt vmcnt(0)
	ds_write_b128 v9, v[2:5]
	s_waitcnt lgkmcnt(0)
	; wave barrier
	s_waitcnt lgkmcnt(0)
	s_and_saveexec_b64 s[4:5], s[2:3]
	s_cbranch_execz .LBB48_371
; %bb.364:
	ds_read_b128 v[2:5], v9
	s_andn2_b64 vcc, exec, s[6:7]
	s_cbranch_vccnz .LBB48_366
; %bb.365:
	scratch_load_dwordx4 v[156:159], v8, off
	s_waitcnt vmcnt(0) lgkmcnt(0)
	v_mul_f64 v[10:11], v[2:3], v[158:159]
	v_mul_f64 v[6:7], v[4:5], v[158:159]
	v_fmac_f64_e32 v[10:11], v[4:5], v[156:157]
	v_fma_f64 v[2:3], v[2:3], v[156:157], -v[6:7]
	v_mov_b64_e32 v[4:5], v[10:11]
.LBB48_366:
	s_and_saveexec_b64 s[8:9], s[0:1]
	s_cbranch_execz .LBB48_370
; %bb.367:
	v_mov_b32_e32 v7, 0
	v_add_u32_e32 v6, -3, v0
	v_add_u32_e32 v7, 56, v7
	s_movk_i32 s10, 0x340
	s_mov_b64 s[0:1], 0
.LBB48_368:                             ; =>This Inner Loop Header: Depth=1
	v_add_u32_e32 v10, -8, v7
	scratch_load_dwordx4 v[156:159], v10, off
	v_mov_b32_e32 v10, s10
	ds_read_b128 v[160:163], v10
	v_add_u32_e32 v6, -1, v6
	s_add_i32 s10, s10, 16
	v_cmp_eq_u32_e32 vcc, 0, v6
	v_add_u32_e32 v7, 16, v7
	s_or_b64 s[0:1], vcc, s[0:1]
	s_waitcnt vmcnt(0) lgkmcnt(0)
	v_mul_f64 v[10:11], v[162:163], v[158:159]
	v_mul_f64 v[12:13], v[160:161], v[158:159]
	v_fma_f64 v[10:11], v[160:161], v[156:157], -v[10:11]
	v_fmac_f64_e32 v[12:13], v[162:163], v[156:157]
	v_add_f64 v[2:3], v[2:3], v[10:11]
	v_add_f64 v[4:5], v[4:5], v[12:13]
	s_andn2_b64 exec, exec, s[0:1]
	s_cbranch_execnz .LBB48_368
; %bb.369:
	s_or_b64 exec, exec, s[0:1]
.LBB48_370:
	s_or_b64 exec, exec, s[8:9]
	v_mov_b32_e32 v6, 0
	ds_read_b128 v[156:159], v6 offset:32
	s_waitcnt lgkmcnt(0)
	v_mul_f64 v[6:7], v[4:5], v[158:159]
	v_mul_f64 v[160:161], v[2:3], v[158:159]
	v_fma_f64 v[158:159], v[2:3], v[156:157], -v[6:7]
	v_fmac_f64_e32 v[160:161], v[4:5], v[156:157]
	scratch_store_dwordx4 off, v[158:161], off offset:32
.LBB48_371:
	s_or_b64 exec, exec, s[4:5]
	scratch_load_dwordx4 v[2:5], v155, off
	v_cmp_lt_u32_e64 s[0:1], 1, v0
	s_waitcnt vmcnt(0)
	ds_write_b128 v9, v[2:5]
	s_waitcnt lgkmcnt(0)
	; wave barrier
	s_waitcnt lgkmcnt(0)
	s_and_saveexec_b64 s[4:5], s[0:1]
	s_cbranch_execz .LBB48_379
; %bb.372:
	ds_read_b128 v[2:5], v9
	s_andn2_b64 vcc, exec, s[6:7]
	s_cbranch_vccnz .LBB48_374
; %bb.373:
	scratch_load_dwordx4 v[156:159], v8, off
	s_waitcnt vmcnt(0) lgkmcnt(0)
	v_mul_f64 v[10:11], v[2:3], v[158:159]
	v_mul_f64 v[6:7], v[4:5], v[158:159]
	v_fmac_f64_e32 v[10:11], v[4:5], v[156:157]
	v_fma_f64 v[2:3], v[2:3], v[156:157], -v[6:7]
	v_mov_b64_e32 v[4:5], v[10:11]
.LBB48_374:
	s_and_saveexec_b64 s[8:9], s[2:3]
	s_cbranch_execz .LBB48_378
; %bb.375:
	v_mov_b32_e32 v7, 0
	v_add_u32_e32 v6, -2, v0
	v_add_u32_e32 v7, 40, v7
	s_movk_i32 s10, 0x330
	s_mov_b64 s[2:3], 0
.LBB48_376:                             ; =>This Inner Loop Header: Depth=1
	v_add_u32_e32 v10, -8, v7
	scratch_load_dwordx4 v[156:159], v10, off
	v_mov_b32_e32 v10, s10
	ds_read_b128 v[160:163], v10
	v_add_u32_e32 v6, -1, v6
	s_add_i32 s10, s10, 16
	v_cmp_eq_u32_e32 vcc, 0, v6
	v_add_u32_e32 v7, 16, v7
	s_or_b64 s[2:3], vcc, s[2:3]
	s_waitcnt vmcnt(0) lgkmcnt(0)
	v_mul_f64 v[10:11], v[162:163], v[158:159]
	v_mul_f64 v[12:13], v[160:161], v[158:159]
	v_fma_f64 v[10:11], v[160:161], v[156:157], -v[10:11]
	v_fmac_f64_e32 v[12:13], v[162:163], v[156:157]
	v_add_f64 v[2:3], v[2:3], v[10:11]
	v_add_f64 v[4:5], v[4:5], v[12:13]
	s_andn2_b64 exec, exec, s[2:3]
	s_cbranch_execnz .LBB48_376
; %bb.377:
	s_or_b64 exec, exec, s[2:3]
.LBB48_378:
	s_or_b64 exec, exec, s[8:9]
	v_mov_b32_e32 v6, 0
	ds_read_b128 v[156:159], v6 offset:16
	s_waitcnt lgkmcnt(0)
	v_mul_f64 v[6:7], v[4:5], v[158:159]
	v_mul_f64 v[160:161], v[2:3], v[158:159]
	v_fma_f64 v[158:159], v[2:3], v[156:157], -v[6:7]
	v_fmac_f64_e32 v[160:161], v[4:5], v[156:157]
	scratch_store_dwordx4 off, v[158:161], off offset:16
.LBB48_379:
	s_or_b64 exec, exec, s[4:5]
	scratch_load_dwordx4 v[2:5], off, off
	v_cmp_ne_u32_e32 vcc, 0, v0
	s_mov_b64 s[2:3], 0
	s_mov_b64 s[4:5], 0
                                        ; implicit-def: $vgpr6_vgpr7
                                        ; implicit-def: $vgpr156
	s_waitcnt vmcnt(0)
	ds_write_b128 v9, v[2:5]
	s_waitcnt lgkmcnt(0)
	; wave barrier
	s_waitcnt lgkmcnt(0)
	s_and_saveexec_b64 s[8:9], vcc
	s_cbranch_execz .LBB48_387
; %bb.380:
	ds_read_b128 v[2:5], v9
	s_andn2_b64 vcc, exec, s[6:7]
	s_cbranch_vccnz .LBB48_382
; %bb.381:
	scratch_load_dwordx4 v[156:159], v8, off
	s_waitcnt vmcnt(0) lgkmcnt(0)
	v_mul_f64 v[10:11], v[2:3], v[158:159]
	v_mul_f64 v[6:7], v[4:5], v[158:159]
	v_fmac_f64_e32 v[10:11], v[4:5], v[156:157]
	v_fma_f64 v[2:3], v[2:3], v[156:157], -v[6:7]
	v_mov_b64_e32 v[4:5], v[10:11]
.LBB48_382:
	s_and_saveexec_b64 s[4:5], s[0:1]
	s_cbranch_execz .LBB48_386
; %bb.383:
	v_mov_b32_e32 v7, 0
	v_add_u32_e32 v6, -1, v0
	v_add_u32_e32 v7, 24, v7
	s_movk_i32 s10, 0x320
	s_mov_b64 s[0:1], 0
.LBB48_384:                             ; =>This Inner Loop Header: Depth=1
	v_add_u32_e32 v10, -8, v7
	scratch_load_dwordx4 v[156:159], v10, off
	v_mov_b32_e32 v10, s10
	ds_read_b128 v[160:163], v10
	v_add_u32_e32 v6, -1, v6
	s_add_i32 s10, s10, 16
	v_cmp_eq_u32_e32 vcc, 0, v6
	v_add_u32_e32 v7, 16, v7
	s_or_b64 s[0:1], vcc, s[0:1]
	s_waitcnt vmcnt(0) lgkmcnt(0)
	v_mul_f64 v[10:11], v[162:163], v[158:159]
	v_mul_f64 v[12:13], v[160:161], v[158:159]
	v_fma_f64 v[10:11], v[160:161], v[156:157], -v[10:11]
	v_fmac_f64_e32 v[12:13], v[162:163], v[156:157]
	v_add_f64 v[2:3], v[2:3], v[10:11]
	v_add_f64 v[4:5], v[4:5], v[12:13]
	s_andn2_b64 exec, exec, s[0:1]
	s_cbranch_execnz .LBB48_384
; %bb.385:
	s_or_b64 exec, exec, s[0:1]
.LBB48_386:
	s_or_b64 exec, exec, s[4:5]
	v_mov_b32_e32 v6, 0
	ds_read_b128 v[158:161], v6
	v_mov_b32_e32 v6, 0
	v_or_b32_e32 v156, 8, v6
	s_mov_b64 s[4:5], exec
	s_waitcnt lgkmcnt(0)
	v_mul_f64 v[10:11], v[4:5], v[160:161]
	v_mul_f64 v[6:7], v[2:3], v[160:161]
	v_fma_f64 v[2:3], v[2:3], v[158:159], -v[10:11]
	v_fmac_f64_e32 v[6:7], v[4:5], v[158:159]
	scratch_store_dwordx2 off, v[2:3], off
.LBB48_387:
	s_or_b64 exec, exec, s[8:9]
	s_and_b64 vcc, exec, s[2:3]
	s_cbranch_vccnz .LBB48_389
	s_branch .LBB48_768
.LBB48_388:
	s_mov_b64 s[4:5], 0
                                        ; implicit-def: $vgpr6_vgpr7
                                        ; implicit-def: $vgpr156
	s_cbranch_execz .LBB48_768
.LBB48_389:
	scratch_load_dwordx4 v[2:5], v155, off
	v_cndmask_b32_e64 v6, 0, 1, s[6:7]
	v_cmp_eq_u32_e64 s[2:3], 0, v0
	v_cmp_ne_u32_e64 s[0:1], 1, v6
	s_waitcnt vmcnt(0)
	ds_write_b128 v9, v[2:5]
	s_waitcnt lgkmcnt(0)
	; wave barrier
	s_waitcnt lgkmcnt(0)
	s_and_saveexec_b64 s[6:7], s[2:3]
	s_cbranch_execz .LBB48_393
; %bb.390:
	ds_read_b128 v[2:5], v9
	s_and_b64 vcc, exec, s[0:1]
	s_cbranch_vccnz .LBB48_392
; %bb.391:
	scratch_load_dwordx4 v[156:159], v8, off
	s_waitcnt vmcnt(0) lgkmcnt(0)
	v_mul_f64 v[10:11], v[2:3], v[158:159]
	v_mul_f64 v[6:7], v[4:5], v[158:159]
	v_fmac_f64_e32 v[10:11], v[4:5], v[156:157]
	v_fma_f64 v[2:3], v[2:3], v[156:157], -v[6:7]
	v_mov_b64_e32 v[4:5], v[10:11]
.LBB48_392:
	v_mov_b32_e32 v6, 0
	ds_read_b128 v[156:159], v6 offset:16
	s_waitcnt lgkmcnt(0)
	v_mul_f64 v[6:7], v[4:5], v[158:159]
	v_mul_f64 v[160:161], v[2:3], v[158:159]
	v_fma_f64 v[158:159], v[2:3], v[156:157], -v[6:7]
	v_fmac_f64_e32 v[160:161], v[4:5], v[156:157]
	scratch_store_dwordx4 off, v[158:161], off offset:16
.LBB48_393:
	s_or_b64 exec, exec, s[6:7]
	scratch_load_dwordx4 v[2:5], v154, off
	v_cmp_gt_u32_e32 vcc, 2, v0
	s_waitcnt vmcnt(0)
	ds_write_b128 v9, v[2:5]
	s_waitcnt lgkmcnt(0)
	; wave barrier
	s_waitcnt lgkmcnt(0)
	s_and_saveexec_b64 s[6:7], vcc
	s_cbranch_execz .LBB48_399
; %bb.394:
	ds_read_b128 v[2:5], v9
	s_and_b64 vcc, exec, s[0:1]
	s_cbranch_vccnz .LBB48_396
; %bb.395:
	scratch_load_dwordx4 v[156:159], v8, off
	s_waitcnt vmcnt(0) lgkmcnt(0)
	v_mul_f64 v[10:11], v[2:3], v[158:159]
	v_mul_f64 v[6:7], v[4:5], v[158:159]
	v_fmac_f64_e32 v[10:11], v[4:5], v[156:157]
	v_fma_f64 v[2:3], v[2:3], v[156:157], -v[6:7]
	v_mov_b64_e32 v[4:5], v[10:11]
.LBB48_396:
	s_and_saveexec_b64 s[8:9], s[2:3]
	s_cbranch_execz .LBB48_398
; %bb.397:
	scratch_load_dwordx4 v[156:159], v8, off offset:16
	ds_read_b128 v[160:163], v9 offset:16
	s_waitcnt vmcnt(0) lgkmcnt(0)
	v_mul_f64 v[6:7], v[162:163], v[158:159]
	v_mul_f64 v[10:11], v[160:161], v[158:159]
	v_fma_f64 v[6:7], v[160:161], v[156:157], -v[6:7]
	v_fmac_f64_e32 v[10:11], v[162:163], v[156:157]
	v_add_f64 v[2:3], v[2:3], v[6:7]
	v_add_f64 v[4:5], v[4:5], v[10:11]
.LBB48_398:
	s_or_b64 exec, exec, s[8:9]
	v_mov_b32_e32 v6, 0
	ds_read_b128 v[156:159], v6 offset:32
	s_waitcnt lgkmcnt(0)
	v_mul_f64 v[6:7], v[4:5], v[158:159]
	v_mul_f64 v[160:161], v[2:3], v[158:159]
	v_fma_f64 v[158:159], v[2:3], v[156:157], -v[6:7]
	v_fmac_f64_e32 v[160:161], v[4:5], v[156:157]
	scratch_store_dwordx4 off, v[158:161], off offset:32
.LBB48_399:
	s_or_b64 exec, exec, s[6:7]
	scratch_load_dwordx4 v[2:5], v153, off
	v_cmp_gt_u32_e32 vcc, 3, v0
	s_waitcnt vmcnt(0)
	ds_write_b128 v9, v[2:5]
	s_waitcnt lgkmcnt(0)
	; wave barrier
	s_waitcnt lgkmcnt(0)
	s_and_saveexec_b64 s[6:7], vcc
	s_cbranch_execz .LBB48_407
; %bb.400:
	ds_read_b128 v[2:5], v9
	s_and_b64 vcc, exec, s[0:1]
	s_cbranch_vccnz .LBB48_402
; %bb.401:
	scratch_load_dwordx4 v[156:159], v8, off
	s_waitcnt vmcnt(0) lgkmcnt(0)
	v_mul_f64 v[10:11], v[2:3], v[158:159]
	v_mul_f64 v[6:7], v[4:5], v[158:159]
	v_fmac_f64_e32 v[10:11], v[4:5], v[156:157]
	v_fma_f64 v[2:3], v[2:3], v[156:157], -v[6:7]
	v_mov_b64_e32 v[4:5], v[10:11]
.LBB48_402:
	v_cmp_ne_u32_e32 vcc, 2, v0
	s_and_saveexec_b64 s[8:9], vcc
	s_cbranch_execz .LBB48_406
; %bb.403:
	scratch_load_dwordx4 v[156:159], v8, off offset:16
	ds_read_b128 v[160:163], v9 offset:16
	s_waitcnt vmcnt(0) lgkmcnt(0)
	v_mul_f64 v[6:7], v[162:163], v[158:159]
	v_mul_f64 v[10:11], v[160:161], v[158:159]
	v_fma_f64 v[6:7], v[160:161], v[156:157], -v[6:7]
	v_fmac_f64_e32 v[10:11], v[162:163], v[156:157]
	v_add_f64 v[2:3], v[2:3], v[6:7]
	v_add_f64 v[4:5], v[4:5], v[10:11]
	s_and_saveexec_b64 s[10:11], s[2:3]
	s_cbranch_execz .LBB48_405
; %bb.404:
	scratch_load_dwordx4 v[156:159], off, off offset:32
	v_mov_b32_e32 v6, 0
	ds_read_b128 v[160:163], v6 offset:816
	s_waitcnt vmcnt(0) lgkmcnt(0)
	v_mul_f64 v[6:7], v[160:161], v[158:159]
	v_mul_f64 v[10:11], v[162:163], v[158:159]
	v_fmac_f64_e32 v[6:7], v[162:163], v[156:157]
	v_fma_f64 v[10:11], v[160:161], v[156:157], -v[10:11]
	v_add_f64 v[4:5], v[4:5], v[6:7]
	v_add_f64 v[2:3], v[2:3], v[10:11]
.LBB48_405:
	s_or_b64 exec, exec, s[10:11]
.LBB48_406:
	s_or_b64 exec, exec, s[8:9]
	v_mov_b32_e32 v6, 0
	ds_read_b128 v[156:159], v6 offset:48
	s_waitcnt lgkmcnt(0)
	v_mul_f64 v[6:7], v[4:5], v[158:159]
	v_mul_f64 v[160:161], v[2:3], v[158:159]
	v_fma_f64 v[158:159], v[2:3], v[156:157], -v[6:7]
	v_fmac_f64_e32 v[160:161], v[4:5], v[156:157]
	scratch_store_dwordx4 off, v[158:161], off offset:48
.LBB48_407:
	s_or_b64 exec, exec, s[6:7]
	scratch_load_dwordx4 v[2:5], v152, off
	v_cmp_gt_u32_e32 vcc, 4, v0
	s_waitcnt vmcnt(0)
	ds_write_b128 v9, v[2:5]
	s_waitcnt lgkmcnt(0)
	; wave barrier
	s_waitcnt lgkmcnt(0)
	s_and_saveexec_b64 s[2:3], vcc
	s_cbranch_execz .LBB48_415
; %bb.408:
	ds_read_b128 v[2:5], v9
	s_and_b64 vcc, exec, s[0:1]
	s_cbranch_vccnz .LBB48_410
; %bb.409:
	scratch_load_dwordx4 v[156:159], v8, off
	s_waitcnt vmcnt(0) lgkmcnt(0)
	v_mul_f64 v[10:11], v[2:3], v[158:159]
	v_mul_f64 v[6:7], v[4:5], v[158:159]
	v_fmac_f64_e32 v[10:11], v[4:5], v[156:157]
	v_fma_f64 v[2:3], v[2:3], v[156:157], -v[6:7]
	v_mov_b64_e32 v[4:5], v[10:11]
.LBB48_410:
	v_cmp_ne_u32_e32 vcc, 3, v0
	s_and_saveexec_b64 s[6:7], vcc
	s_cbranch_execz .LBB48_414
; %bb.411:
	v_mov_b32_e32 v7, 0
	v_add_u32_e32 v6, 0x320, v80
	v_add3_u32 v7, v80, v7, 24
	s_mov_b64 s[8:9], 0
	v_mov_b32_e32 v156, v0
.LBB48_412:                             ; =>This Inner Loop Header: Depth=1
	v_add_u32_e32 v10, -8, v7
	scratch_load_dwordx4 v[158:161], v10, off
	ds_read_b128 v[162:165], v6
	v_add_u32_e32 v156, 1, v156
	v_cmp_lt_u32_e32 vcc, 2, v156
	v_add_u32_e32 v6, 16, v6
	v_add_u32_e32 v7, 16, v7
	s_or_b64 s[8:9], vcc, s[8:9]
	s_waitcnt vmcnt(0) lgkmcnt(0)
	v_mul_f64 v[10:11], v[164:165], v[160:161]
	v_mul_f64 v[12:13], v[162:163], v[160:161]
	v_fma_f64 v[10:11], v[162:163], v[158:159], -v[10:11]
	v_fmac_f64_e32 v[12:13], v[164:165], v[158:159]
	v_add_f64 v[2:3], v[2:3], v[10:11]
	v_add_f64 v[4:5], v[4:5], v[12:13]
	s_andn2_b64 exec, exec, s[8:9]
	s_cbranch_execnz .LBB48_412
; %bb.413:
	s_or_b64 exec, exec, s[8:9]
.LBB48_414:
	s_or_b64 exec, exec, s[6:7]
	v_mov_b32_e32 v6, 0
	ds_read_b128 v[156:159], v6 offset:64
	s_waitcnt lgkmcnt(0)
	v_mul_f64 v[6:7], v[4:5], v[158:159]
	v_mul_f64 v[160:161], v[2:3], v[158:159]
	v_fma_f64 v[158:159], v[2:3], v[156:157], -v[6:7]
	v_fmac_f64_e32 v[160:161], v[4:5], v[156:157]
	scratch_store_dwordx4 off, v[158:161], off offset:64
.LBB48_415:
	s_or_b64 exec, exec, s[2:3]
	scratch_load_dwordx4 v[2:5], v151, off
	v_cmp_gt_u32_e32 vcc, 5, v0
	s_waitcnt vmcnt(0)
	ds_write_b128 v9, v[2:5]
	s_waitcnt lgkmcnt(0)
	; wave barrier
	s_waitcnt lgkmcnt(0)
	s_and_saveexec_b64 s[2:3], vcc
	s_cbranch_execz .LBB48_423
; %bb.416:
	ds_read_b128 v[2:5], v9
	s_and_b64 vcc, exec, s[0:1]
	s_cbranch_vccnz .LBB48_418
; %bb.417:
	scratch_load_dwordx4 v[156:159], v8, off
	s_waitcnt vmcnt(0) lgkmcnt(0)
	v_mul_f64 v[10:11], v[2:3], v[158:159]
	v_mul_f64 v[6:7], v[4:5], v[158:159]
	v_fmac_f64_e32 v[10:11], v[4:5], v[156:157]
	v_fma_f64 v[2:3], v[2:3], v[156:157], -v[6:7]
	v_mov_b64_e32 v[4:5], v[10:11]
.LBB48_418:
	v_cmp_ne_u32_e32 vcc, 4, v0
	s_and_saveexec_b64 s[6:7], vcc
	s_cbranch_execz .LBB48_422
; %bb.419:
	v_mov_b32_e32 v7, 0
	v_add_u32_e32 v6, 0x320, v80
	v_add3_u32 v7, v80, v7, 24
	s_mov_b64 s[8:9], 0
	v_mov_b32_e32 v156, v0
.LBB48_420:                             ; =>This Inner Loop Header: Depth=1
	v_add_u32_e32 v10, -8, v7
	scratch_load_dwordx4 v[158:161], v10, off
	ds_read_b128 v[162:165], v6
	v_add_u32_e32 v156, 1, v156
	v_cmp_lt_u32_e32 vcc, 3, v156
	v_add_u32_e32 v6, 16, v6
	v_add_u32_e32 v7, 16, v7
	s_or_b64 s[8:9], vcc, s[8:9]
	s_waitcnt vmcnt(0) lgkmcnt(0)
	v_mul_f64 v[10:11], v[164:165], v[160:161]
	v_mul_f64 v[12:13], v[162:163], v[160:161]
	v_fma_f64 v[10:11], v[162:163], v[158:159], -v[10:11]
	v_fmac_f64_e32 v[12:13], v[164:165], v[158:159]
	v_add_f64 v[2:3], v[2:3], v[10:11]
	v_add_f64 v[4:5], v[4:5], v[12:13]
	s_andn2_b64 exec, exec, s[8:9]
	s_cbranch_execnz .LBB48_420
; %bb.421:
	s_or_b64 exec, exec, s[8:9]
.LBB48_422:
	s_or_b64 exec, exec, s[6:7]
	v_mov_b32_e32 v6, 0
	ds_read_b128 v[156:159], v6 offset:80
	s_waitcnt lgkmcnt(0)
	v_mul_f64 v[6:7], v[4:5], v[158:159]
	v_mul_f64 v[160:161], v[2:3], v[158:159]
	v_fma_f64 v[158:159], v[2:3], v[156:157], -v[6:7]
	v_fmac_f64_e32 v[160:161], v[4:5], v[156:157]
	scratch_store_dwordx4 off, v[158:161], off offset:80
.LBB48_423:
	;; [unrolled: 63-line block ×43, first 2 shown]
	s_or_b64 exec, exec, s[2:3]
	scratch_load_dwordx4 v[2:5], v44, off
	v_cmp_gt_u32_e64 s[2:3], 47, v0
	s_waitcnt vmcnt(0)
	ds_write_b128 v9, v[2:5]
	s_waitcnt lgkmcnt(0)
	; wave barrier
	s_waitcnt lgkmcnt(0)
	s_and_saveexec_b64 s[6:7], s[2:3]
	s_cbranch_execz .LBB48_759
; %bb.752:
	ds_read_b128 v[2:5], v9
	s_and_b64 vcc, exec, s[0:1]
	s_cbranch_vccnz .LBB48_754
; %bb.753:
	scratch_load_dwordx4 v[156:159], v8, off
	s_waitcnt vmcnt(0) lgkmcnt(0)
	v_mul_f64 v[10:11], v[2:3], v[158:159]
	v_mul_f64 v[6:7], v[4:5], v[158:159]
	v_fmac_f64_e32 v[10:11], v[4:5], v[156:157]
	v_fma_f64 v[2:3], v[2:3], v[156:157], -v[6:7]
	v_mov_b64_e32 v[4:5], v[10:11]
.LBB48_754:
	v_cmp_ne_u32_e32 vcc, 46, v0
	s_and_saveexec_b64 s[8:9], vcc
	s_cbranch_execz .LBB48_758
; %bb.755:
	v_mov_b32_e32 v7, 0
	v_add_u32_e32 v6, 0x320, v80
	v_add3_u32 v7, v80, v7, 24
	s_mov_b64 s[10:11], 0
	v_mov_b32_e32 v156, v0
.LBB48_756:                             ; =>This Inner Loop Header: Depth=1
	v_add_u32_e32 v10, -8, v7
	scratch_load_dwordx4 v[158:161], v10, off
	ds_read_b128 v[162:165], v6
	v_add_u32_e32 v156, 1, v156
	v_cmp_lt_u32_e32 vcc, 45, v156
	v_add_u32_e32 v6, 16, v6
	v_add_u32_e32 v7, 16, v7
	s_or_b64 s[10:11], vcc, s[10:11]
	s_waitcnt vmcnt(0) lgkmcnt(0)
	v_mul_f64 v[10:11], v[164:165], v[160:161]
	v_mul_f64 v[12:13], v[162:163], v[160:161]
	v_fma_f64 v[10:11], v[162:163], v[158:159], -v[10:11]
	v_fmac_f64_e32 v[12:13], v[164:165], v[158:159]
	v_add_f64 v[2:3], v[2:3], v[10:11]
	v_add_f64 v[4:5], v[4:5], v[12:13]
	s_andn2_b64 exec, exec, s[10:11]
	s_cbranch_execnz .LBB48_756
; %bb.757:
	s_or_b64 exec, exec, s[10:11]
.LBB48_758:
	s_or_b64 exec, exec, s[8:9]
	v_mov_b32_e32 v6, 0
	ds_read_b128 v[156:159], v6 offset:752
	s_waitcnt lgkmcnt(0)
	v_mul_f64 v[6:7], v[4:5], v[158:159]
	v_mul_f64 v[160:161], v[2:3], v[158:159]
	v_fma_f64 v[158:159], v[2:3], v[156:157], -v[6:7]
	v_fmac_f64_e32 v[160:161], v[4:5], v[156:157]
	scratch_store_dwordx4 off, v[158:161], off offset:752
.LBB48_759:
	s_or_b64 exec, exec, s[6:7]
	scratch_load_dwordx4 v[2:5], v1, off
	v_cmp_ne_u32_e32 vcc, 48, v0
                                        ; implicit-def: $vgpr6_vgpr7
                                        ; implicit-def: $vgpr156
	s_waitcnt vmcnt(0)
	ds_write_b128 v9, v[2:5]
	s_waitcnt lgkmcnt(0)
	; wave barrier
	s_waitcnt lgkmcnt(0)
	s_and_saveexec_b64 s[6:7], vcc
	s_cbranch_execz .LBB48_767
; %bb.760:
	ds_read_b128 v[2:5], v9
	s_and_b64 vcc, exec, s[0:1]
	s_cbranch_vccnz .LBB48_762
; %bb.761:
	scratch_load_dwordx4 v[6:9], v8, off
	s_waitcnt vmcnt(0) lgkmcnt(0)
	v_mul_f64 v[10:11], v[4:5], v[8:9]
	v_mul_f64 v[8:9], v[2:3], v[8:9]
	v_fmac_f64_e32 v[8:9], v[4:5], v[6:7]
	v_fma_f64 v[2:3], v[2:3], v[6:7], -v[10:11]
	v_mov_b64_e32 v[4:5], v[8:9]
.LBB48_762:
	s_and_saveexec_b64 s[0:1], s[2:3]
	s_cbranch_execz .LBB48_766
; %bb.763:
	v_mov_b32_e32 v7, 0
	v_add_u32_e32 v6, 0x320, v80
	v_add3_u32 v7, v80, v7, 24
	s_mov_b64 s[2:3], 0
.LBB48_764:                             ; =>This Inner Loop Header: Depth=1
	v_add_u32_e32 v8, -8, v7
	scratch_load_dwordx4 v[156:159], v8, off
	ds_read_b128 v[160:163], v6
	v_add_u32_e32 v0, 1, v0
	v_cmp_lt_u32_e32 vcc, 46, v0
	v_add_u32_e32 v6, 16, v6
	v_add_u32_e32 v7, 16, v7
	s_or_b64 s[2:3], vcc, s[2:3]
	s_waitcnt vmcnt(0) lgkmcnt(0)
	v_mul_f64 v[8:9], v[162:163], v[158:159]
	v_mul_f64 v[10:11], v[160:161], v[158:159]
	v_fma_f64 v[8:9], v[160:161], v[156:157], -v[8:9]
	v_fmac_f64_e32 v[10:11], v[162:163], v[156:157]
	v_add_f64 v[2:3], v[2:3], v[8:9]
	v_add_f64 v[4:5], v[4:5], v[10:11]
	s_andn2_b64 exec, exec, s[2:3]
	s_cbranch_execnz .LBB48_764
; %bb.765:
	s_or_b64 exec, exec, s[2:3]
.LBB48_766:
	s_or_b64 exec, exec, s[0:1]
	v_mov_b32_e32 v0, 0
	ds_read_b128 v[158:161], v0 offset:768
	v_mov_b32_e32 v0, 0
	v_add_u32_e32 v156, 0x308, v0
	s_or_b64 s[4:5], s[4:5], exec
	s_waitcnt lgkmcnt(0)
	v_mul_f64 v[8:9], v[4:5], v[160:161]
	v_mul_f64 v[6:7], v[2:3], v[160:161]
	v_fma_f64 v[2:3], v[2:3], v[158:159], -v[8:9]
	v_fmac_f64_e32 v[6:7], v[4:5], v[158:159]
	scratch_store_dwordx2 off, v[2:3], off offset:768
.LBB48_767:
	s_or_b64 exec, exec, s[6:7]
.LBB48_768:
	v_mov_b32_e32 v80, v167
	v_mov_b32_e32 v0, v166
	s_and_saveexec_b64 s[0:1], s[4:5]
	s_cbranch_execz .LBB48_770
; %bb.769:
	scratch_store_dwordx2 v156, v[6:7], off
.LBB48_770:
	s_or_b64 exec, exec, s[0:1]
	scratch_load_dwordx4 v[2:5], off, off
	scratch_load_dwordx4 v[6:9], v155, off
	s_nop 0
	scratch_load_dwordx4 v[154:157], v154, off
	s_nop 0
	scratch_load_dwordx4 v[158:161], v153, off
	scratch_load_dwordx4 v[162:165], v152, off
	scratch_load_dwordx4 v[166:169], v151, off
	s_nop 0
	scratch_load_dwordx4 v[150:153], v150, off
	s_nop 0
	scratch_load_dwordx4 v[170:173], v149, off
	scratch_load_dwordx4 v[174:177], v148, off
	;; [unrolled: 6-line block ×7, first 2 shown]
	scratch_load_dwordx4 v[238:241], v28, off
	scratch_load_dwordx4 v[242:245], v27, off
	s_nop 0
	scratch_load_dwordx4 v[26:29], v26, off
	s_nop 0
	scratch_load_dwordx4 v[246:249], v25, off
	scratch_load_dwordx4 v[250:253], v24, off
	;; [unrolled: 1-line block ×3, first 2 shown]
	s_waitcnt vmcnt(34)
	global_store_dwordx4 v[30:31], v[2:5], off
	scratch_load_dwordx4 v[2:5], v22, off
	s_nop 0
	scratch_load_dwordx4 v[22:25], v21, off
	s_waitcnt vmcnt(36)
	global_store_dwordx4 v[32:33], v[6:9], off
	scratch_load_dwordx4 v[6:9], v20, off
	s_nop 0
	scratch_load_dwordx4 v[30:33], v19, off
	;; [unrolled: 5-line block ×7, first 2 shown]
	s_waitcnt vmcnt(48)
	global_store_dwordx4 v[254:255], v[170:173], off
	s_waitcnt vmcnt(48)
	global_store_dwordx4 v[46:47], v[174:177], off
	;; [unrolled: 2-line block ×42, first 2 shown]
.LBB48_771:
	s_endpgm
	.section	.rodata,"a",@progbits
	.p2align	6, 0x0
	.amdhsa_kernel _ZN9rocsolver6v33100L18trti2_kernel_smallILi49E19rocblas_complex_numIdEPS3_EEv13rocblas_fill_17rocblas_diagonal_T1_iil
		.amdhsa_group_segment_fixed_size 1568
		.amdhsa_private_segment_fixed_size 800
		.amdhsa_kernarg_size 32
		.amdhsa_user_sgpr_count 2
		.amdhsa_user_sgpr_dispatch_ptr 0
		.amdhsa_user_sgpr_queue_ptr 0
		.amdhsa_user_sgpr_kernarg_segment_ptr 1
		.amdhsa_user_sgpr_dispatch_id 0
		.amdhsa_user_sgpr_kernarg_preload_length 0
		.amdhsa_user_sgpr_kernarg_preload_offset 0
		.amdhsa_user_sgpr_private_segment_size 0
		.amdhsa_uses_dynamic_stack 0
		.amdhsa_enable_private_segment 1
		.amdhsa_system_sgpr_workgroup_id_x 1
		.amdhsa_system_sgpr_workgroup_id_y 0
		.amdhsa_system_sgpr_workgroup_id_z 0
		.amdhsa_system_sgpr_workgroup_info 0
		.amdhsa_system_vgpr_workitem_id 0
		.amdhsa_next_free_vgpr 256
		.amdhsa_next_free_sgpr 12
		.amdhsa_accum_offset 256
		.amdhsa_reserve_vcc 1
		.amdhsa_float_round_mode_32 0
		.amdhsa_float_round_mode_16_64 0
		.amdhsa_float_denorm_mode_32 3
		.amdhsa_float_denorm_mode_16_64 3
		.amdhsa_dx10_clamp 1
		.amdhsa_ieee_mode 1
		.amdhsa_fp16_overflow 0
		.amdhsa_tg_split 0
		.amdhsa_exception_fp_ieee_invalid_op 0
		.amdhsa_exception_fp_denorm_src 0
		.amdhsa_exception_fp_ieee_div_zero 0
		.amdhsa_exception_fp_ieee_overflow 0
		.amdhsa_exception_fp_ieee_underflow 0
		.amdhsa_exception_fp_ieee_inexact 0
		.amdhsa_exception_int_div_zero 0
	.end_amdhsa_kernel
	.section	.text._ZN9rocsolver6v33100L18trti2_kernel_smallILi49E19rocblas_complex_numIdEPS3_EEv13rocblas_fill_17rocblas_diagonal_T1_iil,"axG",@progbits,_ZN9rocsolver6v33100L18trti2_kernel_smallILi49E19rocblas_complex_numIdEPS3_EEv13rocblas_fill_17rocblas_diagonal_T1_iil,comdat
.Lfunc_end48:
	.size	_ZN9rocsolver6v33100L18trti2_kernel_smallILi49E19rocblas_complex_numIdEPS3_EEv13rocblas_fill_17rocblas_diagonal_T1_iil, .Lfunc_end48-_ZN9rocsolver6v33100L18trti2_kernel_smallILi49E19rocblas_complex_numIdEPS3_EEv13rocblas_fill_17rocblas_diagonal_T1_iil
                                        ; -- End function
	.section	.AMDGPU.csdata,"",@progbits
; Kernel info:
; codeLenInByte = 32340
; NumSgprs: 18
; NumVgprs: 256
; NumAgprs: 0
; TotalNumVgprs: 256
; ScratchSize: 800
; MemoryBound: 0
; FloatMode: 240
; IeeeMode: 1
; LDSByteSize: 1568 bytes/workgroup (compile time only)
; SGPRBlocks: 2
; VGPRBlocks: 31
; NumSGPRsForWavesPerEU: 18
; NumVGPRsForWavesPerEU: 256
; AccumOffset: 256
; Occupancy: 2
; WaveLimiterHint : 0
; COMPUTE_PGM_RSRC2:SCRATCH_EN: 1
; COMPUTE_PGM_RSRC2:USER_SGPR: 2
; COMPUTE_PGM_RSRC2:TRAP_HANDLER: 0
; COMPUTE_PGM_RSRC2:TGID_X_EN: 1
; COMPUTE_PGM_RSRC2:TGID_Y_EN: 0
; COMPUTE_PGM_RSRC2:TGID_Z_EN: 0
; COMPUTE_PGM_RSRC2:TIDIG_COMP_CNT: 0
; COMPUTE_PGM_RSRC3_GFX90A:ACCUM_OFFSET: 63
; COMPUTE_PGM_RSRC3_GFX90A:TG_SPLIT: 0
	.section	.text._ZN9rocsolver6v33100L18trti2_kernel_smallILi50E19rocblas_complex_numIdEPS3_EEv13rocblas_fill_17rocblas_diagonal_T1_iil,"axG",@progbits,_ZN9rocsolver6v33100L18trti2_kernel_smallILi50E19rocblas_complex_numIdEPS3_EEv13rocblas_fill_17rocblas_diagonal_T1_iil,comdat
	.globl	_ZN9rocsolver6v33100L18trti2_kernel_smallILi50E19rocblas_complex_numIdEPS3_EEv13rocblas_fill_17rocblas_diagonal_T1_iil ; -- Begin function _ZN9rocsolver6v33100L18trti2_kernel_smallILi50E19rocblas_complex_numIdEPS3_EEv13rocblas_fill_17rocblas_diagonal_T1_iil
	.p2align	8
	.type	_ZN9rocsolver6v33100L18trti2_kernel_smallILi50E19rocblas_complex_numIdEPS3_EEv13rocblas_fill_17rocblas_diagonal_T1_iil,@function
_ZN9rocsolver6v33100L18trti2_kernel_smallILi50E19rocblas_complex_numIdEPS3_EEv13rocblas_fill_17rocblas_diagonal_T1_iil: ; @_ZN9rocsolver6v33100L18trti2_kernel_smallILi50E19rocblas_complex_numIdEPS3_EEv13rocblas_fill_17rocblas_diagonal_T1_iil
; %bb.0:
	v_cmp_gt_u32_e32 vcc, 50, v0
	s_and_saveexec_b64 s[4:5], vcc
	s_cbranch_execz .LBB49_787
; %bb.1:
	s_load_dwordx8 s[4:11], s[0:1], 0x0
	s_ashr_i32 s3, s2, 31
	v_lshlrev_b32_e32 v112, 4, v0
	v_mov_b32_e32 v113, 0
	v_mov_b32_e32 v1, 0
	s_waitcnt lgkmcnt(0)
	s_ashr_i32 s1, s8, 31
	s_mov_b32 s0, s8
	s_mul_i32 s8, s2, s11
	s_mul_hi_u32 s11, s2, s10
	s_add_i32 s8, s11, s8
	s_mul_i32 s3, s3, s10
	s_add_i32 s3, s8, s3
	s_mul_i32 s2, s2, s10
	s_lshl_b64 s[2:3], s[2:3], 4
	s_add_u32 s2, s6, s2
	s_addc_u32 s3, s7, s3
	s_lshl_b64 s[0:1], s[0:1], 4
	s_add_u32 s0, s2, s0
	s_addc_u32 s1, s3, s1
	s_add_i32 s2, s9, s9
	v_add_u32_e32 v4, s2, v0
	v_add_u32_e32 v2, s9, v4
	;; [unrolled: 1-line block ×11, first 2 shown]
	s_mov_b32 s2, s9
	s_ashr_i32 s3, s9, 31
	v_lshl_add_u64 v[36:37], s[0:1], 0, v[112:113]
	v_ashrrev_i32_e32 v3, 31, v2
	v_ashrrev_i32_e32 v9, 31, v8
	;; [unrolled: 1-line block ×9, first 2 shown]
	v_lshl_add_u64 v[30:31], s[2:3], 4, v[36:37]
	v_lshl_add_u64 v[28:29], v[2:3], 4, s[0:1]
	v_ashrrev_i32_e32 v7, 31, v6
	v_lshl_add_u64 v[22:23], v[8:9], 4, s[0:1]
	v_lshl_add_u64 v[14:15], v[10:11], 4, s[0:1]
	;; [unrolled: 1-line block ×7, first 2 shown]
	v_ashrrev_i32_e32 v39, 31, v38
	global_load_dwordx4 v[40:43], v112, s[0:1]
	v_lshl_add_u64 v[18:19], v[4:5], 4, s[0:1]
	global_load_dwordx4 v[44:47], v[30:31], off
	global_load_dwordx4 v[48:51], v[18:19], off
	v_lshl_add_u64 v[20:21], v[6:7], 4, s[0:1]
	global_load_dwordx4 v[2:5], v[28:29], off
	global_load_dwordx4 v[52:55], v[20:21], off
	;; [unrolled: 1-line block ×8, first 2 shown]
	v_lshl_add_u64 v[34:35], v[38:39], 4, s[0:1]
	global_load_dwordx4 v[76:79], v[32:33], off
	global_load_dwordx4 v[80:83], v[34:35], off
	v_accvgpr_write_b32 a0, v10
	v_accvgpr_write_b32 a2, v12
	;; [unrolled: 1-line block ×3, first 2 shown]
	v_add_u32_e32 v10, s9, v38
	v_accvgpr_write_b32 a3, v13
	v_add_u32_e32 v12, s9, v10
	v_add_u32_e32 v16, s9, v12
	;; [unrolled: 1-line block ×36, first 2 shown]
	v_ashrrev_i32_e32 v39, 31, v38
	v_lshl_add_u64 v[38:39], v[38:39], 4, s[0:1]
	v_ashrrev_i32_e32 v11, 31, v10
	v_ashrrev_i32_e32 v17, 31, v16
	;; [unrolled: 1-line block ×18, first 2 shown]
	global_load_dwordx4 v[114:117], v[38:39], off
	s_waitcnt vmcnt(13)
	scratch_store_dwordx4 off, v[40:43], off
	s_waitcnt vmcnt(13)
	scratch_store_dwordx4 off, v[44:47], off offset:16
	s_waitcnt vmcnt(13)
	scratch_store_dwordx4 off, v[48:51], off offset:32
	;; [unrolled: 2-line block ×12, first 2 shown]
	v_lshl_add_u64 v[40:41], v[10:11], 4, s[0:1]
	v_ashrrev_i32_e32 v13, 31, v12
	v_lshl_add_u64 v[44:45], v[16:17], 4, s[0:1]
	v_ashrrev_i32_e32 v25, 31, v24
	v_lshl_add_u64 v[48:49], v[84:85], 4, s[0:1]
	v_ashrrev_i32_e32 v87, 31, v86
	v_lshl_add_u64 v[52:53], v[88:89], 4, s[0:1]
	v_ashrrev_i32_e32 v91, 31, v90
	v_lshl_add_u64 v[56:57], v[92:93], 4, s[0:1]
	v_ashrrev_i32_e32 v95, 31, v94
	v_lshl_add_u64 v[60:61], v[96:97], 4, s[0:1]
	v_ashrrev_i32_e32 v99, 31, v98
	v_lshl_add_u64 v[64:65], v[100:101], 4, s[0:1]
	v_ashrrev_i32_e32 v103, 31, v102
	v_lshl_add_u64 v[68:69], v[104:105], 4, s[0:1]
	v_ashrrev_i32_e32 v107, 31, v106
	v_lshl_add_u64 v[72:73], v[108:109], 4, s[0:1]
	v_ashrrev_i32_e32 v111, 31, v110
	v_lshl_add_u64 v[76:77], v[182:183], 4, s[0:1]
	v_ashrrev_i32_e32 v185, 31, v184
	v_lshl_add_u64 v[80:81], v[190:191], 4, s[0:1]
	v_ashrrev_i32_e32 v193, 31, v192
	v_lshl_add_u64 v[84:85], v[198:199], 4, s[0:1]
	v_ashrrev_i32_e32 v201, 31, v200
	v_lshl_add_u64 v[88:89], v[206:207], 4, s[0:1]
	v_ashrrev_i32_e32 v209, 31, v208
	v_lshl_add_u64 v[92:93], v[214:215], 4, s[0:1]
	v_ashrrev_i32_e32 v217, 31, v216
	v_lshl_add_u64 v[96:97], v[222:223], 4, s[0:1]
	v_ashrrev_i32_e32 v225, 31, v224
	v_lshl_add_u64 v[100:101], v[230:231], 4, s[0:1]
	v_ashrrev_i32_e32 v233, 31, v232
	v_lshl_add_u64 v[104:105], v[238:239], 4, s[0:1]
	v_ashrrev_i32_e32 v241, 31, v240
	v_lshl_add_u64 v[108:109], v[246:247], 4, s[0:1]
	v_ashrrev_i32_e32 v249, 31, v248
	v_lshl_add_u64 v[42:43], v[12:13], 4, s[0:1]
	global_load_dwordx4 v[2:5], v[40:41], off
	global_load_dwordx4 v[6:9], v[42:43], off
	v_lshl_add_u64 v[46:47], v[24:25], 4, s[0:1]
	global_load_dwordx4 v[118:121], v[44:45], off
	global_load_dwordx4 v[122:125], v[46:47], off
	;; [unrolled: 3-line block ×18, first 2 shown]
	s_cmpk_lg_i32 s5, 0x84
	s_cselect_b64 s[6:7], -1, 0
	s_cmpk_eq_i32 s5, 0x84
	s_waitcnt vmcnt(35)
	scratch_store_dwordx4 off, v[2:5], off offset:208
	s_waitcnt vmcnt(35)
	scratch_store_dwordx4 off, v[6:9], off offset:224
	;; [unrolled: 2-line block ×36, first 2 shown]
	scratch_store_dwordx4 off, v[114:117], off offset:784
	s_cbranch_scc1 .LBB49_7
; %bb.2:
	scratch_load_dwordx4 v[8:11], v112, off
                                        ; implicit-def: $vgpr6_vgpr7
	s_waitcnt vmcnt(0)
	v_xor_b32_e32 v3, 0x80000000, v9
	v_cmp_gt_f64_e32 vcc, 0, v[8:9]
	v_xor_b32_e32 v4, 0x80000000, v11
	v_mov_b32_e32 v2, v8
	v_cndmask_b32_e32 v3, v9, v3, vcc
	v_cmp_gt_f64_e32 vcc, 0, v[10:11]
	s_nop 1
	v_cndmask_b32_e32 v5, v11, v4, vcc
	v_mov_b32_e32 v4, v10
	v_cmp_ngt_f64_e32 vcc, v[2:3], v[4:5]
                                        ; implicit-def: $vgpr2_vgpr3
	s_and_saveexec_b64 s[0:1], vcc
	s_xor_b64 s[0:1], exec, s[0:1]
	s_cbranch_execz .LBB49_4
; %bb.3:
	v_div_scale_f64 v[2:3], s[2:3], v[10:11], v[10:11], v[8:9]
	v_rcp_f64_e32 v[4:5], v[2:3]
	v_div_scale_f64 v[6:7], vcc, v[8:9], v[10:11], v[8:9]
	v_fma_f64 v[12:13], -v[2:3], v[4:5], 1.0
	v_fmac_f64_e32 v[4:5], v[4:5], v[12:13]
	v_fma_f64 v[12:13], -v[2:3], v[4:5], 1.0
	v_fmac_f64_e32 v[4:5], v[4:5], v[12:13]
	v_mul_f64 v[12:13], v[6:7], v[4:5]
	v_fma_f64 v[2:3], -v[2:3], v[12:13], v[6:7]
	v_div_fmas_f64 v[2:3], v[2:3], v[4:5], v[12:13]
	v_div_fixup_f64 v[2:3], v[2:3], v[10:11], v[8:9]
	v_fmac_f64_e32 v[10:11], v[8:9], v[2:3]
	v_div_scale_f64 v[4:5], s[2:3], v[10:11], v[10:11], 1.0
	v_rcp_f64_e32 v[6:7], v[4:5]
	s_nop 0
	v_fma_f64 v[8:9], -v[4:5], v[6:7], 1.0
	v_fmac_f64_e32 v[6:7], v[6:7], v[8:9]
	v_fma_f64 v[8:9], -v[4:5], v[6:7], 1.0
	v_fmac_f64_e32 v[6:7], v[6:7], v[8:9]
	v_div_scale_f64 v[8:9], vcc, 1.0, v[10:11], 1.0
	v_mul_f64 v[12:13], v[8:9], v[6:7]
	v_fma_f64 v[4:5], -v[4:5], v[12:13], v[8:9]
                                        ; implicit-def: $vgpr8_vgpr9
	s_nop 1
	v_div_fmas_f64 v[4:5], v[4:5], v[6:7], v[12:13]
	v_div_fixup_f64 v[4:5], v[4:5], v[10:11], 1.0
	v_mul_f64 v[2:3], v[2:3], v[4:5]
	v_xor_b32_e32 v5, 0x80000000, v5
	v_xor_b32_e32 v7, 0x80000000, v3
	v_mov_b32_e32 v6, v2
.LBB49_4:
	s_or_saveexec_b64 s[0:1], s[0:1]
	v_add_u32_e32 v113, 0, v112
	s_xor_b64 exec, exec, s[0:1]
	s_cbranch_execz .LBB49_6
; %bb.5:
	v_div_scale_f64 v[2:3], s[2:3], v[8:9], v[8:9], v[10:11]
	v_rcp_f64_e32 v[4:5], v[2:3]
	v_div_scale_f64 v[6:7], vcc, v[10:11], v[8:9], v[10:11]
	v_fma_f64 v[12:13], -v[2:3], v[4:5], 1.0
	v_fmac_f64_e32 v[4:5], v[4:5], v[12:13]
	v_fma_f64 v[12:13], -v[2:3], v[4:5], 1.0
	v_fmac_f64_e32 v[4:5], v[4:5], v[12:13]
	v_mul_f64 v[12:13], v[6:7], v[4:5]
	v_fma_f64 v[2:3], -v[2:3], v[12:13], v[6:7]
	v_div_fmas_f64 v[2:3], v[2:3], v[4:5], v[12:13]
	v_div_fixup_f64 v[4:5], v[2:3], v[8:9], v[10:11]
	v_fmac_f64_e32 v[8:9], v[10:11], v[4:5]
	v_div_scale_f64 v[2:3], s[2:3], v[8:9], v[8:9], 1.0
	v_rcp_f64_e32 v[6:7], v[2:3]
	s_nop 0
	v_fma_f64 v[10:11], -v[2:3], v[6:7], 1.0
	v_fmac_f64_e32 v[6:7], v[6:7], v[10:11]
	v_fma_f64 v[10:11], -v[2:3], v[6:7], 1.0
	v_fmac_f64_e32 v[6:7], v[6:7], v[10:11]
	v_div_scale_f64 v[10:11], vcc, 1.0, v[8:9], 1.0
	v_mul_f64 v[12:13], v[10:11], v[6:7]
	v_fma_f64 v[2:3], -v[2:3], v[12:13], v[10:11]
	s_nop 1
	v_div_fmas_f64 v[2:3], v[2:3], v[6:7], v[12:13]
	v_div_fixup_f64 v[2:3], v[2:3], v[8:9], 1.0
	v_xor_b32_e32 v7, 0x80000000, v3
	v_mov_b32_e32 v6, v2
	v_mul_f64 v[4:5], v[4:5], -v[2:3]
.LBB49_6:
	s_or_b64 exec, exec, s[0:1]
	scratch_store_dwordx4 v113, v[2:5], off
	s_nop 1
	v_xor_b32_e32 v5, 0x80000000, v5
	s_branch .LBB49_8
.LBB49_7:
	v_mov_b64_e32 v[4:5], 0
	v_mov_b64_e32 v[6:7], -1.0
.LBB49_8:
	v_mov_b32_e32 v8, v4
	v_mov_b32_e32 v9, v5
	v_add_u32_e32 v158, 16, v1
	v_add_u32_e32 v157, 32, v1
	;; [unrolled: 1-line block ×49, first 2 shown]
	ds_write_b128 v112, v[6:9]
	s_cmpk_eq_i32 s4, 0x79
	v_add_u32_e32 v9, 0x320, v112
	v_add_u32_e32 v8, 0, v112
	s_cbranch_scc1 .LBB49_396
; %bb.9:
	scratch_load_dwordx4 v[2:5], v113, off
	v_cmp_eq_u32_e64 s[0:1], 49, v0
	s_waitcnt vmcnt(0)
	ds_write_b128 v9, v[2:5]
	s_waitcnt lgkmcnt(0)
	; wave barrier
	s_waitcnt lgkmcnt(0)
	s_and_saveexec_b64 s[2:3], s[0:1]
	s_cbranch_execz .LBB49_13
; %bb.10:
	ds_read_b128 v[2:5], v9
	s_andn2_b64 vcc, exec, s[6:7]
	s_cbranch_vccnz .LBB49_12
; %bb.11:
	scratch_load_dwordx4 v[160:163], v8, off
	s_waitcnt vmcnt(0) lgkmcnt(0)
	v_mul_f64 v[16:17], v[2:3], v[162:163]
	v_mul_f64 v[6:7], v[4:5], v[162:163]
	v_fmac_f64_e32 v[16:17], v[4:5], v[160:161]
	v_fma_f64 v[2:3], v[2:3], v[160:161], -v[6:7]
	v_mov_b64_e32 v[4:5], v[16:17]
.LBB49_12:
	v_mov_b32_e32 v6, 0
	ds_read_b128 v[160:163], v6 offset:768
	s_waitcnt lgkmcnt(0)
	v_mul_f64 v[6:7], v[4:5], v[162:163]
	v_mul_f64 v[164:165], v[2:3], v[162:163]
	v_fma_f64 v[162:163], v[2:3], v[160:161], -v[6:7]
	v_fmac_f64_e32 v[164:165], v[4:5], v[160:161]
	scratch_store_dwordx4 off, v[162:165], off offset:768
.LBB49_13:
	s_or_b64 exec, exec, s[2:3]
	scratch_load_dwordx4 v[2:5], v114, off
	v_cmp_lt_u32_e64 s[2:3], 47, v0
	s_waitcnt vmcnt(0)
	ds_write_b128 v9, v[2:5]
	s_waitcnt lgkmcnt(0)
	; wave barrier
	s_waitcnt lgkmcnt(0)
	s_and_saveexec_b64 s[4:5], s[2:3]
	s_cbranch_execz .LBB49_19
; %bb.14:
	ds_read_b128 v[2:5], v9
	s_andn2_b64 vcc, exec, s[6:7]
	s_cbranch_vccnz .LBB49_16
; %bb.15:
	scratch_load_dwordx4 v[160:163], v8, off
	s_waitcnt vmcnt(0) lgkmcnt(0)
	v_mul_f64 v[16:17], v[2:3], v[162:163]
	v_mul_f64 v[6:7], v[4:5], v[162:163]
	v_fmac_f64_e32 v[16:17], v[4:5], v[160:161]
	v_fma_f64 v[2:3], v[2:3], v[160:161], -v[6:7]
	v_mov_b64_e32 v[4:5], v[16:17]
.LBB49_16:
	s_and_saveexec_b64 s[8:9], s[0:1]
	s_cbranch_execz .LBB49_18
; %bb.17:
	scratch_load_dwordx4 v[160:163], off, off offset:768
	v_mov_b32_e32 v6, 0
	ds_read_b128 v[164:167], v6 offset:1568
	s_waitcnt vmcnt(0) lgkmcnt(0)
	v_mul_f64 v[6:7], v[164:165], v[162:163]
	v_mul_f64 v[16:17], v[166:167], v[162:163]
	v_fmac_f64_e32 v[6:7], v[166:167], v[160:161]
	v_fma_f64 v[16:17], v[164:165], v[160:161], -v[16:17]
	v_add_f64 v[4:5], v[4:5], v[6:7]
	v_add_f64 v[2:3], v[2:3], v[16:17]
.LBB49_18:
	s_or_b64 exec, exec, s[8:9]
	v_mov_b32_e32 v6, 0
	ds_read_b128 v[160:163], v6 offset:752
	s_waitcnt lgkmcnt(0)
	v_mul_f64 v[6:7], v[4:5], v[162:163]
	v_mul_f64 v[164:165], v[2:3], v[162:163]
	v_fma_f64 v[162:163], v[2:3], v[160:161], -v[6:7]
	v_fmac_f64_e32 v[164:165], v[4:5], v[160:161]
	scratch_store_dwordx4 off, v[162:165], off offset:752
.LBB49_19:
	s_or_b64 exec, exec, s[4:5]
	scratch_load_dwordx4 v[2:5], v115, off
	v_cmp_lt_u32_e64 s[0:1], 46, v0
	s_waitcnt vmcnt(0)
	ds_write_b128 v9, v[2:5]
	s_waitcnt lgkmcnt(0)
	; wave barrier
	s_waitcnt lgkmcnt(0)
	s_and_saveexec_b64 s[4:5], s[0:1]
	s_cbranch_execz .LBB49_27
; %bb.20:
	ds_read_b128 v[2:5], v9
	s_andn2_b64 vcc, exec, s[6:7]
	s_cbranch_vccnz .LBB49_22
; %bb.21:
	scratch_load_dwordx4 v[160:163], v8, off
	s_waitcnt vmcnt(0) lgkmcnt(0)
	v_mul_f64 v[16:17], v[2:3], v[162:163]
	v_mul_f64 v[6:7], v[4:5], v[162:163]
	v_fmac_f64_e32 v[16:17], v[4:5], v[160:161]
	v_fma_f64 v[2:3], v[2:3], v[160:161], -v[6:7]
	v_mov_b64_e32 v[4:5], v[16:17]
.LBB49_22:
	s_and_saveexec_b64 s[8:9], s[2:3]
	s_cbranch_execz .LBB49_26
; %bb.23:
	v_mov_b32_e32 v7, 0
	v_subrev_u32_e32 v6, 47, v0
	v_add_u32_e32 v7, 0x2f8, v7
	s_movk_i32 s10, 0x610
	s_mov_b64 s[2:3], 0
.LBB49_24:                              ; =>This Inner Loop Header: Depth=1
	v_add_u32_e32 v16, -8, v7
	scratch_load_dwordx4 v[160:163], v16, off
	v_mov_b32_e32 v16, s10
	ds_read_b128 v[164:167], v16
	v_add_u32_e32 v6, -1, v6
	s_add_i32 s10, s10, 16
	v_cmp_eq_u32_e32 vcc, 0, v6
	v_add_u32_e32 v7, 16, v7
	s_or_b64 s[2:3], vcc, s[2:3]
	s_waitcnt vmcnt(0) lgkmcnt(0)
	v_mul_f64 v[16:17], v[166:167], v[162:163]
	v_mul_f64 v[24:25], v[164:165], v[162:163]
	v_fma_f64 v[16:17], v[164:165], v[160:161], -v[16:17]
	v_fmac_f64_e32 v[24:25], v[166:167], v[160:161]
	v_add_f64 v[2:3], v[2:3], v[16:17]
	v_add_f64 v[4:5], v[4:5], v[24:25]
	s_andn2_b64 exec, exec, s[2:3]
	s_cbranch_execnz .LBB49_24
; %bb.25:
	s_or_b64 exec, exec, s[2:3]
.LBB49_26:
	s_or_b64 exec, exec, s[8:9]
	v_mov_b32_e32 v6, 0
	ds_read_b128 v[160:163], v6 offset:736
	s_waitcnt lgkmcnt(0)
	v_mul_f64 v[6:7], v[4:5], v[162:163]
	v_mul_f64 v[164:165], v[2:3], v[162:163]
	v_fma_f64 v[162:163], v[2:3], v[160:161], -v[6:7]
	v_fmac_f64_e32 v[164:165], v[4:5], v[160:161]
	scratch_store_dwordx4 off, v[162:165], off offset:736
.LBB49_27:
	s_or_b64 exec, exec, s[4:5]
	scratch_load_dwordx4 v[2:5], v116, off
	v_cmp_lt_u32_e64 s[2:3], 45, v0
	s_waitcnt vmcnt(0)
	ds_write_b128 v9, v[2:5]
	s_waitcnt lgkmcnt(0)
	; wave barrier
	s_waitcnt lgkmcnt(0)
	s_and_saveexec_b64 s[4:5], s[2:3]
	s_cbranch_execz .LBB49_35
; %bb.28:
	ds_read_b128 v[2:5], v9
	s_andn2_b64 vcc, exec, s[6:7]
	s_cbranch_vccnz .LBB49_30
; %bb.29:
	scratch_load_dwordx4 v[160:163], v8, off
	s_waitcnt vmcnt(0) lgkmcnt(0)
	v_mul_f64 v[16:17], v[2:3], v[162:163]
	v_mul_f64 v[6:7], v[4:5], v[162:163]
	v_fmac_f64_e32 v[16:17], v[4:5], v[160:161]
	v_fma_f64 v[2:3], v[2:3], v[160:161], -v[6:7]
	v_mov_b64_e32 v[4:5], v[16:17]
.LBB49_30:
	s_and_saveexec_b64 s[8:9], s[0:1]
	s_cbranch_execz .LBB49_34
; %bb.31:
	v_mov_b32_e32 v7, 0
	v_subrev_u32_e32 v6, 46, v0
	v_add_u32_e32 v7, 0x2e8, v7
	s_movk_i32 s10, 0x600
	s_mov_b64 s[0:1], 0
.LBB49_32:                              ; =>This Inner Loop Header: Depth=1
	v_add_u32_e32 v16, -8, v7
	scratch_load_dwordx4 v[160:163], v16, off
	v_mov_b32_e32 v16, s10
	ds_read_b128 v[164:167], v16
	v_add_u32_e32 v6, -1, v6
	s_add_i32 s10, s10, 16
	v_cmp_eq_u32_e32 vcc, 0, v6
	v_add_u32_e32 v7, 16, v7
	s_or_b64 s[0:1], vcc, s[0:1]
	s_waitcnt vmcnt(0) lgkmcnt(0)
	v_mul_f64 v[16:17], v[166:167], v[162:163]
	v_mul_f64 v[24:25], v[164:165], v[162:163]
	v_fma_f64 v[16:17], v[164:165], v[160:161], -v[16:17]
	v_fmac_f64_e32 v[24:25], v[166:167], v[160:161]
	v_add_f64 v[2:3], v[2:3], v[16:17]
	v_add_f64 v[4:5], v[4:5], v[24:25]
	s_andn2_b64 exec, exec, s[0:1]
	s_cbranch_execnz .LBB49_32
; %bb.33:
	s_or_b64 exec, exec, s[0:1]
.LBB49_34:
	s_or_b64 exec, exec, s[8:9]
	v_mov_b32_e32 v6, 0
	ds_read_b128 v[160:163], v6 offset:720
	s_waitcnt lgkmcnt(0)
	v_mul_f64 v[6:7], v[4:5], v[162:163]
	v_mul_f64 v[164:165], v[2:3], v[162:163]
	v_fma_f64 v[162:163], v[2:3], v[160:161], -v[6:7]
	v_fmac_f64_e32 v[164:165], v[4:5], v[160:161]
	scratch_store_dwordx4 off, v[162:165], off offset:720
.LBB49_35:
	;; [unrolled: 63-line block ×10, first 2 shown]
	s_or_b64 exec, exec, s[4:5]
	scratch_load_dwordx4 v[2:5], v123, off
	v_cmp_lt_u32_e64 s[0:1], 36, v0
	s_waitcnt vmcnt(0)
	ds_write_b128 v9, v[2:5]
	s_waitcnt lgkmcnt(0)
	; wave barrier
	s_waitcnt lgkmcnt(0)
	s_and_saveexec_b64 s[4:5], s[0:1]
	s_cbranch_execz .LBB49_107
; %bb.100:
	ds_read_b128 v[2:5], v9
	s_andn2_b64 vcc, exec, s[6:7]
	s_cbranch_vccnz .LBB49_102
; %bb.101:
	scratch_load_dwordx4 v[160:163], v8, off
	s_waitcnt vmcnt(0) lgkmcnt(0)
	v_mul_f64 v[16:17], v[2:3], v[162:163]
	v_mul_f64 v[6:7], v[4:5], v[162:163]
	v_fmac_f64_e32 v[16:17], v[4:5], v[160:161]
	v_fma_f64 v[2:3], v[2:3], v[160:161], -v[6:7]
	v_mov_b64_e32 v[4:5], v[16:17]
.LBB49_102:
	s_and_saveexec_b64 s[8:9], s[2:3]
	s_cbranch_execz .LBB49_106
; %bb.103:
	v_mov_b32_e32 v7, 0
	v_subrev_u32_e32 v6, 37, v0
	v_add_u32_e32 v7, 0x258, v7
	s_movk_i32 s10, 0x570
	s_mov_b64 s[2:3], 0
.LBB49_104:                             ; =>This Inner Loop Header: Depth=1
	v_add_u32_e32 v16, -8, v7
	scratch_load_dwordx4 v[160:163], v16, off
	v_mov_b32_e32 v16, s10
	ds_read_b128 v[164:167], v16
	v_add_u32_e32 v6, -1, v6
	s_add_i32 s10, s10, 16
	v_cmp_eq_u32_e32 vcc, 0, v6
	v_add_u32_e32 v7, 16, v7
	s_or_b64 s[2:3], vcc, s[2:3]
	s_waitcnt vmcnt(0) lgkmcnt(0)
	v_mul_f64 v[16:17], v[166:167], v[162:163]
	v_mul_f64 v[24:25], v[164:165], v[162:163]
	v_fma_f64 v[16:17], v[164:165], v[160:161], -v[16:17]
	v_fmac_f64_e32 v[24:25], v[166:167], v[160:161]
	v_add_f64 v[2:3], v[2:3], v[16:17]
	v_add_f64 v[4:5], v[4:5], v[24:25]
	s_andn2_b64 exec, exec, s[2:3]
	s_cbranch_execnz .LBB49_104
; %bb.105:
	s_or_b64 exec, exec, s[2:3]
.LBB49_106:
	s_or_b64 exec, exec, s[8:9]
	v_mov_b32_e32 v6, 0
	ds_read_b128 v[160:163], v6 offset:576
	s_waitcnt lgkmcnt(0)
	v_mul_f64 v[6:7], v[4:5], v[162:163]
	v_mul_f64 v[164:165], v[2:3], v[162:163]
	v_fma_f64 v[162:163], v[2:3], v[160:161], -v[6:7]
	v_fmac_f64_e32 v[164:165], v[4:5], v[160:161]
	scratch_store_dwordx4 off, v[162:165], off offset:576
.LBB49_107:
	s_or_b64 exec, exec, s[4:5]
	scratch_load_dwordx4 v[2:5], v124, off
	v_cmp_lt_u32_e64 s[2:3], 35, v0
	s_waitcnt vmcnt(0)
	ds_write_b128 v9, v[2:5]
	s_waitcnt lgkmcnt(0)
	; wave barrier
	s_waitcnt lgkmcnt(0)
	s_and_saveexec_b64 s[4:5], s[2:3]
	s_cbranch_execz .LBB49_115
; %bb.108:
	ds_read_b128 v[2:5], v9
	s_andn2_b64 vcc, exec, s[6:7]
	s_cbranch_vccnz .LBB49_110
; %bb.109:
	scratch_load_dwordx4 v[160:163], v8, off
	s_waitcnt vmcnt(0) lgkmcnt(0)
	v_mul_f64 v[16:17], v[2:3], v[162:163]
	v_mul_f64 v[6:7], v[4:5], v[162:163]
	v_fmac_f64_e32 v[16:17], v[4:5], v[160:161]
	v_fma_f64 v[2:3], v[2:3], v[160:161], -v[6:7]
	v_mov_b64_e32 v[4:5], v[16:17]
.LBB49_110:
	s_and_saveexec_b64 s[8:9], s[0:1]
	s_cbranch_execz .LBB49_114
; %bb.111:
	v_mov_b32_e32 v7, 0
	v_subrev_u32_e32 v6, 36, v0
	v_add_u32_e32 v7, 0x248, v7
	s_movk_i32 s10, 0x560
	s_mov_b64 s[0:1], 0
.LBB49_112:                             ; =>This Inner Loop Header: Depth=1
	v_add_u32_e32 v16, -8, v7
	scratch_load_dwordx4 v[160:163], v16, off
	v_mov_b32_e32 v16, s10
	ds_read_b128 v[164:167], v16
	v_add_u32_e32 v6, -1, v6
	s_add_i32 s10, s10, 16
	v_cmp_eq_u32_e32 vcc, 0, v6
	v_add_u32_e32 v7, 16, v7
	s_or_b64 s[0:1], vcc, s[0:1]
	s_waitcnt vmcnt(0) lgkmcnt(0)
	v_mul_f64 v[16:17], v[166:167], v[162:163]
	v_mul_f64 v[24:25], v[164:165], v[162:163]
	v_fma_f64 v[16:17], v[164:165], v[160:161], -v[16:17]
	v_fmac_f64_e32 v[24:25], v[166:167], v[160:161]
	v_add_f64 v[2:3], v[2:3], v[16:17]
	v_add_f64 v[4:5], v[4:5], v[24:25]
	s_andn2_b64 exec, exec, s[0:1]
	s_cbranch_execnz .LBB49_112
; %bb.113:
	s_or_b64 exec, exec, s[0:1]
.LBB49_114:
	s_or_b64 exec, exec, s[8:9]
	v_mov_b32_e32 v6, 0
	ds_read_b128 v[160:163], v6 offset:560
	s_waitcnt lgkmcnt(0)
	v_mul_f64 v[6:7], v[4:5], v[162:163]
	v_mul_f64 v[164:165], v[2:3], v[162:163]
	v_fma_f64 v[162:163], v[2:3], v[160:161], -v[6:7]
	v_fmac_f64_e32 v[164:165], v[4:5], v[160:161]
	scratch_store_dwordx4 off, v[162:165], off offset:560
.LBB49_115:
	;; [unrolled: 63-line block ×21, first 2 shown]
	s_or_b64 exec, exec, s[4:5]
	scratch_load_dwordx4 v[2:5], v144, off
	v_cmp_lt_u32_e64 s[2:3], 15, v0
	s_waitcnt vmcnt(0)
	ds_write_b128 v9, v[2:5]
	s_waitcnt lgkmcnt(0)
	; wave barrier
	s_waitcnt lgkmcnt(0)
	s_and_saveexec_b64 s[4:5], s[2:3]
	s_cbranch_execz .LBB49_275
; %bb.268:
	ds_read_b128 v[2:5], v9
	s_andn2_b64 vcc, exec, s[6:7]
	s_cbranch_vccnz .LBB49_270
; %bb.269:
	scratch_load_dwordx4 v[160:163], v8, off
	s_waitcnt vmcnt(0) lgkmcnt(0)
	v_mul_f64 v[16:17], v[2:3], v[162:163]
	v_mul_f64 v[6:7], v[4:5], v[162:163]
	v_fmac_f64_e32 v[16:17], v[4:5], v[160:161]
	v_fma_f64 v[2:3], v[2:3], v[160:161], -v[6:7]
	v_mov_b64_e32 v[4:5], v[16:17]
.LBB49_270:
	s_and_saveexec_b64 s[8:9], s[0:1]
	s_cbranch_execz .LBB49_274
; %bb.271:
	v_mov_b32_e32 v7, 0
	v_add_u32_e32 v6, -16, v0
	v_add_u32_e32 v7, 0x108, v7
	s_movk_i32 s10, 0x420
	s_mov_b64 s[0:1], 0
.LBB49_272:                             ; =>This Inner Loop Header: Depth=1
	v_add_u32_e32 v16, -8, v7
	scratch_load_dwordx4 v[160:163], v16, off
	v_mov_b32_e32 v16, s10
	ds_read_b128 v[164:167], v16
	v_add_u32_e32 v6, -1, v6
	s_add_i32 s10, s10, 16
	v_cmp_eq_u32_e32 vcc, 0, v6
	v_add_u32_e32 v7, 16, v7
	s_or_b64 s[0:1], vcc, s[0:1]
	s_waitcnt vmcnt(0) lgkmcnt(0)
	v_mul_f64 v[16:17], v[166:167], v[162:163]
	v_mul_f64 v[24:25], v[164:165], v[162:163]
	v_fma_f64 v[16:17], v[164:165], v[160:161], -v[16:17]
	v_fmac_f64_e32 v[24:25], v[166:167], v[160:161]
	v_add_f64 v[2:3], v[2:3], v[16:17]
	v_add_f64 v[4:5], v[4:5], v[24:25]
	s_andn2_b64 exec, exec, s[0:1]
	s_cbranch_execnz .LBB49_272
; %bb.273:
	s_or_b64 exec, exec, s[0:1]
.LBB49_274:
	s_or_b64 exec, exec, s[8:9]
	v_mov_b32_e32 v6, 0
	ds_read_b128 v[160:163], v6 offset:240
	s_waitcnt lgkmcnt(0)
	v_mul_f64 v[6:7], v[4:5], v[162:163]
	v_mul_f64 v[164:165], v[2:3], v[162:163]
	v_fma_f64 v[162:163], v[2:3], v[160:161], -v[6:7]
	v_fmac_f64_e32 v[164:165], v[4:5], v[160:161]
	scratch_store_dwordx4 off, v[162:165], off offset:240
.LBB49_275:
	s_or_b64 exec, exec, s[4:5]
	scratch_load_dwordx4 v[2:5], v145, off
	v_cmp_lt_u32_e64 s[0:1], 14, v0
	s_waitcnt vmcnt(0)
	ds_write_b128 v9, v[2:5]
	s_waitcnt lgkmcnt(0)
	; wave barrier
	s_waitcnt lgkmcnt(0)
	s_and_saveexec_b64 s[4:5], s[0:1]
	s_cbranch_execz .LBB49_283
; %bb.276:
	ds_read_b128 v[2:5], v9
	s_andn2_b64 vcc, exec, s[6:7]
	s_cbranch_vccnz .LBB49_278
; %bb.277:
	scratch_load_dwordx4 v[160:163], v8, off
	s_waitcnt vmcnt(0) lgkmcnt(0)
	v_mul_f64 v[16:17], v[2:3], v[162:163]
	v_mul_f64 v[6:7], v[4:5], v[162:163]
	v_fmac_f64_e32 v[16:17], v[4:5], v[160:161]
	v_fma_f64 v[2:3], v[2:3], v[160:161], -v[6:7]
	v_mov_b64_e32 v[4:5], v[16:17]
.LBB49_278:
	s_and_saveexec_b64 s[8:9], s[2:3]
	s_cbranch_execz .LBB49_282
; %bb.279:
	v_mov_b32_e32 v7, 0
	v_add_u32_e32 v6, -15, v0
	v_add_u32_e32 v7, 0xf8, v7
	s_movk_i32 s10, 0x410
	s_mov_b64 s[2:3], 0
.LBB49_280:                             ; =>This Inner Loop Header: Depth=1
	v_add_u32_e32 v16, -8, v7
	scratch_load_dwordx4 v[160:163], v16, off
	v_mov_b32_e32 v16, s10
	ds_read_b128 v[164:167], v16
	v_add_u32_e32 v6, -1, v6
	s_add_i32 s10, s10, 16
	v_cmp_eq_u32_e32 vcc, 0, v6
	v_add_u32_e32 v7, 16, v7
	s_or_b64 s[2:3], vcc, s[2:3]
	s_waitcnt vmcnt(0) lgkmcnt(0)
	v_mul_f64 v[16:17], v[166:167], v[162:163]
	v_mul_f64 v[24:25], v[164:165], v[162:163]
	v_fma_f64 v[16:17], v[164:165], v[160:161], -v[16:17]
	v_fmac_f64_e32 v[24:25], v[166:167], v[160:161]
	v_add_f64 v[2:3], v[2:3], v[16:17]
	v_add_f64 v[4:5], v[4:5], v[24:25]
	s_andn2_b64 exec, exec, s[2:3]
	s_cbranch_execnz .LBB49_280
; %bb.281:
	s_or_b64 exec, exec, s[2:3]
.LBB49_282:
	s_or_b64 exec, exec, s[8:9]
	v_mov_b32_e32 v6, 0
	ds_read_b128 v[160:163], v6 offset:224
	s_waitcnt lgkmcnt(0)
	v_mul_f64 v[6:7], v[4:5], v[162:163]
	v_mul_f64 v[164:165], v[2:3], v[162:163]
	v_fma_f64 v[162:163], v[2:3], v[160:161], -v[6:7]
	v_fmac_f64_e32 v[164:165], v[4:5], v[160:161]
	scratch_store_dwordx4 off, v[162:165], off offset:224
.LBB49_283:
	;; [unrolled: 63-line block ×15, first 2 shown]
	s_or_b64 exec, exec, s[2:3]
	scratch_load_dwordx4 v[2:5], off, off
	v_cmp_ne_u32_e32 vcc, 0, v0
	s_mov_b64 s[2:3], 0
	s_mov_b64 s[4:5], 0
                                        ; implicit-def: $vgpr6_vgpr7
                                        ; implicit-def: $vgpr159
	s_waitcnt vmcnt(0)
	ds_write_b128 v9, v[2:5]
	s_waitcnt lgkmcnt(0)
	; wave barrier
	s_waitcnt lgkmcnt(0)
	s_and_saveexec_b64 s[8:9], vcc
	s_cbranch_execz .LBB49_395
; %bb.388:
	ds_read_b128 v[2:5], v9
	s_andn2_b64 vcc, exec, s[6:7]
	s_cbranch_vccnz .LBB49_390
; %bb.389:
	scratch_load_dwordx4 v[160:163], v8, off
	s_waitcnt vmcnt(0) lgkmcnt(0)
	v_mul_f64 v[16:17], v[2:3], v[162:163]
	v_mul_f64 v[6:7], v[4:5], v[162:163]
	v_fmac_f64_e32 v[16:17], v[4:5], v[160:161]
	v_fma_f64 v[2:3], v[2:3], v[160:161], -v[6:7]
	v_mov_b64_e32 v[4:5], v[16:17]
.LBB49_390:
	s_and_saveexec_b64 s[4:5], s[0:1]
	s_cbranch_execz .LBB49_394
; %bb.391:
	v_mov_b32_e32 v7, 0
	v_add_u32_e32 v6, -1, v0
	v_add_u32_e32 v7, 24, v7
	s_movk_i32 s10, 0x330
	s_mov_b64 s[0:1], 0
.LBB49_392:                             ; =>This Inner Loop Header: Depth=1
	v_add_u32_e32 v16, -8, v7
	scratch_load_dwordx4 v[160:163], v16, off
	v_mov_b32_e32 v16, s10
	ds_read_b128 v[164:167], v16
	v_add_u32_e32 v6, -1, v6
	s_add_i32 s10, s10, 16
	v_cmp_eq_u32_e32 vcc, 0, v6
	v_add_u32_e32 v7, 16, v7
	s_or_b64 s[0:1], vcc, s[0:1]
	s_waitcnt vmcnt(0) lgkmcnt(0)
	v_mul_f64 v[16:17], v[166:167], v[162:163]
	v_mul_f64 v[24:25], v[164:165], v[162:163]
	v_fma_f64 v[16:17], v[164:165], v[160:161], -v[16:17]
	v_fmac_f64_e32 v[24:25], v[166:167], v[160:161]
	v_add_f64 v[2:3], v[2:3], v[16:17]
	v_add_f64 v[4:5], v[4:5], v[24:25]
	s_andn2_b64 exec, exec, s[0:1]
	s_cbranch_execnz .LBB49_392
; %bb.393:
	s_or_b64 exec, exec, s[0:1]
.LBB49_394:
	s_or_b64 exec, exec, s[4:5]
	v_mov_b32_e32 v6, 0
	ds_read_b128 v[160:163], v6
	v_mov_b32_e32 v6, 0
	v_or_b32_e32 v159, 8, v6
	s_mov_b64 s[4:5], exec
	s_waitcnt lgkmcnt(0)
	v_mul_f64 v[16:17], v[4:5], v[162:163]
	v_mul_f64 v[6:7], v[2:3], v[162:163]
	v_fma_f64 v[2:3], v[2:3], v[160:161], -v[16:17]
	v_fmac_f64_e32 v[6:7], v[4:5], v[160:161]
	scratch_store_dwordx2 off, v[2:3], off
.LBB49_395:
	s_or_b64 exec, exec, s[8:9]
	s_and_b64 vcc, exec, s[2:3]
	s_cbranch_vccnz .LBB49_397
	s_branch .LBB49_784
.LBB49_396:
	s_mov_b64 s[4:5], 0
                                        ; implicit-def: $vgpr6_vgpr7
                                        ; implicit-def: $vgpr159
	s_cbranch_execz .LBB49_784
.LBB49_397:
	scratch_load_dwordx4 v[2:5], v158, off
	v_cndmask_b32_e64 v6, 0, 1, s[6:7]
	v_cmp_eq_u32_e64 s[2:3], 0, v0
	v_cmp_ne_u32_e64 s[0:1], 1, v6
	s_waitcnt vmcnt(0)
	ds_write_b128 v9, v[2:5]
	s_waitcnt lgkmcnt(0)
	; wave barrier
	s_waitcnt lgkmcnt(0)
	s_and_saveexec_b64 s[6:7], s[2:3]
	s_cbranch_execz .LBB49_401
; %bb.398:
	ds_read_b128 v[2:5], v9
	s_and_b64 vcc, exec, s[0:1]
	s_cbranch_vccnz .LBB49_400
; %bb.399:
	scratch_load_dwordx4 v[160:163], v8, off
	s_waitcnt vmcnt(0) lgkmcnt(0)
	v_mul_f64 v[16:17], v[2:3], v[162:163]
	v_mul_f64 v[6:7], v[4:5], v[162:163]
	v_fmac_f64_e32 v[16:17], v[4:5], v[160:161]
	v_fma_f64 v[2:3], v[2:3], v[160:161], -v[6:7]
	v_mov_b64_e32 v[4:5], v[16:17]
.LBB49_400:
	v_mov_b32_e32 v6, 0
	ds_read_b128 v[160:163], v6 offset:16
	s_waitcnt lgkmcnt(0)
	v_mul_f64 v[6:7], v[4:5], v[162:163]
	v_mul_f64 v[164:165], v[2:3], v[162:163]
	v_fma_f64 v[162:163], v[2:3], v[160:161], -v[6:7]
	v_fmac_f64_e32 v[164:165], v[4:5], v[160:161]
	scratch_store_dwordx4 off, v[162:165], off offset:16
.LBB49_401:
	s_or_b64 exec, exec, s[6:7]
	scratch_load_dwordx4 v[2:5], v157, off
	v_cmp_gt_u32_e32 vcc, 2, v0
	s_waitcnt vmcnt(0)
	ds_write_b128 v9, v[2:5]
	s_waitcnt lgkmcnt(0)
	; wave barrier
	s_waitcnt lgkmcnt(0)
	s_and_saveexec_b64 s[6:7], vcc
	s_cbranch_execz .LBB49_407
; %bb.402:
	ds_read_b128 v[2:5], v9
	s_and_b64 vcc, exec, s[0:1]
	s_cbranch_vccnz .LBB49_404
; %bb.403:
	scratch_load_dwordx4 v[160:163], v8, off
	s_waitcnt vmcnt(0) lgkmcnt(0)
	v_mul_f64 v[16:17], v[2:3], v[162:163]
	v_mul_f64 v[6:7], v[4:5], v[162:163]
	v_fmac_f64_e32 v[16:17], v[4:5], v[160:161]
	v_fma_f64 v[2:3], v[2:3], v[160:161], -v[6:7]
	v_mov_b64_e32 v[4:5], v[16:17]
.LBB49_404:
	s_and_saveexec_b64 s[8:9], s[2:3]
	s_cbranch_execz .LBB49_406
; %bb.405:
	scratch_load_dwordx4 v[160:163], v8, off offset:16
	ds_read_b128 v[164:167], v9 offset:16
	s_waitcnt vmcnt(0) lgkmcnt(0)
	v_mul_f64 v[6:7], v[166:167], v[162:163]
	v_mul_f64 v[16:17], v[164:165], v[162:163]
	v_fma_f64 v[6:7], v[164:165], v[160:161], -v[6:7]
	v_fmac_f64_e32 v[16:17], v[166:167], v[160:161]
	v_add_f64 v[2:3], v[2:3], v[6:7]
	v_add_f64 v[4:5], v[4:5], v[16:17]
.LBB49_406:
	s_or_b64 exec, exec, s[8:9]
	v_mov_b32_e32 v6, 0
	ds_read_b128 v[160:163], v6 offset:32
	s_waitcnt lgkmcnt(0)
	v_mul_f64 v[6:7], v[4:5], v[162:163]
	v_mul_f64 v[164:165], v[2:3], v[162:163]
	v_fma_f64 v[162:163], v[2:3], v[160:161], -v[6:7]
	v_fmac_f64_e32 v[164:165], v[4:5], v[160:161]
	scratch_store_dwordx4 off, v[162:165], off offset:32
.LBB49_407:
	s_or_b64 exec, exec, s[6:7]
	scratch_load_dwordx4 v[2:5], v156, off
	v_cmp_gt_u32_e32 vcc, 3, v0
	s_waitcnt vmcnt(0)
	ds_write_b128 v9, v[2:5]
	s_waitcnt lgkmcnt(0)
	; wave barrier
	s_waitcnt lgkmcnt(0)
	s_and_saveexec_b64 s[6:7], vcc
	s_cbranch_execz .LBB49_415
; %bb.408:
	ds_read_b128 v[2:5], v9
	s_and_b64 vcc, exec, s[0:1]
	s_cbranch_vccnz .LBB49_410
; %bb.409:
	scratch_load_dwordx4 v[160:163], v8, off
	s_waitcnt vmcnt(0) lgkmcnt(0)
	v_mul_f64 v[16:17], v[2:3], v[162:163]
	v_mul_f64 v[6:7], v[4:5], v[162:163]
	v_fmac_f64_e32 v[16:17], v[4:5], v[160:161]
	v_fma_f64 v[2:3], v[2:3], v[160:161], -v[6:7]
	v_mov_b64_e32 v[4:5], v[16:17]
.LBB49_410:
	v_cmp_ne_u32_e32 vcc, 2, v0
	s_and_saveexec_b64 s[8:9], vcc
	s_cbranch_execz .LBB49_414
; %bb.411:
	scratch_load_dwordx4 v[160:163], v8, off offset:16
	ds_read_b128 v[164:167], v9 offset:16
	s_waitcnt vmcnt(0) lgkmcnt(0)
	v_mul_f64 v[6:7], v[166:167], v[162:163]
	v_mul_f64 v[16:17], v[164:165], v[162:163]
	v_fma_f64 v[6:7], v[164:165], v[160:161], -v[6:7]
	v_fmac_f64_e32 v[16:17], v[166:167], v[160:161]
	v_add_f64 v[2:3], v[2:3], v[6:7]
	v_add_f64 v[4:5], v[4:5], v[16:17]
	s_and_saveexec_b64 s[10:11], s[2:3]
	s_cbranch_execz .LBB49_413
; %bb.412:
	scratch_load_dwordx4 v[160:163], off, off offset:32
	v_mov_b32_e32 v6, 0
	ds_read_b128 v[164:167], v6 offset:832
	s_waitcnt vmcnt(0) lgkmcnt(0)
	v_mul_f64 v[6:7], v[164:165], v[162:163]
	v_mul_f64 v[16:17], v[166:167], v[162:163]
	v_fmac_f64_e32 v[6:7], v[166:167], v[160:161]
	v_fma_f64 v[16:17], v[164:165], v[160:161], -v[16:17]
	v_add_f64 v[4:5], v[4:5], v[6:7]
	v_add_f64 v[2:3], v[2:3], v[16:17]
.LBB49_413:
	s_or_b64 exec, exec, s[10:11]
.LBB49_414:
	s_or_b64 exec, exec, s[8:9]
	v_mov_b32_e32 v6, 0
	ds_read_b128 v[160:163], v6 offset:48
	s_waitcnt lgkmcnt(0)
	v_mul_f64 v[6:7], v[4:5], v[162:163]
	v_mul_f64 v[164:165], v[2:3], v[162:163]
	v_fma_f64 v[162:163], v[2:3], v[160:161], -v[6:7]
	v_fmac_f64_e32 v[164:165], v[4:5], v[160:161]
	scratch_store_dwordx4 off, v[162:165], off offset:48
.LBB49_415:
	s_or_b64 exec, exec, s[6:7]
	scratch_load_dwordx4 v[2:5], v155, off
	v_cmp_gt_u32_e32 vcc, 4, v0
	s_waitcnt vmcnt(0)
	ds_write_b128 v9, v[2:5]
	s_waitcnt lgkmcnt(0)
	; wave barrier
	s_waitcnt lgkmcnt(0)
	s_and_saveexec_b64 s[2:3], vcc
	s_cbranch_execz .LBB49_423
; %bb.416:
	ds_read_b128 v[2:5], v9
	s_and_b64 vcc, exec, s[0:1]
	s_cbranch_vccnz .LBB49_418
; %bb.417:
	scratch_load_dwordx4 v[160:163], v8, off
	s_waitcnt vmcnt(0) lgkmcnt(0)
	v_mul_f64 v[16:17], v[2:3], v[162:163]
	v_mul_f64 v[6:7], v[4:5], v[162:163]
	v_fmac_f64_e32 v[16:17], v[4:5], v[160:161]
	v_fma_f64 v[2:3], v[2:3], v[160:161], -v[6:7]
	v_mov_b64_e32 v[4:5], v[16:17]
.LBB49_418:
	v_cmp_ne_u32_e32 vcc, 3, v0
	s_and_saveexec_b64 s[6:7], vcc
	s_cbranch_execz .LBB49_422
; %bb.419:
	v_mov_b32_e32 v7, 0
	v_add_u32_e32 v6, 0x330, v112
	v_add3_u32 v7, v112, v7, 24
	s_mov_b64 s[8:9], 0
	v_mov_b32_e32 v159, v0
.LBB49_420:                             ; =>This Inner Loop Header: Depth=1
	v_add_u32_e32 v16, -8, v7
	scratch_load_dwordx4 v[160:163], v16, off
	ds_read_b128 v[164:167], v6
	v_add_u32_e32 v159, 1, v159
	v_cmp_lt_u32_e32 vcc, 2, v159
	v_add_u32_e32 v6, 16, v6
	v_add_u32_e32 v7, 16, v7
	s_or_b64 s[8:9], vcc, s[8:9]
	s_waitcnt vmcnt(0) lgkmcnt(0)
	v_mul_f64 v[16:17], v[166:167], v[162:163]
	v_mul_f64 v[24:25], v[164:165], v[162:163]
	v_fma_f64 v[16:17], v[164:165], v[160:161], -v[16:17]
	v_fmac_f64_e32 v[24:25], v[166:167], v[160:161]
	v_add_f64 v[2:3], v[2:3], v[16:17]
	v_add_f64 v[4:5], v[4:5], v[24:25]
	s_andn2_b64 exec, exec, s[8:9]
	s_cbranch_execnz .LBB49_420
; %bb.421:
	s_or_b64 exec, exec, s[8:9]
.LBB49_422:
	s_or_b64 exec, exec, s[6:7]
	v_mov_b32_e32 v6, 0
	ds_read_b128 v[160:163], v6 offset:64
	s_waitcnt lgkmcnt(0)
	v_mul_f64 v[6:7], v[4:5], v[162:163]
	v_mul_f64 v[164:165], v[2:3], v[162:163]
	v_fma_f64 v[162:163], v[2:3], v[160:161], -v[6:7]
	v_fmac_f64_e32 v[164:165], v[4:5], v[160:161]
	scratch_store_dwordx4 off, v[162:165], off offset:64
.LBB49_423:
	s_or_b64 exec, exec, s[2:3]
	scratch_load_dwordx4 v[2:5], v154, off
	v_cmp_gt_u32_e32 vcc, 5, v0
	s_waitcnt vmcnt(0)
	ds_write_b128 v9, v[2:5]
	s_waitcnt lgkmcnt(0)
	; wave barrier
	s_waitcnt lgkmcnt(0)
	s_and_saveexec_b64 s[2:3], vcc
	s_cbranch_execz .LBB49_431
; %bb.424:
	ds_read_b128 v[2:5], v9
	s_and_b64 vcc, exec, s[0:1]
	s_cbranch_vccnz .LBB49_426
; %bb.425:
	scratch_load_dwordx4 v[160:163], v8, off
	s_waitcnt vmcnt(0) lgkmcnt(0)
	v_mul_f64 v[16:17], v[2:3], v[162:163]
	v_mul_f64 v[6:7], v[4:5], v[162:163]
	v_fmac_f64_e32 v[16:17], v[4:5], v[160:161]
	v_fma_f64 v[2:3], v[2:3], v[160:161], -v[6:7]
	v_mov_b64_e32 v[4:5], v[16:17]
.LBB49_426:
	v_cmp_ne_u32_e32 vcc, 4, v0
	s_and_saveexec_b64 s[6:7], vcc
	s_cbranch_execz .LBB49_430
; %bb.427:
	v_mov_b32_e32 v7, 0
	v_add_u32_e32 v6, 0x330, v112
	v_add3_u32 v7, v112, v7, 24
	s_mov_b64 s[8:9], 0
	v_mov_b32_e32 v159, v0
.LBB49_428:                             ; =>This Inner Loop Header: Depth=1
	v_add_u32_e32 v16, -8, v7
	scratch_load_dwordx4 v[160:163], v16, off
	ds_read_b128 v[164:167], v6
	v_add_u32_e32 v159, 1, v159
	v_cmp_lt_u32_e32 vcc, 3, v159
	v_add_u32_e32 v6, 16, v6
	v_add_u32_e32 v7, 16, v7
	s_or_b64 s[8:9], vcc, s[8:9]
	s_waitcnt vmcnt(0) lgkmcnt(0)
	v_mul_f64 v[16:17], v[166:167], v[162:163]
	v_mul_f64 v[24:25], v[164:165], v[162:163]
	v_fma_f64 v[16:17], v[164:165], v[160:161], -v[16:17]
	v_fmac_f64_e32 v[24:25], v[166:167], v[160:161]
	v_add_f64 v[2:3], v[2:3], v[16:17]
	v_add_f64 v[4:5], v[4:5], v[24:25]
	s_andn2_b64 exec, exec, s[8:9]
	s_cbranch_execnz .LBB49_428
; %bb.429:
	s_or_b64 exec, exec, s[8:9]
.LBB49_430:
	s_or_b64 exec, exec, s[6:7]
	v_mov_b32_e32 v6, 0
	ds_read_b128 v[160:163], v6 offset:80
	s_waitcnt lgkmcnt(0)
	v_mul_f64 v[6:7], v[4:5], v[162:163]
	v_mul_f64 v[164:165], v[2:3], v[162:163]
	v_fma_f64 v[162:163], v[2:3], v[160:161], -v[6:7]
	v_fmac_f64_e32 v[164:165], v[4:5], v[160:161]
	scratch_store_dwordx4 off, v[162:165], off offset:80
.LBB49_431:
	;; [unrolled: 63-line block ×44, first 2 shown]
	s_or_b64 exec, exec, s[2:3]
	scratch_load_dwordx4 v[2:5], v113, off
	v_cmp_gt_u32_e64 s[2:3], 48, v0
	s_waitcnt vmcnt(0)
	ds_write_b128 v9, v[2:5]
	s_waitcnt lgkmcnt(0)
	; wave barrier
	s_waitcnt lgkmcnt(0)
	s_and_saveexec_b64 s[6:7], s[2:3]
	s_cbranch_execz .LBB49_775
; %bb.768:
	ds_read_b128 v[2:5], v9
	s_and_b64 vcc, exec, s[0:1]
	s_cbranch_vccnz .LBB49_770
; %bb.769:
	scratch_load_dwordx4 v[160:163], v8, off
	s_waitcnt vmcnt(0) lgkmcnt(0)
	v_mul_f64 v[16:17], v[2:3], v[162:163]
	v_mul_f64 v[6:7], v[4:5], v[162:163]
	v_fmac_f64_e32 v[16:17], v[4:5], v[160:161]
	v_fma_f64 v[2:3], v[2:3], v[160:161], -v[6:7]
	v_mov_b64_e32 v[4:5], v[16:17]
.LBB49_770:
	v_cmp_ne_u32_e32 vcc, 47, v0
	s_and_saveexec_b64 s[8:9], vcc
	s_cbranch_execz .LBB49_774
; %bb.771:
	v_mov_b32_e32 v7, 0
	v_add_u32_e32 v6, 0x330, v112
	v_add3_u32 v7, v112, v7, 24
	s_mov_b64 s[10:11], 0
	v_mov_b32_e32 v159, v0
.LBB49_772:                             ; =>This Inner Loop Header: Depth=1
	v_add_u32_e32 v16, -8, v7
	scratch_load_dwordx4 v[160:163], v16, off
	ds_read_b128 v[164:167], v6
	v_add_u32_e32 v159, 1, v159
	v_cmp_lt_u32_e32 vcc, 46, v159
	v_add_u32_e32 v6, 16, v6
	v_add_u32_e32 v7, 16, v7
	s_or_b64 s[10:11], vcc, s[10:11]
	s_waitcnt vmcnt(0) lgkmcnt(0)
	v_mul_f64 v[16:17], v[166:167], v[162:163]
	v_mul_f64 v[24:25], v[164:165], v[162:163]
	v_fma_f64 v[16:17], v[164:165], v[160:161], -v[16:17]
	v_fmac_f64_e32 v[24:25], v[166:167], v[160:161]
	v_add_f64 v[2:3], v[2:3], v[16:17]
	v_add_f64 v[4:5], v[4:5], v[24:25]
	s_andn2_b64 exec, exec, s[10:11]
	s_cbranch_execnz .LBB49_772
; %bb.773:
	s_or_b64 exec, exec, s[10:11]
.LBB49_774:
	s_or_b64 exec, exec, s[8:9]
	v_mov_b32_e32 v6, 0
	ds_read_b128 v[160:163], v6 offset:768
	s_waitcnt lgkmcnt(0)
	v_mul_f64 v[6:7], v[4:5], v[162:163]
	v_mul_f64 v[164:165], v[2:3], v[162:163]
	v_fma_f64 v[162:163], v[2:3], v[160:161], -v[6:7]
	v_fmac_f64_e32 v[164:165], v[4:5], v[160:161]
	scratch_store_dwordx4 off, v[162:165], off offset:768
.LBB49_775:
	s_or_b64 exec, exec, s[6:7]
	scratch_load_dwordx4 v[2:5], v1, off
	v_cmp_ne_u32_e32 vcc, 49, v0
                                        ; implicit-def: $vgpr6_vgpr7
                                        ; implicit-def: $vgpr159
	s_waitcnt vmcnt(0)
	ds_write_b128 v9, v[2:5]
	s_waitcnt lgkmcnt(0)
	; wave barrier
	s_waitcnt lgkmcnt(0)
	s_and_saveexec_b64 s[6:7], vcc
	s_cbranch_execz .LBB49_783
; %bb.776:
	ds_read_b128 v[2:5], v9
	s_and_b64 vcc, exec, s[0:1]
	s_cbranch_vccnz .LBB49_778
; %bb.777:
	scratch_load_dwordx4 v[6:9], v8, off
	s_waitcnt vmcnt(0) lgkmcnt(0)
	v_mul_f64 v[16:17], v[4:5], v[8:9]
	v_mul_f64 v[8:9], v[2:3], v[8:9]
	v_fmac_f64_e32 v[8:9], v[4:5], v[6:7]
	v_fma_f64 v[2:3], v[2:3], v[6:7], -v[16:17]
	v_mov_b64_e32 v[4:5], v[8:9]
.LBB49_778:
	s_and_saveexec_b64 s[0:1], s[2:3]
	s_cbranch_execz .LBB49_782
; %bb.779:
	v_mov_b32_e32 v7, 0
	v_add_u32_e32 v6, 0x330, v112
	v_add3_u32 v7, v112, v7, 24
	s_mov_b64 s[2:3], 0
.LBB49_780:                             ; =>This Inner Loop Header: Depth=1
	v_add_u32_e32 v8, -8, v7
	scratch_load_dwordx4 v[160:163], v8, off
	ds_read_b128 v[164:167], v6
	v_add_u32_e32 v0, 1, v0
	v_cmp_lt_u32_e32 vcc, 47, v0
	v_add_u32_e32 v6, 16, v6
	v_add_u32_e32 v7, 16, v7
	s_or_b64 s[2:3], vcc, s[2:3]
	s_waitcnt vmcnt(0) lgkmcnt(0)
	v_mul_f64 v[8:9], v[166:167], v[162:163]
	v_mul_f64 v[16:17], v[164:165], v[162:163]
	v_fma_f64 v[8:9], v[164:165], v[160:161], -v[8:9]
	v_fmac_f64_e32 v[16:17], v[166:167], v[160:161]
	v_add_f64 v[2:3], v[2:3], v[8:9]
	v_add_f64 v[4:5], v[4:5], v[16:17]
	s_andn2_b64 exec, exec, s[2:3]
	s_cbranch_execnz .LBB49_780
; %bb.781:
	s_or_b64 exec, exec, s[2:3]
.LBB49_782:
	s_or_b64 exec, exec, s[0:1]
	v_mov_b32_e32 v0, 0
	ds_read_b128 v[160:163], v0 offset:784
	v_mov_b32_e32 v0, 0
	v_add_u32_e32 v159, 0x318, v0
	s_or_b64 s[4:5], s[4:5], exec
	s_waitcnt lgkmcnt(0)
	v_mul_f64 v[8:9], v[4:5], v[162:163]
	v_mul_f64 v[6:7], v[2:3], v[162:163]
	v_fma_f64 v[2:3], v[2:3], v[160:161], -v[8:9]
	v_fmac_f64_e32 v[6:7], v[4:5], v[160:161]
	scratch_store_dwordx2 off, v[2:3], off offset:784
.LBB49_783:
	s_or_b64 exec, exec, s[6:7]
.LBB49_784:
	v_mov_b32_e32 v25, v117
	v_mov_b32_e32 v24, v116
	;; [unrolled: 1-line block ×5, first 2 shown]
	s_and_saveexec_b64 s[0:1], s[4:5]
	s_cbranch_execz .LBB49_786
; %bb.785:
	scratch_store_dwordx2 v159, v[6:7], off
.LBB49_786:
	s_or_b64 exec, exec, s[0:1]
	scratch_load_dwordx4 v[2:5], off, off
	scratch_load_dwordx4 v[6:9], v158, off
	s_nop 0
	scratch_load_dwordx4 v[158:161], v157, off
	scratch_load_dwordx4 v[162:165], v156, off
	scratch_load_dwordx4 v[166:169], v155, off
	s_nop 0
	scratch_load_dwordx4 v[154:157], v154, off
	s_nop 0
	scratch_load_dwordx4 v[170:173], v153, off
	scratch_load_dwordx4 v[174:177], v152, off
	scratch_load_dwordx4 v[178:181], v151, off
	s_nop 0
	;; [unrolled: 6-line block ×8, first 2 shown]
	scratch_load_dwordx4 v[126:129], v126, off
	s_waitcnt vmcnt(33)
	global_store_dwordx4 v[36:37], v[2:5], off
	scratch_load_dwordx4 v[2:5], v125, off
	s_nop 0
	scratch_load_dwordx4 v[112:115], v124, off
	s_waitcnt vmcnt(35)
	global_store_dwordx4 v[30:31], v[6:9], off
	scratch_load_dwordx4 v[6:9], v123, off
	s_nop 0
	scratch_load_dwordx4 v[122:125], v122, off
	s_waitcnt vmcnt(37)
	global_store_dwordx4 v[18:19], v[158:161], off
	scratch_load_dwordx4 v[158:161], v121, off
	s_nop 0
	scratch_load_dwordx4 v[116:119], v120, off
	s_waitcnt vmcnt(39)
	global_store_dwordx4 v[28:29], v[162:165], off
	scratch_load_dwordx4 v[28:31], v10, off
	s_nop 0
	scratch_load_dwordx4 v[162:165], v13, off
	s_waitcnt vmcnt(41)
	global_store_dwordx4 v[20:21], v[166:169], off
	scratch_load_dwordx4 v[18:21], v12, off
	s_nop 0
	scratch_load_dwordx4 v[166:169], v11, off
	s_waitcnt vmcnt(43)
	global_store_dwordx4 v[22:23], v[154:157], off
	v_accvgpr_read_b32 v23, a3
	scratch_load_dwordx4 v[154:157], v25, off
	scratch_load_dwordx4 v[10:13], v24, off
	v_accvgpr_read_b32 v22, a2
	s_waitcnt vmcnt(45)
	global_store_dwordx4 v[14:15], v[170:173], off
	scratch_load_dwordx4 v[170:173], v17, off
	s_nop 0
	scratch_load_dwordx4 v[14:17], v16, off
	s_waitcnt vmcnt(47)
	global_store_dwordx4 v[22:23], v[174:177], off
	scratch_load_dwordx4 v[174:177], v0, off
	s_nop 0
	scratch_load_dwordx4 v[22:25], v1, off
	v_accvgpr_read_b32 v0, a0
	v_accvgpr_read_b32 v1, a1
	s_waitcnt vmcnt(49)
	global_store_dwordx4 v[0:1], v[178:181], off
	s_waitcnt vmcnt(49)
	global_store_dwordx4 v[254:255], v[150:153], off
	;; [unrolled: 2-line block ×42, first 2 shown]
.LBB49_787:
	s_endpgm
	.section	.rodata,"a",@progbits
	.p2align	6, 0x0
	.amdhsa_kernel _ZN9rocsolver6v33100L18trti2_kernel_smallILi50E19rocblas_complex_numIdEPS3_EEv13rocblas_fill_17rocblas_diagonal_T1_iil
		.amdhsa_group_segment_fixed_size 1600
		.amdhsa_private_segment_fixed_size 816
		.amdhsa_kernarg_size 32
		.amdhsa_user_sgpr_count 2
		.amdhsa_user_sgpr_dispatch_ptr 0
		.amdhsa_user_sgpr_queue_ptr 0
		.amdhsa_user_sgpr_kernarg_segment_ptr 1
		.amdhsa_user_sgpr_dispatch_id 0
		.amdhsa_user_sgpr_kernarg_preload_length 0
		.amdhsa_user_sgpr_kernarg_preload_offset 0
		.amdhsa_user_sgpr_private_segment_size 0
		.amdhsa_uses_dynamic_stack 0
		.amdhsa_enable_private_segment 1
		.amdhsa_system_sgpr_workgroup_id_x 1
		.amdhsa_system_sgpr_workgroup_id_y 0
		.amdhsa_system_sgpr_workgroup_id_z 0
		.amdhsa_system_sgpr_workgroup_info 0
		.amdhsa_system_vgpr_workitem_id 0
		.amdhsa_next_free_vgpr 260
		.amdhsa_next_free_sgpr 12
		.amdhsa_accum_offset 256
		.amdhsa_reserve_vcc 1
		.amdhsa_float_round_mode_32 0
		.amdhsa_float_round_mode_16_64 0
		.amdhsa_float_denorm_mode_32 3
		.amdhsa_float_denorm_mode_16_64 3
		.amdhsa_dx10_clamp 1
		.amdhsa_ieee_mode 1
		.amdhsa_fp16_overflow 0
		.amdhsa_tg_split 0
		.amdhsa_exception_fp_ieee_invalid_op 0
		.amdhsa_exception_fp_denorm_src 0
		.amdhsa_exception_fp_ieee_div_zero 0
		.amdhsa_exception_fp_ieee_overflow 0
		.amdhsa_exception_fp_ieee_underflow 0
		.amdhsa_exception_fp_ieee_inexact 0
		.amdhsa_exception_int_div_zero 0
	.end_amdhsa_kernel
	.section	.text._ZN9rocsolver6v33100L18trti2_kernel_smallILi50E19rocblas_complex_numIdEPS3_EEv13rocblas_fill_17rocblas_diagonal_T1_iil,"axG",@progbits,_ZN9rocsolver6v33100L18trti2_kernel_smallILi50E19rocblas_complex_numIdEPS3_EEv13rocblas_fill_17rocblas_diagonal_T1_iil,comdat
.Lfunc_end49:
	.size	_ZN9rocsolver6v33100L18trti2_kernel_smallILi50E19rocblas_complex_numIdEPS3_EEv13rocblas_fill_17rocblas_diagonal_T1_iil, .Lfunc_end49-_ZN9rocsolver6v33100L18trti2_kernel_smallILi50E19rocblas_complex_numIdEPS3_EEv13rocblas_fill_17rocblas_diagonal_T1_iil
                                        ; -- End function
	.section	.AMDGPU.csdata,"",@progbits
; Kernel info:
; codeLenInByte = 33076
; NumSgprs: 18
; NumVgprs: 256
; NumAgprs: 4
; TotalNumVgprs: 260
; ScratchSize: 816
; MemoryBound: 0
; FloatMode: 240
; IeeeMode: 1
; LDSByteSize: 1600 bytes/workgroup (compile time only)
; SGPRBlocks: 2
; VGPRBlocks: 32
; NumSGPRsForWavesPerEU: 18
; NumVGPRsForWavesPerEU: 260
; AccumOffset: 256
; Occupancy: 1
; WaveLimiterHint : 0
; COMPUTE_PGM_RSRC2:SCRATCH_EN: 1
; COMPUTE_PGM_RSRC2:USER_SGPR: 2
; COMPUTE_PGM_RSRC2:TRAP_HANDLER: 0
; COMPUTE_PGM_RSRC2:TGID_X_EN: 1
; COMPUTE_PGM_RSRC2:TGID_Y_EN: 0
; COMPUTE_PGM_RSRC2:TGID_Z_EN: 0
; COMPUTE_PGM_RSRC2:TIDIG_COMP_CNT: 0
; COMPUTE_PGM_RSRC3_GFX90A:ACCUM_OFFSET: 63
; COMPUTE_PGM_RSRC3_GFX90A:TG_SPLIT: 0
	.section	.text._ZN9rocsolver6v33100L18trti2_kernel_smallILi51E19rocblas_complex_numIdEPS3_EEv13rocblas_fill_17rocblas_diagonal_T1_iil,"axG",@progbits,_ZN9rocsolver6v33100L18trti2_kernel_smallILi51E19rocblas_complex_numIdEPS3_EEv13rocblas_fill_17rocblas_diagonal_T1_iil,comdat
	.globl	_ZN9rocsolver6v33100L18trti2_kernel_smallILi51E19rocblas_complex_numIdEPS3_EEv13rocblas_fill_17rocblas_diagonal_T1_iil ; -- Begin function _ZN9rocsolver6v33100L18trti2_kernel_smallILi51E19rocblas_complex_numIdEPS3_EEv13rocblas_fill_17rocblas_diagonal_T1_iil
	.p2align	8
	.type	_ZN9rocsolver6v33100L18trti2_kernel_smallILi51E19rocblas_complex_numIdEPS3_EEv13rocblas_fill_17rocblas_diagonal_T1_iil,@function
_ZN9rocsolver6v33100L18trti2_kernel_smallILi51E19rocblas_complex_numIdEPS3_EEv13rocblas_fill_17rocblas_diagonal_T1_iil: ; @_ZN9rocsolver6v33100L18trti2_kernel_smallILi51E19rocblas_complex_numIdEPS3_EEv13rocblas_fill_17rocblas_diagonal_T1_iil
; %bb.0:
	v_cmp_gt_u32_e32 vcc, 51, v0
	s_and_saveexec_b64 s[4:5], vcc
	s_cbranch_execz .LBB50_803
; %bb.1:
	s_load_dwordx8 s[4:11], s[0:1], 0x0
	s_ashr_i32 s3, s2, 31
	v_lshlrev_b32_e32 v70, 4, v0
	v_mov_b32_e32 v71, 0
	v_mov_b32_e32 v1, 0
	s_waitcnt lgkmcnt(0)
	s_ashr_i32 s1, s8, 31
	s_mov_b32 s0, s8
	s_mul_i32 s8, s2, s11
	s_mul_hi_u32 s11, s2, s10
	s_add_i32 s8, s11, s8
	s_mul_i32 s3, s3, s10
	s_add_i32 s3, s8, s3
	s_mul_i32 s2, s2, s10
	s_lshl_b64 s[2:3], s[2:3], 4
	s_add_u32 s2, s6, s2
	s_addc_u32 s3, s7, s3
	s_lshl_b64 s[0:1], s[0:1], 4
	s_add_u32 s0, s2, s0
	s_addc_u32 s1, s3, s1
	v_lshl_add_u64 v[18:19], s[0:1], 0, v[70:71]
	s_ashr_i32 s3, s9, 31
	s_mov_b32 s2, s9
	v_lshl_add_u64 v[20:21], s[2:3], 4, v[18:19]
	s_add_i32 s2, s9, s9
	v_add_u32_e32 v2, s2, v0
	v_ashrrev_i32_e32 v3, 31, v2
	v_lshl_add_u64 v[22:23], v[2:3], 4, s[0:1]
	v_add_u32_e32 v2, s9, v2
	v_ashrrev_i32_e32 v3, 31, v2
	v_lshl_add_u64 v[24:25], v[2:3], 4, s[0:1]
	;; [unrolled: 3-line block ×6, first 2 shown]
	v_add_u32_e32 v2, s9, v2
	v_ashrrev_i32_e32 v3, 31, v2
	v_add_u32_e32 v4, s9, v2
	v_lshl_add_u64 v[34:35], v[2:3], 4, s[0:1]
	v_ashrrev_i32_e32 v5, 31, v4
	v_add_u32_e32 v2, s9, v4
	v_lshl_add_u64 v[6:7], v[4:5], 4, s[0:1]
	;; [unrolled: 3-line block ×6, first 2 shown]
	v_ashrrev_i32_e32 v3, 31, v2
	global_load_dwordx4 v[56:59], v70, s[0:1]
	global_load_dwordx4 v[60:63], v[20:21], off
	global_load_dwordx4 v[64:67], v[22:23], off
	;; [unrolled: 1-line block ×12, first 2 shown]
	v_lshl_add_u64 v[46:47], v[2:3], 4, s[0:1]
	global_load_dwordx4 v[112:115], v[44:45], off
	global_load_dwordx4 v[116:119], v[46:47], off
	v_add_u32_e32 v2, s9, v2
	v_add_u32_e32 v4, s9, v2
	;; [unrolled: 1-line block ×4, first 2 shown]
	v_ashrrev_i32_e32 v3, 31, v2
	v_ashrrev_i32_e32 v11, 31, v10
	v_add_u32_e32 v36, s9, v12
	v_accvgpr_write_b32 a0, v6
	v_lshl_add_u64 v[48:49], v[2:3], 4, s[0:1]
	v_ashrrev_i32_e32 v5, 31, v4
	v_lshl_add_u64 v[52:53], v[10:11], 4, s[0:1]
	v_ashrrev_i32_e32 v13, 31, v12
	v_ashrrev_i32_e32 v37, 31, v36
	v_accvgpr_write_b32 a1, v7
	v_lshl_add_u64 v[50:51], v[4:5], 4, s[0:1]
	global_load_dwordx4 v[2:5], v[48:49], off
	global_load_dwordx4 v[6:9], v[50:51], off
	v_lshl_add_u64 v[54:55], v[12:13], 4, s[0:1]
	global_load_dwordx4 v[10:13], v[52:53], off
	global_load_dwordx4 v[14:17], v[54:55], off
	s_cmpk_lg_i32 s5, 0x84
	s_cselect_b64 s[6:7], -1, 0
	s_cmpk_eq_i32 s5, 0x84
	s_waitcnt vmcnt(18)
	scratch_store_dwordx4 off, v[56:59], off
	s_waitcnt vmcnt(18)
	scratch_store_dwordx4 off, v[60:63], off offset:16
	s_waitcnt vmcnt(18)
	scratch_store_dwordx4 off, v[64:67], off offset:32
	;; [unrolled: 2-line block ×14, first 2 shown]
	v_lshl_add_u64 v[56:57], v[36:37], 4, s[0:1]
	v_add_u32_e32 v36, s9, v36
	v_ashrrev_i32_e32 v37, 31, v36
	v_lshl_add_u64 v[58:59], v[36:37], 4, s[0:1]
	v_add_u32_e32 v36, s9, v36
	v_ashrrev_i32_e32 v37, 31, v36
	;; [unrolled: 3-line block ×31, first 2 shown]
	global_load_dwordx4 v[122:125], v[56:57], off
	global_load_dwordx4 v[126:129], v[58:59], off
	global_load_dwordx4 v[130:133], v[60:61], off
	global_load_dwordx4 v[134:137], v[62:63], off
	global_load_dwordx4 v[138:141], v[64:65], off
	global_load_dwordx4 v[142:145], v[66:67], off
	global_load_dwordx4 v[146:149], v[68:69], off
	global_load_dwordx4 v[150:153], v[72:73], off
	global_load_dwordx4 v[154:157], v[74:75], off
	global_load_dwordx4 v[158:161], v[76:77], off
	global_load_dwordx4 v[162:165], v[78:79], off
	global_load_dwordx4 v[166:169], v[80:81], off
	global_load_dwordx4 v[170:173], v[82:83], off
	global_load_dwordx4 v[174:177], v[84:85], off
	global_load_dwordx4 v[178:181], v[86:87], off
	global_load_dwordx4 v[182:185], v[88:89], off
	global_load_dwordx4 v[186:189], v[90:91], off
	global_load_dwordx4 v[190:193], v[92:93], off
	global_load_dwordx4 v[194:197], v[94:95], off
	global_load_dwordx4 v[198:201], v[96:97], off
	global_load_dwordx4 v[202:205], v[98:99], off
	global_load_dwordx4 v[206:209], v[100:101], off
	global_load_dwordx4 v[210:213], v[102:103], off
	global_load_dwordx4 v[214:217], v[104:105], off
	global_load_dwordx4 v[218:221], v[106:107], off
	global_load_dwordx4 v[222:225], v[108:109], off
	global_load_dwordx4 v[226:229], v[110:111], off
	global_load_dwordx4 v[230:233], v[112:113], off
	global_load_dwordx4 v[234:237], v[114:115], off
	global_load_dwordx4 v[238:241], v[116:117], off
	v_lshl_add_u64 v[120:121], v[36:37], 4, s[0:1]
	global_load_dwordx4 v[242:245], v[118:119], off
	global_load_dwordx4 v[246:249], v[120:121], off
	s_waitcnt vmcnt(50)
	scratch_store_dwordx4 off, v[2:5], off offset:240
	s_waitcnt vmcnt(50)
	scratch_store_dwordx4 off, v[6:9], off offset:256
	;; [unrolled: 2-line block ×36, first 2 shown]
	s_cbranch_scc1 .LBB50_7
; %bb.2:
	scratch_load_dwordx4 v[8:11], v70, off
                                        ; implicit-def: $vgpr6_vgpr7
	s_waitcnt vmcnt(0)
	v_xor_b32_e32 v3, 0x80000000, v9
	v_cmp_gt_f64_e32 vcc, 0, v[8:9]
	v_xor_b32_e32 v4, 0x80000000, v11
	v_mov_b32_e32 v2, v8
	v_cndmask_b32_e32 v3, v9, v3, vcc
	v_cmp_gt_f64_e32 vcc, 0, v[10:11]
	s_nop 1
	v_cndmask_b32_e32 v5, v11, v4, vcc
	v_mov_b32_e32 v4, v10
	v_cmp_ngt_f64_e32 vcc, v[2:3], v[4:5]
                                        ; implicit-def: $vgpr2_vgpr3
	s_and_saveexec_b64 s[0:1], vcc
	s_xor_b64 s[0:1], exec, s[0:1]
	s_cbranch_execz .LBB50_4
; %bb.3:
	v_div_scale_f64 v[2:3], s[2:3], v[10:11], v[10:11], v[8:9]
	v_rcp_f64_e32 v[4:5], v[2:3]
	v_div_scale_f64 v[6:7], vcc, v[8:9], v[10:11], v[8:9]
	v_fma_f64 v[12:13], -v[2:3], v[4:5], 1.0
	v_fmac_f64_e32 v[4:5], v[4:5], v[12:13]
	v_fma_f64 v[12:13], -v[2:3], v[4:5], 1.0
	v_fmac_f64_e32 v[4:5], v[4:5], v[12:13]
	v_mul_f64 v[12:13], v[6:7], v[4:5]
	v_fma_f64 v[2:3], -v[2:3], v[12:13], v[6:7]
	v_div_fmas_f64 v[2:3], v[2:3], v[4:5], v[12:13]
	v_div_fixup_f64 v[2:3], v[2:3], v[10:11], v[8:9]
	v_fmac_f64_e32 v[10:11], v[8:9], v[2:3]
	v_div_scale_f64 v[4:5], s[2:3], v[10:11], v[10:11], 1.0
	v_rcp_f64_e32 v[6:7], v[4:5]
	s_nop 0
	v_fma_f64 v[8:9], -v[4:5], v[6:7], 1.0
	v_fmac_f64_e32 v[6:7], v[6:7], v[8:9]
	v_fma_f64 v[8:9], -v[4:5], v[6:7], 1.0
	v_fmac_f64_e32 v[6:7], v[6:7], v[8:9]
	v_div_scale_f64 v[8:9], vcc, 1.0, v[10:11], 1.0
	v_mul_f64 v[12:13], v[8:9], v[6:7]
	v_fma_f64 v[4:5], -v[4:5], v[12:13], v[8:9]
                                        ; implicit-def: $vgpr8_vgpr9
	s_nop 1
	v_div_fmas_f64 v[4:5], v[4:5], v[6:7], v[12:13]
	v_div_fixup_f64 v[4:5], v[4:5], v[10:11], 1.0
	v_mul_f64 v[2:3], v[2:3], v[4:5]
	v_xor_b32_e32 v5, 0x80000000, v5
	v_xor_b32_e32 v7, 0x80000000, v3
	v_mov_b32_e32 v6, v2
.LBB50_4:
	s_or_saveexec_b64 s[0:1], s[0:1]
	v_add_u32_e32 v12, 0, v70
	s_xor_b64 exec, exec, s[0:1]
	s_cbranch_execz .LBB50_6
; %bb.5:
	v_div_scale_f64 v[2:3], s[2:3], v[8:9], v[8:9], v[10:11]
	v_rcp_f64_e32 v[4:5], v[2:3]
	v_div_scale_f64 v[6:7], vcc, v[10:11], v[8:9], v[10:11]
	v_fma_f64 v[14:15], -v[2:3], v[4:5], 1.0
	v_fmac_f64_e32 v[4:5], v[4:5], v[14:15]
	v_fma_f64 v[14:15], -v[2:3], v[4:5], 1.0
	v_fmac_f64_e32 v[4:5], v[4:5], v[14:15]
	v_mul_f64 v[14:15], v[6:7], v[4:5]
	v_fma_f64 v[2:3], -v[2:3], v[14:15], v[6:7]
	v_div_fmas_f64 v[2:3], v[2:3], v[4:5], v[14:15]
	v_div_fixup_f64 v[4:5], v[2:3], v[8:9], v[10:11]
	v_fmac_f64_e32 v[8:9], v[10:11], v[4:5]
	v_div_scale_f64 v[2:3], s[2:3], v[8:9], v[8:9], 1.0
	v_rcp_f64_e32 v[6:7], v[2:3]
	s_nop 0
	v_fma_f64 v[10:11], -v[2:3], v[6:7], 1.0
	v_fmac_f64_e32 v[6:7], v[6:7], v[10:11]
	v_fma_f64 v[10:11], -v[2:3], v[6:7], 1.0
	v_fmac_f64_e32 v[6:7], v[6:7], v[10:11]
	v_div_scale_f64 v[10:11], vcc, 1.0, v[8:9], 1.0
	v_mul_f64 v[14:15], v[10:11], v[6:7]
	v_fma_f64 v[2:3], -v[2:3], v[14:15], v[10:11]
	s_nop 1
	v_div_fmas_f64 v[2:3], v[2:3], v[6:7], v[14:15]
	v_div_fixup_f64 v[2:3], v[2:3], v[8:9], 1.0
	v_xor_b32_e32 v7, 0x80000000, v3
	v_mov_b32_e32 v6, v2
	v_mul_f64 v[4:5], v[4:5], -v[2:3]
.LBB50_6:
	s_or_b64 exec, exec, s[0:1]
	scratch_store_dwordx4 v12, v[2:5], off
	s_nop 1
	v_xor_b32_e32 v5, 0x80000000, v5
	s_branch .LBB50_8
.LBB50_7:
	v_mov_b64_e32 v[4:5], 0
	v_mov_b64_e32 v[6:7], -1.0
.LBB50_8:
	v_mov_b32_e32 v8, v4
	v_mov_b32_e32 v9, v5
	v_add_u32_e32 v161, 16, v1
	v_add_u32_e32 v160, 32, v1
	;; [unrolled: 1-line block ×50, first 2 shown]
	ds_write_b128 v70, v[6:9]
	s_cmpk_eq_i32 s4, 0x79
	v_add_u32_e32 v9, 0x330, v70
	v_add_u32_e32 v8, 0, v70
	s_cbranch_scc1 .LBB50_404
; %bb.9:
	scratch_load_dwordx4 v[2:5], v36, off
	v_cmp_eq_u32_e64 s[0:1], 50, v0
	s_waitcnt vmcnt(0)
	ds_write_b128 v9, v[2:5]
	s_waitcnt lgkmcnt(0)
	; wave barrier
	s_waitcnt lgkmcnt(0)
	s_and_saveexec_b64 s[2:3], s[0:1]
	s_cbranch_execz .LBB50_13
; %bb.10:
	ds_read_b128 v[2:5], v9
	s_andn2_b64 vcc, exec, s[6:7]
	s_cbranch_vccnz .LBB50_12
; %bb.11:
	scratch_load_dwordx4 v[162:165], v8, off
	s_waitcnt vmcnt(0) lgkmcnt(0)
	v_mul_f64 v[10:11], v[2:3], v[164:165]
	v_mul_f64 v[6:7], v[4:5], v[164:165]
	v_fmac_f64_e32 v[10:11], v[4:5], v[162:163]
	v_fma_f64 v[2:3], v[2:3], v[162:163], -v[6:7]
	v_mov_b64_e32 v[4:5], v[10:11]
.LBB50_12:
	v_mov_b32_e32 v6, 0
	ds_read_b128 v[162:165], v6 offset:784
	s_waitcnt lgkmcnt(0)
	v_mul_f64 v[6:7], v[4:5], v[164:165]
	v_mul_f64 v[166:167], v[2:3], v[164:165]
	v_fma_f64 v[164:165], v[2:3], v[162:163], -v[6:7]
	v_fmac_f64_e32 v[166:167], v[4:5], v[162:163]
	scratch_store_dwordx4 off, v[164:167], off offset:784
.LBB50_13:
	s_or_b64 exec, exec, s[2:3]
	scratch_load_dwordx4 v[2:5], v37, off
	v_cmp_lt_u32_e64 s[2:3], 48, v0
	s_waitcnt vmcnt(0)
	ds_write_b128 v9, v[2:5]
	s_waitcnt lgkmcnt(0)
	; wave barrier
	s_waitcnt lgkmcnt(0)
	s_and_saveexec_b64 s[4:5], s[2:3]
	s_cbranch_execz .LBB50_19
; %bb.14:
	ds_read_b128 v[2:5], v9
	s_andn2_b64 vcc, exec, s[6:7]
	s_cbranch_vccnz .LBB50_16
; %bb.15:
	scratch_load_dwordx4 v[162:165], v8, off
	s_waitcnt vmcnt(0) lgkmcnt(0)
	v_mul_f64 v[10:11], v[2:3], v[164:165]
	v_mul_f64 v[6:7], v[4:5], v[164:165]
	v_fmac_f64_e32 v[10:11], v[4:5], v[162:163]
	v_fma_f64 v[2:3], v[2:3], v[162:163], -v[6:7]
	v_mov_b64_e32 v[4:5], v[10:11]
.LBB50_16:
	s_and_saveexec_b64 s[8:9], s[0:1]
	s_cbranch_execz .LBB50_18
; %bb.17:
	scratch_load_dwordx4 v[162:165], off, off offset:784
	v_mov_b32_e32 v6, 0
	ds_read_b128 v[166:169], v6 offset:1600
	s_waitcnt vmcnt(0) lgkmcnt(0)
	v_mul_f64 v[6:7], v[166:167], v[164:165]
	v_mul_f64 v[10:11], v[168:169], v[164:165]
	v_fmac_f64_e32 v[6:7], v[168:169], v[162:163]
	v_fma_f64 v[10:11], v[166:167], v[162:163], -v[10:11]
	v_add_f64 v[4:5], v[4:5], v[6:7]
	v_add_f64 v[2:3], v[2:3], v[10:11]
.LBB50_18:
	s_or_b64 exec, exec, s[8:9]
	v_mov_b32_e32 v6, 0
	ds_read_b128 v[162:165], v6 offset:768
	s_waitcnt lgkmcnt(0)
	v_mul_f64 v[6:7], v[4:5], v[164:165]
	v_mul_f64 v[166:167], v[2:3], v[164:165]
	v_fma_f64 v[164:165], v[2:3], v[162:163], -v[6:7]
	v_fmac_f64_e32 v[166:167], v[4:5], v[162:163]
	scratch_store_dwordx4 off, v[164:167], off offset:768
.LBB50_19:
	s_or_b64 exec, exec, s[4:5]
	scratch_load_dwordx4 v[2:5], v172, off
	v_cmp_lt_u32_e64 s[0:1], 47, v0
	s_waitcnt vmcnt(0)
	ds_write_b128 v9, v[2:5]
	s_waitcnt lgkmcnt(0)
	; wave barrier
	s_waitcnt lgkmcnt(0)
	s_and_saveexec_b64 s[4:5], s[0:1]
	s_cbranch_execz .LBB50_27
; %bb.20:
	ds_read_b128 v[2:5], v9
	s_andn2_b64 vcc, exec, s[6:7]
	s_cbranch_vccnz .LBB50_22
; %bb.21:
	scratch_load_dwordx4 v[162:165], v8, off
	s_waitcnt vmcnt(0) lgkmcnt(0)
	v_mul_f64 v[10:11], v[2:3], v[164:165]
	v_mul_f64 v[6:7], v[4:5], v[164:165]
	v_fmac_f64_e32 v[10:11], v[4:5], v[162:163]
	v_fma_f64 v[2:3], v[2:3], v[162:163], -v[6:7]
	v_mov_b64_e32 v[4:5], v[10:11]
.LBB50_22:
	s_and_saveexec_b64 s[8:9], s[2:3]
	s_cbranch_execz .LBB50_26
; %bb.23:
	v_mov_b32_e32 v7, 0
	v_subrev_u32_e32 v6, 48, v0
	v_add_u32_e32 v7, 0x308, v7
	s_movk_i32 s10, 0x630
	s_mov_b64 s[2:3], 0
.LBB50_24:                              ; =>This Inner Loop Header: Depth=1
	v_add_u32_e32 v10, -8, v7
	scratch_load_dwordx4 v[162:165], v10, off
	v_mov_b32_e32 v10, s10
	ds_read_b128 v[166:169], v10
	v_add_u32_e32 v6, -1, v6
	s_add_i32 s10, s10, 16
	v_cmp_eq_u32_e32 vcc, 0, v6
	v_add_u32_e32 v7, 16, v7
	s_or_b64 s[2:3], vcc, s[2:3]
	s_waitcnt vmcnt(0) lgkmcnt(0)
	v_mul_f64 v[10:11], v[168:169], v[164:165]
	v_mul_f64 v[12:13], v[166:167], v[164:165]
	v_fma_f64 v[10:11], v[166:167], v[162:163], -v[10:11]
	v_fmac_f64_e32 v[12:13], v[168:169], v[162:163]
	v_add_f64 v[2:3], v[2:3], v[10:11]
	v_add_f64 v[4:5], v[4:5], v[12:13]
	s_andn2_b64 exec, exec, s[2:3]
	s_cbranch_execnz .LBB50_24
; %bb.25:
	s_or_b64 exec, exec, s[2:3]
.LBB50_26:
	s_or_b64 exec, exec, s[8:9]
	v_mov_b32_e32 v6, 0
	ds_read_b128 v[162:165], v6 offset:752
	s_waitcnt lgkmcnt(0)
	v_mul_f64 v[6:7], v[4:5], v[164:165]
	v_mul_f64 v[166:167], v[2:3], v[164:165]
	v_fma_f64 v[164:165], v[2:3], v[162:163], -v[6:7]
	v_fmac_f64_e32 v[166:167], v[4:5], v[162:163]
	scratch_store_dwordx4 off, v[164:167], off offset:752
.LBB50_27:
	s_or_b64 exec, exec, s[4:5]
	scratch_load_dwordx4 v[2:5], v173, off
	v_cmp_lt_u32_e64 s[2:3], 46, v0
	s_waitcnt vmcnt(0)
	ds_write_b128 v9, v[2:5]
	s_waitcnt lgkmcnt(0)
	; wave barrier
	s_waitcnt lgkmcnt(0)
	s_and_saveexec_b64 s[4:5], s[2:3]
	s_cbranch_execz .LBB50_35
; %bb.28:
	ds_read_b128 v[2:5], v9
	s_andn2_b64 vcc, exec, s[6:7]
	s_cbranch_vccnz .LBB50_30
; %bb.29:
	scratch_load_dwordx4 v[162:165], v8, off
	s_waitcnt vmcnt(0) lgkmcnt(0)
	v_mul_f64 v[10:11], v[2:3], v[164:165]
	v_mul_f64 v[6:7], v[4:5], v[164:165]
	v_fmac_f64_e32 v[10:11], v[4:5], v[162:163]
	v_fma_f64 v[2:3], v[2:3], v[162:163], -v[6:7]
	v_mov_b64_e32 v[4:5], v[10:11]
.LBB50_30:
	s_and_saveexec_b64 s[8:9], s[0:1]
	s_cbranch_execz .LBB50_34
; %bb.31:
	v_mov_b32_e32 v7, 0
	v_subrev_u32_e32 v6, 47, v0
	v_add_u32_e32 v7, 0x2f8, v7
	s_movk_i32 s10, 0x620
	s_mov_b64 s[0:1], 0
.LBB50_32:                              ; =>This Inner Loop Header: Depth=1
	v_add_u32_e32 v10, -8, v7
	scratch_load_dwordx4 v[162:165], v10, off
	v_mov_b32_e32 v10, s10
	ds_read_b128 v[166:169], v10
	v_add_u32_e32 v6, -1, v6
	s_add_i32 s10, s10, 16
	v_cmp_eq_u32_e32 vcc, 0, v6
	v_add_u32_e32 v7, 16, v7
	s_or_b64 s[0:1], vcc, s[0:1]
	s_waitcnt vmcnt(0) lgkmcnt(0)
	v_mul_f64 v[10:11], v[168:169], v[164:165]
	v_mul_f64 v[12:13], v[166:167], v[164:165]
	v_fma_f64 v[10:11], v[166:167], v[162:163], -v[10:11]
	v_fmac_f64_e32 v[12:13], v[168:169], v[162:163]
	v_add_f64 v[2:3], v[2:3], v[10:11]
	v_add_f64 v[4:5], v[4:5], v[12:13]
	s_andn2_b64 exec, exec, s[0:1]
	s_cbranch_execnz .LBB50_32
; %bb.33:
	s_or_b64 exec, exec, s[0:1]
.LBB50_34:
	s_or_b64 exec, exec, s[8:9]
	v_mov_b32_e32 v6, 0
	ds_read_b128 v[162:165], v6 offset:736
	s_waitcnt lgkmcnt(0)
	v_mul_f64 v[6:7], v[4:5], v[164:165]
	v_mul_f64 v[166:167], v[2:3], v[164:165]
	v_fma_f64 v[164:165], v[2:3], v[162:163], -v[6:7]
	v_fmac_f64_e32 v[166:167], v[4:5], v[162:163]
	scratch_store_dwordx4 off, v[164:167], off offset:736
.LBB50_35:
	;; [unrolled: 63-line block ×10, first 2 shown]
	s_or_b64 exec, exec, s[4:5]
	scratch_load_dwordx4 v[2:5], v125, off
	v_cmp_lt_u32_e64 s[0:1], 37, v0
	s_waitcnt vmcnt(0)
	ds_write_b128 v9, v[2:5]
	s_waitcnt lgkmcnt(0)
	; wave barrier
	s_waitcnt lgkmcnt(0)
	s_and_saveexec_b64 s[4:5], s[0:1]
	s_cbranch_execz .LBB50_107
; %bb.100:
	ds_read_b128 v[2:5], v9
	s_andn2_b64 vcc, exec, s[6:7]
	s_cbranch_vccnz .LBB50_102
; %bb.101:
	scratch_load_dwordx4 v[162:165], v8, off
	s_waitcnt vmcnt(0) lgkmcnt(0)
	v_mul_f64 v[10:11], v[2:3], v[164:165]
	v_mul_f64 v[6:7], v[4:5], v[164:165]
	v_fmac_f64_e32 v[10:11], v[4:5], v[162:163]
	v_fma_f64 v[2:3], v[2:3], v[162:163], -v[6:7]
	v_mov_b64_e32 v[4:5], v[10:11]
.LBB50_102:
	s_and_saveexec_b64 s[8:9], s[2:3]
	s_cbranch_execz .LBB50_106
; %bb.103:
	v_mov_b32_e32 v7, 0
	v_subrev_u32_e32 v6, 38, v0
	v_add_u32_e32 v7, 0x268, v7
	s_movk_i32 s10, 0x590
	s_mov_b64 s[2:3], 0
.LBB50_104:                             ; =>This Inner Loop Header: Depth=1
	v_add_u32_e32 v10, -8, v7
	scratch_load_dwordx4 v[162:165], v10, off
	v_mov_b32_e32 v10, s10
	ds_read_b128 v[166:169], v10
	v_add_u32_e32 v6, -1, v6
	s_add_i32 s10, s10, 16
	v_cmp_eq_u32_e32 vcc, 0, v6
	v_add_u32_e32 v7, 16, v7
	s_or_b64 s[2:3], vcc, s[2:3]
	s_waitcnt vmcnt(0) lgkmcnt(0)
	v_mul_f64 v[10:11], v[168:169], v[164:165]
	v_mul_f64 v[12:13], v[166:167], v[164:165]
	v_fma_f64 v[10:11], v[166:167], v[162:163], -v[10:11]
	v_fmac_f64_e32 v[12:13], v[168:169], v[162:163]
	v_add_f64 v[2:3], v[2:3], v[10:11]
	v_add_f64 v[4:5], v[4:5], v[12:13]
	s_andn2_b64 exec, exec, s[2:3]
	s_cbranch_execnz .LBB50_104
; %bb.105:
	s_or_b64 exec, exec, s[2:3]
.LBB50_106:
	s_or_b64 exec, exec, s[8:9]
	v_mov_b32_e32 v6, 0
	ds_read_b128 v[162:165], v6 offset:592
	s_waitcnt lgkmcnt(0)
	v_mul_f64 v[6:7], v[4:5], v[164:165]
	v_mul_f64 v[166:167], v[2:3], v[164:165]
	v_fma_f64 v[164:165], v[2:3], v[162:163], -v[6:7]
	v_fmac_f64_e32 v[166:167], v[4:5], v[162:163]
	scratch_store_dwordx4 off, v[164:167], off offset:592
.LBB50_107:
	s_or_b64 exec, exec, s[4:5]
	scratch_load_dwordx4 v[2:5], v126, off
	v_cmp_lt_u32_e64 s[2:3], 36, v0
	s_waitcnt vmcnt(0)
	ds_write_b128 v9, v[2:5]
	s_waitcnt lgkmcnt(0)
	; wave barrier
	s_waitcnt lgkmcnt(0)
	s_and_saveexec_b64 s[4:5], s[2:3]
	s_cbranch_execz .LBB50_115
; %bb.108:
	ds_read_b128 v[2:5], v9
	s_andn2_b64 vcc, exec, s[6:7]
	s_cbranch_vccnz .LBB50_110
; %bb.109:
	scratch_load_dwordx4 v[162:165], v8, off
	s_waitcnt vmcnt(0) lgkmcnt(0)
	v_mul_f64 v[10:11], v[2:3], v[164:165]
	v_mul_f64 v[6:7], v[4:5], v[164:165]
	v_fmac_f64_e32 v[10:11], v[4:5], v[162:163]
	v_fma_f64 v[2:3], v[2:3], v[162:163], -v[6:7]
	v_mov_b64_e32 v[4:5], v[10:11]
.LBB50_110:
	s_and_saveexec_b64 s[8:9], s[0:1]
	s_cbranch_execz .LBB50_114
; %bb.111:
	v_mov_b32_e32 v7, 0
	v_subrev_u32_e32 v6, 37, v0
	v_add_u32_e32 v7, 0x258, v7
	s_movk_i32 s10, 0x580
	s_mov_b64 s[0:1], 0
.LBB50_112:                             ; =>This Inner Loop Header: Depth=1
	v_add_u32_e32 v10, -8, v7
	scratch_load_dwordx4 v[162:165], v10, off
	v_mov_b32_e32 v10, s10
	ds_read_b128 v[166:169], v10
	v_add_u32_e32 v6, -1, v6
	s_add_i32 s10, s10, 16
	v_cmp_eq_u32_e32 vcc, 0, v6
	v_add_u32_e32 v7, 16, v7
	s_or_b64 s[0:1], vcc, s[0:1]
	s_waitcnt vmcnt(0) lgkmcnt(0)
	v_mul_f64 v[10:11], v[168:169], v[164:165]
	v_mul_f64 v[12:13], v[166:167], v[164:165]
	v_fma_f64 v[10:11], v[166:167], v[162:163], -v[10:11]
	v_fmac_f64_e32 v[12:13], v[168:169], v[162:163]
	v_add_f64 v[2:3], v[2:3], v[10:11]
	v_add_f64 v[4:5], v[4:5], v[12:13]
	s_andn2_b64 exec, exec, s[0:1]
	s_cbranch_execnz .LBB50_112
; %bb.113:
	s_or_b64 exec, exec, s[0:1]
.LBB50_114:
	s_or_b64 exec, exec, s[8:9]
	v_mov_b32_e32 v6, 0
	ds_read_b128 v[162:165], v6 offset:576
	s_waitcnt lgkmcnt(0)
	v_mul_f64 v[6:7], v[4:5], v[164:165]
	v_mul_f64 v[166:167], v[2:3], v[164:165]
	v_fma_f64 v[164:165], v[2:3], v[162:163], -v[6:7]
	v_fmac_f64_e32 v[166:167], v[4:5], v[162:163]
	scratch_store_dwordx4 off, v[164:167], off offset:576
.LBB50_115:
	;; [unrolled: 63-line block ×22, first 2 shown]
	s_or_b64 exec, exec, s[4:5]
	scratch_load_dwordx4 v[2:5], v147, off
	v_cmp_lt_u32_e64 s[0:1], 15, v0
	s_waitcnt vmcnt(0)
	ds_write_b128 v9, v[2:5]
	s_waitcnt lgkmcnt(0)
	; wave barrier
	s_waitcnt lgkmcnt(0)
	s_and_saveexec_b64 s[4:5], s[0:1]
	s_cbranch_execz .LBB50_283
; %bb.276:
	ds_read_b128 v[2:5], v9
	s_andn2_b64 vcc, exec, s[6:7]
	s_cbranch_vccnz .LBB50_278
; %bb.277:
	scratch_load_dwordx4 v[162:165], v8, off
	s_waitcnt vmcnt(0) lgkmcnt(0)
	v_mul_f64 v[10:11], v[2:3], v[164:165]
	v_mul_f64 v[6:7], v[4:5], v[164:165]
	v_fmac_f64_e32 v[10:11], v[4:5], v[162:163]
	v_fma_f64 v[2:3], v[2:3], v[162:163], -v[6:7]
	v_mov_b64_e32 v[4:5], v[10:11]
.LBB50_278:
	s_and_saveexec_b64 s[8:9], s[2:3]
	s_cbranch_execz .LBB50_282
; %bb.279:
	v_mov_b32_e32 v7, 0
	v_add_u32_e32 v6, -16, v0
	v_add_u32_e32 v7, 0x108, v7
	s_movk_i32 s10, 0x430
	s_mov_b64 s[2:3], 0
.LBB50_280:                             ; =>This Inner Loop Header: Depth=1
	v_add_u32_e32 v10, -8, v7
	scratch_load_dwordx4 v[162:165], v10, off
	v_mov_b32_e32 v10, s10
	ds_read_b128 v[166:169], v10
	v_add_u32_e32 v6, -1, v6
	s_add_i32 s10, s10, 16
	v_cmp_eq_u32_e32 vcc, 0, v6
	v_add_u32_e32 v7, 16, v7
	s_or_b64 s[2:3], vcc, s[2:3]
	s_waitcnt vmcnt(0) lgkmcnt(0)
	v_mul_f64 v[10:11], v[168:169], v[164:165]
	v_mul_f64 v[12:13], v[166:167], v[164:165]
	v_fma_f64 v[10:11], v[166:167], v[162:163], -v[10:11]
	v_fmac_f64_e32 v[12:13], v[168:169], v[162:163]
	v_add_f64 v[2:3], v[2:3], v[10:11]
	v_add_f64 v[4:5], v[4:5], v[12:13]
	s_andn2_b64 exec, exec, s[2:3]
	s_cbranch_execnz .LBB50_280
; %bb.281:
	s_or_b64 exec, exec, s[2:3]
.LBB50_282:
	s_or_b64 exec, exec, s[8:9]
	v_mov_b32_e32 v6, 0
	ds_read_b128 v[162:165], v6 offset:240
	s_waitcnt lgkmcnt(0)
	v_mul_f64 v[6:7], v[4:5], v[164:165]
	v_mul_f64 v[166:167], v[2:3], v[164:165]
	v_fma_f64 v[164:165], v[2:3], v[162:163], -v[6:7]
	v_fmac_f64_e32 v[166:167], v[4:5], v[162:163]
	scratch_store_dwordx4 off, v[164:167], off offset:240
.LBB50_283:
	s_or_b64 exec, exec, s[4:5]
	scratch_load_dwordx4 v[2:5], v148, off
	v_cmp_lt_u32_e64 s[2:3], 14, v0
	s_waitcnt vmcnt(0)
	ds_write_b128 v9, v[2:5]
	s_waitcnt lgkmcnt(0)
	; wave barrier
	s_waitcnt lgkmcnt(0)
	s_and_saveexec_b64 s[4:5], s[2:3]
	s_cbranch_execz .LBB50_291
; %bb.284:
	ds_read_b128 v[2:5], v9
	s_andn2_b64 vcc, exec, s[6:7]
	s_cbranch_vccnz .LBB50_286
; %bb.285:
	scratch_load_dwordx4 v[162:165], v8, off
	s_waitcnt vmcnt(0) lgkmcnt(0)
	v_mul_f64 v[10:11], v[2:3], v[164:165]
	v_mul_f64 v[6:7], v[4:5], v[164:165]
	v_fmac_f64_e32 v[10:11], v[4:5], v[162:163]
	v_fma_f64 v[2:3], v[2:3], v[162:163], -v[6:7]
	v_mov_b64_e32 v[4:5], v[10:11]
.LBB50_286:
	s_and_saveexec_b64 s[8:9], s[0:1]
	s_cbranch_execz .LBB50_290
; %bb.287:
	v_mov_b32_e32 v7, 0
	v_add_u32_e32 v6, -15, v0
	v_add_u32_e32 v7, 0xf8, v7
	s_movk_i32 s10, 0x420
	s_mov_b64 s[0:1], 0
.LBB50_288:                             ; =>This Inner Loop Header: Depth=1
	v_add_u32_e32 v10, -8, v7
	scratch_load_dwordx4 v[162:165], v10, off
	v_mov_b32_e32 v10, s10
	ds_read_b128 v[166:169], v10
	v_add_u32_e32 v6, -1, v6
	s_add_i32 s10, s10, 16
	v_cmp_eq_u32_e32 vcc, 0, v6
	v_add_u32_e32 v7, 16, v7
	s_or_b64 s[0:1], vcc, s[0:1]
	s_waitcnt vmcnt(0) lgkmcnt(0)
	v_mul_f64 v[10:11], v[168:169], v[164:165]
	v_mul_f64 v[12:13], v[166:167], v[164:165]
	v_fma_f64 v[10:11], v[166:167], v[162:163], -v[10:11]
	v_fmac_f64_e32 v[12:13], v[168:169], v[162:163]
	v_add_f64 v[2:3], v[2:3], v[10:11]
	v_add_f64 v[4:5], v[4:5], v[12:13]
	s_andn2_b64 exec, exec, s[0:1]
	s_cbranch_execnz .LBB50_288
; %bb.289:
	s_or_b64 exec, exec, s[0:1]
.LBB50_290:
	s_or_b64 exec, exec, s[8:9]
	v_mov_b32_e32 v6, 0
	ds_read_b128 v[162:165], v6 offset:224
	s_waitcnt lgkmcnt(0)
	v_mul_f64 v[6:7], v[4:5], v[164:165]
	v_mul_f64 v[166:167], v[2:3], v[164:165]
	v_fma_f64 v[164:165], v[2:3], v[162:163], -v[6:7]
	v_fmac_f64_e32 v[166:167], v[4:5], v[162:163]
	scratch_store_dwordx4 off, v[164:167], off offset:224
.LBB50_291:
	;; [unrolled: 63-line block ×15, first 2 shown]
	s_or_b64 exec, exec, s[4:5]
	scratch_load_dwordx4 v[2:5], off, off
	v_cmp_ne_u32_e32 vcc, 0, v0
	s_mov_b64 s[2:3], 0
	s_mov_b64 s[4:5], 0
                                        ; implicit-def: $vgpr6_vgpr7
                                        ; implicit-def: $vgpr162
	s_waitcnt vmcnt(0)
	ds_write_b128 v9, v[2:5]
	s_waitcnt lgkmcnt(0)
	; wave barrier
	s_waitcnt lgkmcnt(0)
	s_and_saveexec_b64 s[8:9], vcc
	s_cbranch_execz .LBB50_403
; %bb.396:
	ds_read_b128 v[2:5], v9
	s_andn2_b64 vcc, exec, s[6:7]
	s_cbranch_vccnz .LBB50_398
; %bb.397:
	scratch_load_dwordx4 v[162:165], v8, off
	s_waitcnt vmcnt(0) lgkmcnt(0)
	v_mul_f64 v[10:11], v[2:3], v[164:165]
	v_mul_f64 v[6:7], v[4:5], v[164:165]
	v_fmac_f64_e32 v[10:11], v[4:5], v[162:163]
	v_fma_f64 v[2:3], v[2:3], v[162:163], -v[6:7]
	v_mov_b64_e32 v[4:5], v[10:11]
.LBB50_398:
	s_and_saveexec_b64 s[4:5], s[0:1]
	s_cbranch_execz .LBB50_402
; %bb.399:
	v_mov_b32_e32 v7, 0
	v_add_u32_e32 v6, -1, v0
	v_add_u32_e32 v7, 24, v7
	s_movk_i32 s10, 0x340
	s_mov_b64 s[0:1], 0
.LBB50_400:                             ; =>This Inner Loop Header: Depth=1
	v_add_u32_e32 v10, -8, v7
	scratch_load_dwordx4 v[162:165], v10, off
	v_mov_b32_e32 v10, s10
	ds_read_b128 v[166:169], v10
	v_add_u32_e32 v6, -1, v6
	s_add_i32 s10, s10, 16
	v_cmp_eq_u32_e32 vcc, 0, v6
	v_add_u32_e32 v7, 16, v7
	s_or_b64 s[0:1], vcc, s[0:1]
	s_waitcnt vmcnt(0) lgkmcnt(0)
	v_mul_f64 v[10:11], v[168:169], v[164:165]
	v_mul_f64 v[12:13], v[166:167], v[164:165]
	v_fma_f64 v[10:11], v[166:167], v[162:163], -v[10:11]
	v_fmac_f64_e32 v[12:13], v[168:169], v[162:163]
	v_add_f64 v[2:3], v[2:3], v[10:11]
	v_add_f64 v[4:5], v[4:5], v[12:13]
	s_andn2_b64 exec, exec, s[0:1]
	s_cbranch_execnz .LBB50_400
; %bb.401:
	s_or_b64 exec, exec, s[0:1]
.LBB50_402:
	s_or_b64 exec, exec, s[4:5]
	v_mov_b32_e32 v6, 0
	ds_read_b128 v[164:167], v6
	v_mov_b32_e32 v6, 0
	v_or_b32_e32 v162, 8, v6
	s_mov_b64 s[4:5], exec
	s_waitcnt lgkmcnt(0)
	v_mul_f64 v[10:11], v[4:5], v[166:167]
	v_mul_f64 v[6:7], v[2:3], v[166:167]
	v_fma_f64 v[2:3], v[2:3], v[164:165], -v[10:11]
	v_fmac_f64_e32 v[6:7], v[4:5], v[164:165]
	scratch_store_dwordx2 off, v[2:3], off
.LBB50_403:
	s_or_b64 exec, exec, s[8:9]
	s_and_b64 vcc, exec, s[2:3]
	s_cbranch_vccnz .LBB50_405
	s_branch .LBB50_800
.LBB50_404:
	s_mov_b64 s[4:5], 0
                                        ; implicit-def: $vgpr6_vgpr7
                                        ; implicit-def: $vgpr162
	s_cbranch_execz .LBB50_800
.LBB50_405:
	scratch_load_dwordx4 v[2:5], v161, off
	v_cndmask_b32_e64 v6, 0, 1, s[6:7]
	v_cmp_eq_u32_e64 s[2:3], 0, v0
	v_cmp_ne_u32_e64 s[0:1], 1, v6
	s_waitcnt vmcnt(0)
	ds_write_b128 v9, v[2:5]
	s_waitcnt lgkmcnt(0)
	; wave barrier
	s_waitcnt lgkmcnt(0)
	s_and_saveexec_b64 s[6:7], s[2:3]
	s_cbranch_execz .LBB50_409
; %bb.406:
	ds_read_b128 v[2:5], v9
	s_and_b64 vcc, exec, s[0:1]
	s_cbranch_vccnz .LBB50_408
; %bb.407:
	scratch_load_dwordx4 v[162:165], v8, off
	s_waitcnt vmcnt(0) lgkmcnt(0)
	v_mul_f64 v[10:11], v[2:3], v[164:165]
	v_mul_f64 v[6:7], v[4:5], v[164:165]
	v_fmac_f64_e32 v[10:11], v[4:5], v[162:163]
	v_fma_f64 v[2:3], v[2:3], v[162:163], -v[6:7]
	v_mov_b64_e32 v[4:5], v[10:11]
.LBB50_408:
	v_mov_b32_e32 v6, 0
	ds_read_b128 v[162:165], v6 offset:16
	s_waitcnt lgkmcnt(0)
	v_mul_f64 v[6:7], v[4:5], v[164:165]
	v_mul_f64 v[166:167], v[2:3], v[164:165]
	v_fma_f64 v[164:165], v[2:3], v[162:163], -v[6:7]
	v_fmac_f64_e32 v[166:167], v[4:5], v[162:163]
	scratch_store_dwordx4 off, v[164:167], off offset:16
.LBB50_409:
	s_or_b64 exec, exec, s[6:7]
	scratch_load_dwordx4 v[2:5], v160, off
	v_cmp_gt_u32_e32 vcc, 2, v0
	s_waitcnt vmcnt(0)
	ds_write_b128 v9, v[2:5]
	s_waitcnt lgkmcnt(0)
	; wave barrier
	s_waitcnt lgkmcnt(0)
	s_and_saveexec_b64 s[6:7], vcc
	s_cbranch_execz .LBB50_415
; %bb.410:
	ds_read_b128 v[2:5], v9
	s_and_b64 vcc, exec, s[0:1]
	s_cbranch_vccnz .LBB50_412
; %bb.411:
	scratch_load_dwordx4 v[162:165], v8, off
	s_waitcnt vmcnt(0) lgkmcnt(0)
	v_mul_f64 v[10:11], v[2:3], v[164:165]
	v_mul_f64 v[6:7], v[4:5], v[164:165]
	v_fmac_f64_e32 v[10:11], v[4:5], v[162:163]
	v_fma_f64 v[2:3], v[2:3], v[162:163], -v[6:7]
	v_mov_b64_e32 v[4:5], v[10:11]
.LBB50_412:
	s_and_saveexec_b64 s[8:9], s[2:3]
	s_cbranch_execz .LBB50_414
; %bb.413:
	scratch_load_dwordx4 v[162:165], v8, off offset:16
	ds_read_b128 v[166:169], v9 offset:16
	s_waitcnt vmcnt(0) lgkmcnt(0)
	v_mul_f64 v[6:7], v[168:169], v[164:165]
	v_mul_f64 v[10:11], v[166:167], v[164:165]
	v_fma_f64 v[6:7], v[166:167], v[162:163], -v[6:7]
	v_fmac_f64_e32 v[10:11], v[168:169], v[162:163]
	v_add_f64 v[2:3], v[2:3], v[6:7]
	v_add_f64 v[4:5], v[4:5], v[10:11]
.LBB50_414:
	s_or_b64 exec, exec, s[8:9]
	v_mov_b32_e32 v6, 0
	ds_read_b128 v[162:165], v6 offset:32
	s_waitcnt lgkmcnt(0)
	v_mul_f64 v[6:7], v[4:5], v[164:165]
	v_mul_f64 v[166:167], v[2:3], v[164:165]
	v_fma_f64 v[164:165], v[2:3], v[162:163], -v[6:7]
	v_fmac_f64_e32 v[166:167], v[4:5], v[162:163]
	scratch_store_dwordx4 off, v[164:167], off offset:32
.LBB50_415:
	s_or_b64 exec, exec, s[6:7]
	scratch_load_dwordx4 v[2:5], v159, off
	v_cmp_gt_u32_e32 vcc, 3, v0
	s_waitcnt vmcnt(0)
	ds_write_b128 v9, v[2:5]
	s_waitcnt lgkmcnt(0)
	; wave barrier
	s_waitcnt lgkmcnt(0)
	s_and_saveexec_b64 s[6:7], vcc
	s_cbranch_execz .LBB50_423
; %bb.416:
	ds_read_b128 v[2:5], v9
	s_and_b64 vcc, exec, s[0:1]
	s_cbranch_vccnz .LBB50_418
; %bb.417:
	scratch_load_dwordx4 v[162:165], v8, off
	s_waitcnt vmcnt(0) lgkmcnt(0)
	v_mul_f64 v[10:11], v[2:3], v[164:165]
	v_mul_f64 v[6:7], v[4:5], v[164:165]
	v_fmac_f64_e32 v[10:11], v[4:5], v[162:163]
	v_fma_f64 v[2:3], v[2:3], v[162:163], -v[6:7]
	v_mov_b64_e32 v[4:5], v[10:11]
.LBB50_418:
	v_cmp_ne_u32_e32 vcc, 2, v0
	s_and_saveexec_b64 s[8:9], vcc
	s_cbranch_execz .LBB50_422
; %bb.419:
	scratch_load_dwordx4 v[162:165], v8, off offset:16
	ds_read_b128 v[166:169], v9 offset:16
	s_waitcnt vmcnt(0) lgkmcnt(0)
	v_mul_f64 v[6:7], v[168:169], v[164:165]
	v_mul_f64 v[10:11], v[166:167], v[164:165]
	v_fma_f64 v[6:7], v[166:167], v[162:163], -v[6:7]
	v_fmac_f64_e32 v[10:11], v[168:169], v[162:163]
	v_add_f64 v[2:3], v[2:3], v[6:7]
	v_add_f64 v[4:5], v[4:5], v[10:11]
	s_and_saveexec_b64 s[10:11], s[2:3]
	s_cbranch_execz .LBB50_421
; %bb.420:
	scratch_load_dwordx4 v[162:165], off, off offset:32
	v_mov_b32_e32 v6, 0
	ds_read_b128 v[166:169], v6 offset:848
	s_waitcnt vmcnt(0) lgkmcnt(0)
	v_mul_f64 v[6:7], v[166:167], v[164:165]
	v_mul_f64 v[10:11], v[168:169], v[164:165]
	v_fmac_f64_e32 v[6:7], v[168:169], v[162:163]
	v_fma_f64 v[10:11], v[166:167], v[162:163], -v[10:11]
	v_add_f64 v[4:5], v[4:5], v[6:7]
	v_add_f64 v[2:3], v[2:3], v[10:11]
.LBB50_421:
	s_or_b64 exec, exec, s[10:11]
.LBB50_422:
	s_or_b64 exec, exec, s[8:9]
	v_mov_b32_e32 v6, 0
	ds_read_b128 v[162:165], v6 offset:48
	s_waitcnt lgkmcnt(0)
	v_mul_f64 v[6:7], v[4:5], v[164:165]
	v_mul_f64 v[166:167], v[2:3], v[164:165]
	v_fma_f64 v[164:165], v[2:3], v[162:163], -v[6:7]
	v_fmac_f64_e32 v[166:167], v[4:5], v[162:163]
	scratch_store_dwordx4 off, v[164:167], off offset:48
.LBB50_423:
	s_or_b64 exec, exec, s[6:7]
	scratch_load_dwordx4 v[2:5], v158, off
	v_cmp_gt_u32_e32 vcc, 4, v0
	s_waitcnt vmcnt(0)
	ds_write_b128 v9, v[2:5]
	s_waitcnt lgkmcnt(0)
	; wave barrier
	s_waitcnt lgkmcnt(0)
	s_and_saveexec_b64 s[2:3], vcc
	s_cbranch_execz .LBB50_431
; %bb.424:
	ds_read_b128 v[2:5], v9
	s_and_b64 vcc, exec, s[0:1]
	s_cbranch_vccnz .LBB50_426
; %bb.425:
	scratch_load_dwordx4 v[162:165], v8, off
	s_waitcnt vmcnt(0) lgkmcnt(0)
	v_mul_f64 v[10:11], v[2:3], v[164:165]
	v_mul_f64 v[6:7], v[4:5], v[164:165]
	v_fmac_f64_e32 v[10:11], v[4:5], v[162:163]
	v_fma_f64 v[2:3], v[2:3], v[162:163], -v[6:7]
	v_mov_b64_e32 v[4:5], v[10:11]
.LBB50_426:
	v_cmp_ne_u32_e32 vcc, 3, v0
	s_and_saveexec_b64 s[6:7], vcc
	s_cbranch_execz .LBB50_430
; %bb.427:
	v_mov_b32_e32 v7, 0
	v_add_u32_e32 v6, 0x340, v70
	v_add3_u32 v7, v70, v7, 24
	s_mov_b64 s[8:9], 0
	v_mov_b32_e32 v162, v0
.LBB50_428:                             ; =>This Inner Loop Header: Depth=1
	v_add_u32_e32 v10, -8, v7
	scratch_load_dwordx4 v[164:167], v10, off
	ds_read_b128 v[168:171], v6
	v_add_u32_e32 v162, 1, v162
	v_cmp_lt_u32_e32 vcc, 2, v162
	v_add_u32_e32 v6, 16, v6
	v_add_u32_e32 v7, 16, v7
	s_or_b64 s[8:9], vcc, s[8:9]
	s_waitcnt vmcnt(0) lgkmcnt(0)
	v_mul_f64 v[10:11], v[170:171], v[166:167]
	v_mul_f64 v[12:13], v[168:169], v[166:167]
	v_fma_f64 v[10:11], v[168:169], v[164:165], -v[10:11]
	v_fmac_f64_e32 v[12:13], v[170:171], v[164:165]
	v_add_f64 v[2:3], v[2:3], v[10:11]
	v_add_f64 v[4:5], v[4:5], v[12:13]
	s_andn2_b64 exec, exec, s[8:9]
	s_cbranch_execnz .LBB50_428
; %bb.429:
	s_or_b64 exec, exec, s[8:9]
.LBB50_430:
	s_or_b64 exec, exec, s[6:7]
	v_mov_b32_e32 v6, 0
	ds_read_b128 v[162:165], v6 offset:64
	s_waitcnt lgkmcnt(0)
	v_mul_f64 v[6:7], v[4:5], v[164:165]
	v_mul_f64 v[166:167], v[2:3], v[164:165]
	v_fma_f64 v[164:165], v[2:3], v[162:163], -v[6:7]
	v_fmac_f64_e32 v[166:167], v[4:5], v[162:163]
	scratch_store_dwordx4 off, v[164:167], off offset:64
.LBB50_431:
	s_or_b64 exec, exec, s[2:3]
	scratch_load_dwordx4 v[2:5], v157, off
	v_cmp_gt_u32_e32 vcc, 5, v0
	s_waitcnt vmcnt(0)
	ds_write_b128 v9, v[2:5]
	s_waitcnt lgkmcnt(0)
	; wave barrier
	s_waitcnt lgkmcnt(0)
	s_and_saveexec_b64 s[2:3], vcc
	s_cbranch_execz .LBB50_439
; %bb.432:
	ds_read_b128 v[2:5], v9
	s_and_b64 vcc, exec, s[0:1]
	s_cbranch_vccnz .LBB50_434
; %bb.433:
	scratch_load_dwordx4 v[162:165], v8, off
	s_waitcnt vmcnt(0) lgkmcnt(0)
	v_mul_f64 v[10:11], v[2:3], v[164:165]
	v_mul_f64 v[6:7], v[4:5], v[164:165]
	v_fmac_f64_e32 v[10:11], v[4:5], v[162:163]
	v_fma_f64 v[2:3], v[2:3], v[162:163], -v[6:7]
	v_mov_b64_e32 v[4:5], v[10:11]
.LBB50_434:
	v_cmp_ne_u32_e32 vcc, 4, v0
	s_and_saveexec_b64 s[6:7], vcc
	s_cbranch_execz .LBB50_438
; %bb.435:
	v_mov_b32_e32 v7, 0
	v_add_u32_e32 v6, 0x340, v70
	v_add3_u32 v7, v70, v7, 24
	s_mov_b64 s[8:9], 0
	v_mov_b32_e32 v162, v0
.LBB50_436:                             ; =>This Inner Loop Header: Depth=1
	v_add_u32_e32 v10, -8, v7
	scratch_load_dwordx4 v[164:167], v10, off
	ds_read_b128 v[168:171], v6
	v_add_u32_e32 v162, 1, v162
	v_cmp_lt_u32_e32 vcc, 3, v162
	v_add_u32_e32 v6, 16, v6
	v_add_u32_e32 v7, 16, v7
	s_or_b64 s[8:9], vcc, s[8:9]
	s_waitcnt vmcnt(0) lgkmcnt(0)
	v_mul_f64 v[10:11], v[170:171], v[166:167]
	v_mul_f64 v[12:13], v[168:169], v[166:167]
	v_fma_f64 v[10:11], v[168:169], v[164:165], -v[10:11]
	v_fmac_f64_e32 v[12:13], v[170:171], v[164:165]
	v_add_f64 v[2:3], v[2:3], v[10:11]
	v_add_f64 v[4:5], v[4:5], v[12:13]
	s_andn2_b64 exec, exec, s[8:9]
	s_cbranch_execnz .LBB50_436
; %bb.437:
	s_or_b64 exec, exec, s[8:9]
.LBB50_438:
	s_or_b64 exec, exec, s[6:7]
	v_mov_b32_e32 v6, 0
	ds_read_b128 v[162:165], v6 offset:80
	s_waitcnt lgkmcnt(0)
	v_mul_f64 v[6:7], v[4:5], v[164:165]
	v_mul_f64 v[166:167], v[2:3], v[164:165]
	v_fma_f64 v[164:165], v[2:3], v[162:163], -v[6:7]
	v_fmac_f64_e32 v[166:167], v[4:5], v[162:163]
	scratch_store_dwordx4 off, v[164:167], off offset:80
.LBB50_439:
	;; [unrolled: 63-line block ×45, first 2 shown]
	s_or_b64 exec, exec, s[2:3]
	scratch_load_dwordx4 v[2:5], v36, off
	v_cmp_gt_u32_e64 s[2:3], 49, v0
	s_waitcnt vmcnt(0)
	ds_write_b128 v9, v[2:5]
	s_waitcnt lgkmcnt(0)
	; wave barrier
	s_waitcnt lgkmcnt(0)
	s_and_saveexec_b64 s[6:7], s[2:3]
	s_cbranch_execz .LBB50_791
; %bb.784:
	ds_read_b128 v[2:5], v9
	s_and_b64 vcc, exec, s[0:1]
	s_cbranch_vccnz .LBB50_786
; %bb.785:
	scratch_load_dwordx4 v[162:165], v8, off
	s_waitcnt vmcnt(0) lgkmcnt(0)
	v_mul_f64 v[10:11], v[2:3], v[164:165]
	v_mul_f64 v[6:7], v[4:5], v[164:165]
	v_fmac_f64_e32 v[10:11], v[4:5], v[162:163]
	v_fma_f64 v[2:3], v[2:3], v[162:163], -v[6:7]
	v_mov_b64_e32 v[4:5], v[10:11]
.LBB50_786:
	v_cmp_ne_u32_e32 vcc, 48, v0
	s_and_saveexec_b64 s[8:9], vcc
	s_cbranch_execz .LBB50_790
; %bb.787:
	v_mov_b32_e32 v7, 0
	v_add_u32_e32 v6, 0x340, v70
	v_add3_u32 v7, v70, v7, 24
	s_mov_b64 s[10:11], 0
	v_mov_b32_e32 v162, v0
.LBB50_788:                             ; =>This Inner Loop Header: Depth=1
	v_add_u32_e32 v10, -8, v7
	scratch_load_dwordx4 v[164:167], v10, off
	ds_read_b128 v[168:171], v6
	v_add_u32_e32 v162, 1, v162
	v_cmp_lt_u32_e32 vcc, 47, v162
	v_add_u32_e32 v6, 16, v6
	v_add_u32_e32 v7, 16, v7
	s_or_b64 s[10:11], vcc, s[10:11]
	s_waitcnt vmcnt(0) lgkmcnt(0)
	v_mul_f64 v[10:11], v[170:171], v[166:167]
	v_mul_f64 v[12:13], v[168:169], v[166:167]
	v_fma_f64 v[10:11], v[168:169], v[164:165], -v[10:11]
	v_fmac_f64_e32 v[12:13], v[170:171], v[164:165]
	v_add_f64 v[2:3], v[2:3], v[10:11]
	v_add_f64 v[4:5], v[4:5], v[12:13]
	s_andn2_b64 exec, exec, s[10:11]
	s_cbranch_execnz .LBB50_788
; %bb.789:
	s_or_b64 exec, exec, s[10:11]
.LBB50_790:
	s_or_b64 exec, exec, s[8:9]
	v_mov_b32_e32 v6, 0
	ds_read_b128 v[162:165], v6 offset:784
	s_waitcnt lgkmcnt(0)
	v_mul_f64 v[6:7], v[4:5], v[164:165]
	v_mul_f64 v[166:167], v[2:3], v[164:165]
	v_fma_f64 v[164:165], v[2:3], v[162:163], -v[6:7]
	v_fmac_f64_e32 v[166:167], v[4:5], v[162:163]
	scratch_store_dwordx4 off, v[164:167], off offset:784
.LBB50_791:
	s_or_b64 exec, exec, s[6:7]
	scratch_load_dwordx4 v[2:5], v1, off
	v_cmp_ne_u32_e32 vcc, 50, v0
                                        ; implicit-def: $vgpr6_vgpr7
                                        ; implicit-def: $vgpr162
	s_waitcnt vmcnt(0)
	ds_write_b128 v9, v[2:5]
	s_waitcnt lgkmcnt(0)
	; wave barrier
	s_waitcnt lgkmcnt(0)
	s_and_saveexec_b64 s[6:7], vcc
	s_cbranch_execz .LBB50_799
; %bb.792:
	ds_read_b128 v[2:5], v9
	s_and_b64 vcc, exec, s[0:1]
	s_cbranch_vccnz .LBB50_794
; %bb.793:
	scratch_load_dwordx4 v[6:9], v8, off
	s_waitcnt vmcnt(0) lgkmcnt(0)
	v_mul_f64 v[10:11], v[4:5], v[8:9]
	v_mul_f64 v[8:9], v[2:3], v[8:9]
	v_fmac_f64_e32 v[8:9], v[4:5], v[6:7]
	v_fma_f64 v[2:3], v[2:3], v[6:7], -v[10:11]
	v_mov_b64_e32 v[4:5], v[8:9]
.LBB50_794:
	s_and_saveexec_b64 s[0:1], s[2:3]
	s_cbranch_execz .LBB50_798
; %bb.795:
	v_mov_b32_e32 v7, 0
	v_add_u32_e32 v6, 0x340, v70
	v_add3_u32 v7, v70, v7, 24
	s_mov_b64 s[2:3], 0
.LBB50_796:                             ; =>This Inner Loop Header: Depth=1
	v_add_u32_e32 v8, -8, v7
	scratch_load_dwordx4 v[162:165], v8, off
	ds_read_b128 v[166:169], v6
	v_add_u32_e32 v0, 1, v0
	v_cmp_lt_u32_e32 vcc, 48, v0
	v_add_u32_e32 v6, 16, v6
	v_add_u32_e32 v7, 16, v7
	s_or_b64 s[2:3], vcc, s[2:3]
	s_waitcnt vmcnt(0) lgkmcnt(0)
	v_mul_f64 v[8:9], v[168:169], v[164:165]
	v_mul_f64 v[10:11], v[166:167], v[164:165]
	v_fma_f64 v[8:9], v[166:167], v[162:163], -v[8:9]
	v_fmac_f64_e32 v[10:11], v[168:169], v[162:163]
	v_add_f64 v[2:3], v[2:3], v[8:9]
	v_add_f64 v[4:5], v[4:5], v[10:11]
	s_andn2_b64 exec, exec, s[2:3]
	s_cbranch_execnz .LBB50_796
; %bb.797:
	s_or_b64 exec, exec, s[2:3]
.LBB50_798:
	s_or_b64 exec, exec, s[0:1]
	v_mov_b32_e32 v0, 0
	ds_read_b128 v[164:167], v0 offset:800
	v_mov_b32_e32 v0, 0
	v_add_u32_e32 v162, 0x328, v0
	s_or_b64 s[4:5], s[4:5], exec
	s_waitcnt lgkmcnt(0)
	v_mul_f64 v[8:9], v[4:5], v[166:167]
	v_mul_f64 v[6:7], v[2:3], v[166:167]
	v_fma_f64 v[2:3], v[2:3], v[164:165], -v[8:9]
	v_fmac_f64_e32 v[6:7], v[4:5], v[164:165]
	scratch_store_dwordx2 off, v[2:3], off offset:800
.LBB50_799:
	s_or_b64 exec, exec, s[6:7]
.LBB50_800:
	v_mov_b32_e32 v70, v173
	v_mov_b32_e32 v0, v172
	s_and_saveexec_b64 s[0:1], s[4:5]
	s_cbranch_execz .LBB50_802
; %bb.801:
	scratch_store_dwordx2 v162, v[6:7], off
.LBB50_802:
	s_or_b64 exec, exec, s[0:1]
	scratch_load_dwordx4 v[2:5], off, off
	scratch_load_dwordx4 v[6:9], v161, off
	s_nop 0
	scratch_load_dwordx4 v[160:163], v160, off
	s_nop 0
	scratch_load_dwordx4 v[164:167], v159, off
	scratch_load_dwordx4 v[168:171], v158, off
	scratch_load_dwordx4 v[172:175], v157, off
	s_nop 0
	scratch_load_dwordx4 v[156:159], v156, off
	s_nop 0
	scratch_load_dwordx4 v[176:179], v155, off
	scratch_load_dwordx4 v[180:183], v154, off
	;; [unrolled: 6-line block ×8, first 2 shown]
	s_waitcnt vmcnt(32)
	global_store_dwordx4 v[18:19], v[2:5], off
	scratch_load_dwordx4 v[2:5], v129, off
	s_nop 0
	scratch_load_dwordx4 v[128:131], v128, off
	s_waitcnt vmcnt(34)
	global_store_dwordx4 v[20:21], v[6:9], off
	scratch_load_dwordx4 v[6:9], v127, off
	s_nop 0
	scratch_load_dwordx4 v[18:21], v126, off
	;; [unrolled: 5-line block ×9, first 2 shown]
	v_accvgpr_read_b32 v0, a0
	v_accvgpr_read_b32 v1, a1
	s_waitcnt vmcnt(50)
	global_store_dwordx4 v[0:1], v[184:187], off
	s_waitcnt vmcnt(50)
	global_store_dwordx4 v[38:39], v[152:155], off
	;; [unrolled: 2-line block ×42, first 2 shown]
.LBB50_803:
	s_endpgm
	.section	.rodata,"a",@progbits
	.p2align	6, 0x0
	.amdhsa_kernel _ZN9rocsolver6v33100L18trti2_kernel_smallILi51E19rocblas_complex_numIdEPS3_EEv13rocblas_fill_17rocblas_diagonal_T1_iil
		.amdhsa_group_segment_fixed_size 1632
		.amdhsa_private_segment_fixed_size 832
		.amdhsa_kernarg_size 32
		.amdhsa_user_sgpr_count 2
		.amdhsa_user_sgpr_dispatch_ptr 0
		.amdhsa_user_sgpr_queue_ptr 0
		.amdhsa_user_sgpr_kernarg_segment_ptr 1
		.amdhsa_user_sgpr_dispatch_id 0
		.amdhsa_user_sgpr_kernarg_preload_length 0
		.amdhsa_user_sgpr_kernarg_preload_offset 0
		.amdhsa_user_sgpr_private_segment_size 0
		.amdhsa_uses_dynamic_stack 0
		.amdhsa_enable_private_segment 1
		.amdhsa_system_sgpr_workgroup_id_x 1
		.amdhsa_system_sgpr_workgroup_id_y 0
		.amdhsa_system_sgpr_workgroup_id_z 0
		.amdhsa_system_sgpr_workgroup_info 0
		.amdhsa_system_vgpr_workitem_id 0
		.amdhsa_next_free_vgpr 258
		.amdhsa_next_free_sgpr 12
		.amdhsa_accum_offset 256
		.amdhsa_reserve_vcc 1
		.amdhsa_float_round_mode_32 0
		.amdhsa_float_round_mode_16_64 0
		.amdhsa_float_denorm_mode_32 3
		.amdhsa_float_denorm_mode_16_64 3
		.amdhsa_dx10_clamp 1
		.amdhsa_ieee_mode 1
		.amdhsa_fp16_overflow 0
		.amdhsa_tg_split 0
		.amdhsa_exception_fp_ieee_invalid_op 0
		.amdhsa_exception_fp_denorm_src 0
		.amdhsa_exception_fp_ieee_div_zero 0
		.amdhsa_exception_fp_ieee_overflow 0
		.amdhsa_exception_fp_ieee_underflow 0
		.amdhsa_exception_fp_ieee_inexact 0
		.amdhsa_exception_int_div_zero 0
	.end_amdhsa_kernel
	.section	.text._ZN9rocsolver6v33100L18trti2_kernel_smallILi51E19rocblas_complex_numIdEPS3_EEv13rocblas_fill_17rocblas_diagonal_T1_iil,"axG",@progbits,_ZN9rocsolver6v33100L18trti2_kernel_smallILi51E19rocblas_complex_numIdEPS3_EEv13rocblas_fill_17rocblas_diagonal_T1_iil,comdat
.Lfunc_end50:
	.size	_ZN9rocsolver6v33100L18trti2_kernel_smallILi51E19rocblas_complex_numIdEPS3_EEv13rocblas_fill_17rocblas_diagonal_T1_iil, .Lfunc_end50-_ZN9rocsolver6v33100L18trti2_kernel_smallILi51E19rocblas_complex_numIdEPS3_EEv13rocblas_fill_17rocblas_diagonal_T1_iil
                                        ; -- End function
	.section	.AMDGPU.csdata,"",@progbits
; Kernel info:
; codeLenInByte = 33708
; NumSgprs: 18
; NumVgprs: 256
; NumAgprs: 2
; TotalNumVgprs: 258
; ScratchSize: 832
; MemoryBound: 0
; FloatMode: 240
; IeeeMode: 1
; LDSByteSize: 1632 bytes/workgroup (compile time only)
; SGPRBlocks: 2
; VGPRBlocks: 32
; NumSGPRsForWavesPerEU: 18
; NumVGPRsForWavesPerEU: 258
; AccumOffset: 256
; Occupancy: 1
; WaveLimiterHint : 0
; COMPUTE_PGM_RSRC2:SCRATCH_EN: 1
; COMPUTE_PGM_RSRC2:USER_SGPR: 2
; COMPUTE_PGM_RSRC2:TRAP_HANDLER: 0
; COMPUTE_PGM_RSRC2:TGID_X_EN: 1
; COMPUTE_PGM_RSRC2:TGID_Y_EN: 0
; COMPUTE_PGM_RSRC2:TGID_Z_EN: 0
; COMPUTE_PGM_RSRC2:TIDIG_COMP_CNT: 0
; COMPUTE_PGM_RSRC3_GFX90A:ACCUM_OFFSET: 63
; COMPUTE_PGM_RSRC3_GFX90A:TG_SPLIT: 0
	.section	.text._ZN9rocsolver6v33100L18trti2_kernel_smallILi52E19rocblas_complex_numIdEPS3_EEv13rocblas_fill_17rocblas_diagonal_T1_iil,"axG",@progbits,_ZN9rocsolver6v33100L18trti2_kernel_smallILi52E19rocblas_complex_numIdEPS3_EEv13rocblas_fill_17rocblas_diagonal_T1_iil,comdat
	.globl	_ZN9rocsolver6v33100L18trti2_kernel_smallILi52E19rocblas_complex_numIdEPS3_EEv13rocblas_fill_17rocblas_diagonal_T1_iil ; -- Begin function _ZN9rocsolver6v33100L18trti2_kernel_smallILi52E19rocblas_complex_numIdEPS3_EEv13rocblas_fill_17rocblas_diagonal_T1_iil
	.p2align	8
	.type	_ZN9rocsolver6v33100L18trti2_kernel_smallILi52E19rocblas_complex_numIdEPS3_EEv13rocblas_fill_17rocblas_diagonal_T1_iil,@function
_ZN9rocsolver6v33100L18trti2_kernel_smallILi52E19rocblas_complex_numIdEPS3_EEv13rocblas_fill_17rocblas_diagonal_T1_iil: ; @_ZN9rocsolver6v33100L18trti2_kernel_smallILi52E19rocblas_complex_numIdEPS3_EEv13rocblas_fill_17rocblas_diagonal_T1_iil
; %bb.0:
	v_cmp_gt_u32_e32 vcc, 52, v0
	s_and_saveexec_b64 s[4:5], vcc
	s_cbranch_execz .LBB51_819
; %bb.1:
	s_load_dwordx8 s[4:11], s[0:1], 0x0
	s_ashr_i32 s3, s2, 31
	v_lshlrev_b32_e32 v116, 4, v0
	v_mov_b32_e32 v117, 0
	v_mov_b32_e32 v1, 0
	s_waitcnt lgkmcnt(0)
	s_ashr_i32 s1, s8, 31
	s_mov_b32 s0, s8
	s_mul_i32 s8, s2, s11
	s_mul_hi_u32 s11, s2, s10
	s_add_i32 s8, s11, s8
	s_mul_i32 s3, s3, s10
	s_add_i32 s3, s8, s3
	s_mul_i32 s2, s2, s10
	s_lshl_b64 s[2:3], s[2:3], 4
	s_add_u32 s2, s6, s2
	s_addc_u32 s3, s7, s3
	s_lshl_b64 s[0:1], s[0:1], 4
	s_add_u32 s0, s2, s0
	s_addc_u32 s1, s3, s1
	s_add_i32 s2, s9, s9
	v_add_u32_e32 v4, s2, v0
	v_add_u32_e32 v2, s9, v4
	;; [unrolled: 1-line block ×13, first 2 shown]
	v_ashrrev_i32_e32 v11, 31, v10
	v_lshl_add_u64 v[18:19], v[10:11], 4, s[0:1]
	v_add_u32_e32 v10, s9, v42
	s_mov_b32 s2, s9
	s_ashr_i32 s3, s9, 31
	v_lshl_add_u64 v[40:41], s[0:1], 0, v[116:117]
	v_ashrrev_i32_e32 v3, 31, v2
	v_ashrrev_i32_e32 v9, 31, v8
	v_ashrrev_i32_e32 v13, 31, v12
	v_ashrrev_i32_e32 v17, 31, v16
	v_ashrrev_i32_e32 v23, 31, v22
	v_ashrrev_i32_e32 v29, 31, v28
	v_ashrrev_i32_e32 v35, 31, v34
	v_ashrrev_i32_e32 v37, 31, v36
	v_ashrrev_i32_e32 v43, 31, v42
	v_ashrrev_i32_e32 v11, 31, v10
	v_ashrrev_i32_e32 v5, 31, v4
	v_lshl_add_u64 v[38:39], s[2:3], 4, v[40:41]
	v_lshl_add_u64 v[32:33], v[2:3], 4, s[0:1]
	v_ashrrev_i32_e32 v7, 31, v6
	v_lshl_add_u64 v[30:31], v[8:9], 4, s[0:1]
	v_lshl_add_u64 v[20:21], v[12:13], 4, s[0:1]
	v_ashrrev_i32_e32 v15, 31, v14
	v_lshl_add_u64 v[16:17], v[16:17], 4, s[0:1]
	v_lshl_add_u64 v[12:13], v[22:23], 4, s[0:1]
	;; [unrolled: 1-line block ×7, first 2 shown]
	global_load_dwordx4 v[46:49], v116, s[0:1]
	v_lshl_add_u64 v[24:25], v[4:5], 4, s[0:1]
	global_load_dwordx4 v[50:53], v[38:39], off
	global_load_dwordx4 v[54:57], v[24:25], off
	v_lshl_add_u64 v[26:27], v[6:7], 4, s[0:1]
	global_load_dwordx4 v[2:5], v[32:33], off
	global_load_dwordx4 v[58:61], v[26:27], off
	;; [unrolled: 1-line block ×4, first 2 shown]
	v_lshl_add_u64 v[14:15], v[14:15], 4, s[0:1]
	global_load_dwordx4 v[66:69], v[20:21], off
	global_load_dwordx4 v[70:73], v[14:15], off
	;; [unrolled: 1-line block ×9, first 2 shown]
	v_add_u32_e32 v10, s9, v10
	v_add_u32_e32 v102, s9, v10
	;; [unrolled: 1-line block ×36, first 2 shown]
	v_ashrrev_i32_e32 v45, 31, v44
	v_lshl_add_u64 v[44:45], v[44:45], 4, s[0:1]
	global_load_dwordx4 v[118:121], v[44:45], off
	v_ashrrev_i32_e32 v11, 31, v10
	v_ashrrev_i32_e32 v103, 31, v102
	;; [unrolled: 1-line block ×21, first 2 shown]
	s_waitcnt vmcnt(16)
	scratch_store_dwordx4 off, v[46:49], off
	s_waitcnt vmcnt(16)
	scratch_store_dwordx4 off, v[50:53], off offset:16
	s_waitcnt vmcnt(16)
	scratch_store_dwordx4 off, v[54:57], off offset:32
	;; [unrolled: 2-line block ×14, first 2 shown]
	v_lshl_add_u64 v[46:47], v[10:11], 4, s[0:1]
	s_waitcnt vmcnt(16)
	scratch_store_dwordx4 off, v[98:101], off offset:240
	v_lshl_add_u64 v[48:49], v[102:103], 4, s[0:1]
	v_lshl_add_u64 v[50:51], v[104:105], 4, s[0:1]
	;; [unrolled: 1-line block ×7, first 2 shown]
	v_ashrrev_i32_e32 v143, 31, v142
	v_lshl_add_u64 v[64:65], v[150:151], 4, s[0:1]
	v_ashrrev_i32_e32 v153, 31, v152
	v_lshl_add_u64 v[68:69], v[158:159], 4, s[0:1]
	v_ashrrev_i32_e32 v161, 31, v160
	v_lshl_add_u64 v[72:73], v[166:167], 4, s[0:1]
	v_ashrrev_i32_e32 v169, 31, v168
	v_lshl_add_u64 v[76:77], v[174:175], 4, s[0:1]
	v_ashrrev_i32_e32 v177, 31, v176
	v_lshl_add_u64 v[80:81], v[182:183], 4, s[0:1]
	v_ashrrev_i32_e32 v185, 31, v184
	v_lshl_add_u64 v[84:85], v[190:191], 4, s[0:1]
	v_ashrrev_i32_e32 v193, 31, v192
	v_lshl_add_u64 v[88:89], v[198:199], 4, s[0:1]
	v_ashrrev_i32_e32 v201, 31, v200
	v_lshl_add_u64 v[92:93], v[206:207], 4, s[0:1]
	v_ashrrev_i32_e32 v209, 31, v208
	v_lshl_add_u64 v[96:97], v[214:215], 4, s[0:1]
	v_ashrrev_i32_e32 v217, 31, v216
	v_lshl_add_u64 v[100:101], v[222:223], 4, s[0:1]
	v_ashrrev_i32_e32 v225, 31, v224
	v_lshl_add_u64 v[104:105], v[230:231], 4, s[0:1]
	v_ashrrev_i32_e32 v233, 31, v232
	v_lshl_add_u64 v[108:109], v[238:239], 4, s[0:1]
	v_ashrrev_i32_e32 v241, 31, v240
	v_lshl_add_u64 v[112:113], v[246:247], 4, s[0:1]
	v_ashrrev_i32_e32 v249, 31, v248
	global_load_dwordx4 v[2:5], v[46:47], off
	global_load_dwordx4 v[6:9], v[48:49], off
	;; [unrolled: 1-line block ×7, first 2 shown]
	v_lshl_add_u64 v[62:63], v[142:143], 4, s[0:1]
	global_load_dwordx4 v[142:145], v[60:61], off
	global_load_dwordx4 v[146:149], v[62:63], off
	v_lshl_add_u64 v[66:67], v[152:153], 4, s[0:1]
	global_load_dwordx4 v[150:153], v[64:65], off
	global_load_dwordx4 v[154:157], v[66:67], off
	;; [unrolled: 3-line block ×14, first 2 shown]
	s_cmpk_lg_i32 s5, 0x84
	s_cselect_b64 s[6:7], -1, 0
	s_cmpk_eq_i32 s5, 0x84
	s_waitcnt vmcnt(34)
	scratch_store_dwordx4 off, v[2:5], off offset:256
	s_waitcnt vmcnt(34)
	scratch_store_dwordx4 off, v[6:9], off offset:272
	;; [unrolled: 2-line block ×35, first 2 shown]
	scratch_store_dwordx4 off, v[118:121], off offset:816
	s_cbranch_scc1 .LBB51_7
; %bb.2:
	scratch_load_dwordx4 v[8:11], v116, off
                                        ; implicit-def: $vgpr6_vgpr7
	s_waitcnt vmcnt(0)
	v_xor_b32_e32 v3, 0x80000000, v9
	v_cmp_gt_f64_e32 vcc, 0, v[8:9]
	v_xor_b32_e32 v4, 0x80000000, v11
	v_mov_b32_e32 v2, v8
	v_cndmask_b32_e32 v3, v9, v3, vcc
	v_cmp_gt_f64_e32 vcc, 0, v[10:11]
	s_nop 1
	v_cndmask_b32_e32 v5, v11, v4, vcc
	v_mov_b32_e32 v4, v10
	v_cmp_ngt_f64_e32 vcc, v[2:3], v[4:5]
                                        ; implicit-def: $vgpr2_vgpr3
	s_and_saveexec_b64 s[0:1], vcc
	s_xor_b64 s[0:1], exec, s[0:1]
	s_cbranch_execz .LBB51_4
; %bb.3:
	v_div_scale_f64 v[2:3], s[2:3], v[10:11], v[10:11], v[8:9]
	v_rcp_f64_e32 v[4:5], v[2:3]
	v_div_scale_f64 v[6:7], vcc, v[8:9], v[10:11], v[8:9]
	v_fma_f64 v[118:119], -v[2:3], v[4:5], 1.0
	v_fmac_f64_e32 v[4:5], v[4:5], v[118:119]
	v_fma_f64 v[118:119], -v[2:3], v[4:5], 1.0
	v_fmac_f64_e32 v[4:5], v[4:5], v[118:119]
	v_mul_f64 v[118:119], v[6:7], v[4:5]
	v_fma_f64 v[2:3], -v[2:3], v[118:119], v[6:7]
	v_div_fmas_f64 v[2:3], v[2:3], v[4:5], v[118:119]
	v_div_fixup_f64 v[2:3], v[2:3], v[10:11], v[8:9]
	v_fmac_f64_e32 v[10:11], v[8:9], v[2:3]
	v_div_scale_f64 v[4:5], s[2:3], v[10:11], v[10:11], 1.0
	v_rcp_f64_e32 v[6:7], v[4:5]
	s_nop 0
	v_fma_f64 v[8:9], -v[4:5], v[6:7], 1.0
	v_fmac_f64_e32 v[6:7], v[6:7], v[8:9]
	v_fma_f64 v[8:9], -v[4:5], v[6:7], 1.0
	v_fmac_f64_e32 v[6:7], v[6:7], v[8:9]
	v_div_scale_f64 v[8:9], vcc, 1.0, v[10:11], 1.0
	v_mul_f64 v[118:119], v[8:9], v[6:7]
	v_fma_f64 v[4:5], -v[4:5], v[118:119], v[8:9]
                                        ; implicit-def: $vgpr8_vgpr9
	s_nop 1
	v_div_fmas_f64 v[4:5], v[4:5], v[6:7], v[118:119]
	v_div_fixup_f64 v[4:5], v[4:5], v[10:11], 1.0
	v_mul_f64 v[2:3], v[2:3], v[4:5]
	v_xor_b32_e32 v5, 0x80000000, v5
	v_xor_b32_e32 v7, 0x80000000, v3
	v_mov_b32_e32 v6, v2
.LBB51_4:
	s_or_saveexec_b64 s[0:1], s[0:1]
	v_add_u32_e32 v117, 0, v116
	s_xor_b64 exec, exec, s[0:1]
	s_cbranch_execz .LBB51_6
; %bb.5:
	v_div_scale_f64 v[2:3], s[2:3], v[8:9], v[8:9], v[10:11]
	v_rcp_f64_e32 v[4:5], v[2:3]
	v_div_scale_f64 v[6:7], vcc, v[10:11], v[8:9], v[10:11]
	v_fma_f64 v[118:119], -v[2:3], v[4:5], 1.0
	v_fmac_f64_e32 v[4:5], v[4:5], v[118:119]
	v_fma_f64 v[118:119], -v[2:3], v[4:5], 1.0
	v_fmac_f64_e32 v[4:5], v[4:5], v[118:119]
	v_mul_f64 v[118:119], v[6:7], v[4:5]
	v_fma_f64 v[2:3], -v[2:3], v[118:119], v[6:7]
	v_div_fmas_f64 v[2:3], v[2:3], v[4:5], v[118:119]
	v_div_fixup_f64 v[4:5], v[2:3], v[8:9], v[10:11]
	v_fmac_f64_e32 v[8:9], v[10:11], v[4:5]
	v_div_scale_f64 v[2:3], s[2:3], v[8:9], v[8:9], 1.0
	v_rcp_f64_e32 v[6:7], v[2:3]
	s_nop 0
	v_fma_f64 v[10:11], -v[2:3], v[6:7], 1.0
	v_fmac_f64_e32 v[6:7], v[6:7], v[10:11]
	v_fma_f64 v[10:11], -v[2:3], v[6:7], 1.0
	v_fmac_f64_e32 v[6:7], v[6:7], v[10:11]
	v_div_scale_f64 v[10:11], vcc, 1.0, v[8:9], 1.0
	v_mul_f64 v[118:119], v[10:11], v[6:7]
	v_fma_f64 v[2:3], -v[2:3], v[118:119], v[10:11]
	s_nop 1
	v_div_fmas_f64 v[2:3], v[2:3], v[6:7], v[118:119]
	v_div_fixup_f64 v[2:3], v[2:3], v[8:9], 1.0
	v_xor_b32_e32 v7, 0x80000000, v3
	v_mov_b32_e32 v6, v2
	v_mul_f64 v[4:5], v[4:5], -v[2:3]
.LBB51_6:
	s_or_b64 exec, exec, s[0:1]
	scratch_store_dwordx4 v117, v[2:5], off
	s_nop 1
	v_xor_b32_e32 v5, 0x80000000, v5
	s_branch .LBB51_8
.LBB51_7:
	v_mov_b64_e32 v[4:5], 0
	v_mov_b64_e32 v[6:7], -1.0
.LBB51_8:
	v_mov_b32_e32 v8, v4
	v_mov_b32_e32 v9, v5
	v_add_u32_e32 v164, 16, v1
	v_add_u32_e32 v163, 32, v1
	v_add_u32_e32 v162, 48, v1
	v_add_u32_e32 v161, 64, v1
	v_add_u32_e32 v160, 0x50, v1
	v_add_u32_e32 v159, 0x60, v1
	v_add_u32_e32 v158, 0x70, v1
	v_add_u32_e32 v157, 0x80, v1
	v_add_u32_e32 v156, 0x90, v1
	v_add_u32_e32 v155, 0xa0, v1
	v_add_u32_e32 v154, 0xb0, v1
	v_add_u32_e32 v153, 0xc0, v1
	v_add_u32_e32 v152, 0xd0, v1
	v_add_u32_e32 v151, 0xe0, v1
	v_add_u32_e32 v150, 0xf0, v1
	v_add_u32_e32 v149, 0x100, v1
	v_add_u32_e32 v148, 0x110, v1
	v_add_u32_e32 v147, 0x120, v1
	v_add_u32_e32 v146, 0x130, v1
	v_add_u32_e32 v145, 0x140, v1
	v_add_u32_e32 v144, 0x150, v1
	v_add_u32_e32 v143, 0x160, v1
	v_add_u32_e32 v142, 0x170, v1
	v_add_u32_e32 v141, 0x180, v1
	v_add_u32_e32 v140, 0x190, v1
	v_add_u32_e32 v139, 0x1a0, v1
	v_add_u32_e32 v138, 0x1b0, v1
	v_add_u32_e32 v137, 0x1c0, v1
	v_add_u32_e32 v136, 0x1d0, v1
	v_add_u32_e32 v135, 0x1e0, v1
	v_add_u32_e32 v134, 0x1f0, v1
	v_add_u32_e32 v133, 0x200, v1
	v_add_u32_e32 v132, 0x210, v1
	v_add_u32_e32 v131, 0x220, v1
	v_add_u32_e32 v130, 0x230, v1
	v_add_u32_e32 v129, 0x240, v1
	v_add_u32_e32 v128, 0x250, v1
	v_add_u32_e32 v127, 0x260, v1
	v_add_u32_e32 v126, 0x270, v1
	v_add_u32_e32 v125, 0x280, v1
	v_add_u32_e32 v124, 0x290, v1
	v_add_u32_e32 v123, 0x2a0, v1
	v_add_u32_e32 v122, 0x2b0, v1
	v_add_u32_e32 v121, 0x2c0, v1
	v_add_u32_e32 v120, 0x2d0, v1
	v_add_u32_e32 v176, 0x2e0, v1
	v_add_u32_e32 v11, 0x2f0, v1
	v_add_u32_e32 v10, 0x300, v1
	v_add_u32_e32 v175, 0x310, v1
	v_add_u32_e32 v174, 0x320, v1
	v_add_u32_e32 v1, 0x330, v1
	ds_write_b128 v116, v[6:9]
	s_cmpk_eq_i32 s4, 0x79
	v_add_u32_e32 v9, 0x340, v116
	v_add_u32_e32 v8, 0, v116
	s_cbranch_scc1 .LBB51_412
; %bb.9:
	scratch_load_dwordx4 v[2:5], v174, off
	v_cmp_eq_u32_e64 s[0:1], 51, v0
	s_waitcnt vmcnt(0)
	ds_write_b128 v9, v[2:5]
	s_waitcnt lgkmcnt(0)
	; wave barrier
	s_waitcnt lgkmcnt(0)
	s_and_saveexec_b64 s[2:3], s[0:1]
	s_cbranch_execz .LBB51_13
; %bb.10:
	ds_read_b128 v[2:5], v9
	s_andn2_b64 vcc, exec, s[6:7]
	s_cbranch_vccnz .LBB51_12
; %bb.11:
	scratch_load_dwordx4 v[166:169], v8, off
	s_waitcnt vmcnt(0) lgkmcnt(0)
	v_mul_f64 v[118:119], v[2:3], v[168:169]
	v_mul_f64 v[6:7], v[4:5], v[168:169]
	v_fmac_f64_e32 v[118:119], v[4:5], v[166:167]
	v_fma_f64 v[2:3], v[2:3], v[166:167], -v[6:7]
	v_mov_b64_e32 v[4:5], v[118:119]
.LBB51_12:
	v_mov_b32_e32 v6, 0
	ds_read_b128 v[166:169], v6 offset:800
	s_waitcnt lgkmcnt(0)
	v_mul_f64 v[6:7], v[4:5], v[168:169]
	v_mul_f64 v[170:171], v[2:3], v[168:169]
	v_fma_f64 v[168:169], v[2:3], v[166:167], -v[6:7]
	v_fmac_f64_e32 v[170:171], v[4:5], v[166:167]
	scratch_store_dwordx4 off, v[168:171], off offset:800
.LBB51_13:
	s_or_b64 exec, exec, s[2:3]
	scratch_load_dwordx4 v[2:5], v175, off
	v_cmp_lt_u32_e64 s[2:3], 49, v0
	s_waitcnt vmcnt(0)
	ds_write_b128 v9, v[2:5]
	s_waitcnt lgkmcnt(0)
	; wave barrier
	s_waitcnt lgkmcnt(0)
	s_and_saveexec_b64 s[4:5], s[2:3]
	s_cbranch_execz .LBB51_19
; %bb.14:
	ds_read_b128 v[2:5], v9
	s_andn2_b64 vcc, exec, s[6:7]
	s_cbranch_vccnz .LBB51_16
; %bb.15:
	scratch_load_dwordx4 v[166:169], v8, off
	s_waitcnt vmcnt(0) lgkmcnt(0)
	v_mul_f64 v[118:119], v[2:3], v[168:169]
	v_mul_f64 v[6:7], v[4:5], v[168:169]
	v_fmac_f64_e32 v[118:119], v[4:5], v[166:167]
	v_fma_f64 v[2:3], v[2:3], v[166:167], -v[6:7]
	v_mov_b64_e32 v[4:5], v[118:119]
.LBB51_16:
	s_and_saveexec_b64 s[8:9], s[0:1]
	s_cbranch_execz .LBB51_18
; %bb.17:
	scratch_load_dwordx4 v[166:169], off, off offset:800
	v_mov_b32_e32 v6, 0
	ds_read_b128 v[170:173], v6 offset:1632
	s_waitcnt vmcnt(0) lgkmcnt(0)
	v_mul_f64 v[6:7], v[170:171], v[168:169]
	v_mul_f64 v[118:119], v[172:173], v[168:169]
	v_fmac_f64_e32 v[6:7], v[172:173], v[166:167]
	v_fma_f64 v[118:119], v[170:171], v[166:167], -v[118:119]
	v_add_f64 v[4:5], v[4:5], v[6:7]
	v_add_f64 v[2:3], v[2:3], v[118:119]
.LBB51_18:
	s_or_b64 exec, exec, s[8:9]
	v_mov_b32_e32 v6, 0
	ds_read_b128 v[166:169], v6 offset:784
	s_waitcnt lgkmcnt(0)
	v_mul_f64 v[6:7], v[4:5], v[168:169]
	v_mul_f64 v[170:171], v[2:3], v[168:169]
	v_fma_f64 v[168:169], v[2:3], v[166:167], -v[6:7]
	v_fmac_f64_e32 v[170:171], v[4:5], v[166:167]
	scratch_store_dwordx4 off, v[168:171], off offset:784
.LBB51_19:
	s_or_b64 exec, exec, s[4:5]
	scratch_load_dwordx4 v[2:5], v10, off
	v_cmp_lt_u32_e64 s[0:1], 48, v0
	s_waitcnt vmcnt(0)
	ds_write_b128 v9, v[2:5]
	s_waitcnt lgkmcnt(0)
	; wave barrier
	s_waitcnt lgkmcnt(0)
	s_and_saveexec_b64 s[4:5], s[0:1]
	s_cbranch_execz .LBB51_27
; %bb.20:
	ds_read_b128 v[2:5], v9
	s_andn2_b64 vcc, exec, s[6:7]
	s_cbranch_vccnz .LBB51_22
; %bb.21:
	scratch_load_dwordx4 v[166:169], v8, off
	s_waitcnt vmcnt(0) lgkmcnt(0)
	v_mul_f64 v[118:119], v[2:3], v[168:169]
	v_mul_f64 v[6:7], v[4:5], v[168:169]
	v_fmac_f64_e32 v[118:119], v[4:5], v[166:167]
	v_fma_f64 v[2:3], v[2:3], v[166:167], -v[6:7]
	v_mov_b64_e32 v[4:5], v[118:119]
.LBB51_22:
	s_and_saveexec_b64 s[8:9], s[2:3]
	s_cbranch_execz .LBB51_26
; %bb.23:
	v_mov_b32_e32 v7, 0
	v_subrev_u32_e32 v6, 49, v0
	v_add_u32_e32 v7, 0x318, v7
	s_movk_i32 s10, 0x650
	s_mov_b64 s[2:3], 0
.LBB51_24:                              ; =>This Inner Loop Header: Depth=1
	v_add_u32_e32 v117, -8, v7
	scratch_load_dwordx4 v[166:169], v117, off
	v_mov_b32_e32 v117, s10
	ds_read_b128 v[170:173], v117
	v_add_u32_e32 v6, -1, v6
	s_add_i32 s10, s10, 16
	v_cmp_eq_u32_e32 vcc, 0, v6
	v_add_u32_e32 v7, 16, v7
	s_or_b64 s[2:3], vcc, s[2:3]
	s_waitcnt vmcnt(0) lgkmcnt(0)
	v_mul_f64 v[118:119], v[172:173], v[168:169]
	v_mul_f64 v[168:169], v[170:171], v[168:169]
	v_fma_f64 v[118:119], v[170:171], v[166:167], -v[118:119]
	v_fmac_f64_e32 v[168:169], v[172:173], v[166:167]
	v_add_f64 v[2:3], v[2:3], v[118:119]
	v_add_f64 v[4:5], v[4:5], v[168:169]
	s_andn2_b64 exec, exec, s[2:3]
	s_cbranch_execnz .LBB51_24
; %bb.25:
	s_or_b64 exec, exec, s[2:3]
.LBB51_26:
	s_or_b64 exec, exec, s[8:9]
	v_mov_b32_e32 v6, 0
	ds_read_b128 v[166:169], v6 offset:768
	s_waitcnt lgkmcnt(0)
	v_mul_f64 v[6:7], v[4:5], v[168:169]
	v_mul_f64 v[170:171], v[2:3], v[168:169]
	v_fma_f64 v[168:169], v[2:3], v[166:167], -v[6:7]
	v_fmac_f64_e32 v[170:171], v[4:5], v[166:167]
	scratch_store_dwordx4 off, v[168:171], off offset:768
.LBB51_27:
	s_or_b64 exec, exec, s[4:5]
	scratch_load_dwordx4 v[2:5], v11, off
	v_cmp_lt_u32_e64 s[2:3], 47, v0
	s_waitcnt vmcnt(0)
	ds_write_b128 v9, v[2:5]
	s_waitcnt lgkmcnt(0)
	; wave barrier
	s_waitcnt lgkmcnt(0)
	s_and_saveexec_b64 s[4:5], s[2:3]
	s_cbranch_execz .LBB51_35
; %bb.28:
	ds_read_b128 v[2:5], v9
	s_andn2_b64 vcc, exec, s[6:7]
	s_cbranch_vccnz .LBB51_30
; %bb.29:
	scratch_load_dwordx4 v[166:169], v8, off
	s_waitcnt vmcnt(0) lgkmcnt(0)
	v_mul_f64 v[118:119], v[2:3], v[168:169]
	v_mul_f64 v[6:7], v[4:5], v[168:169]
	v_fmac_f64_e32 v[118:119], v[4:5], v[166:167]
	v_fma_f64 v[2:3], v[2:3], v[166:167], -v[6:7]
	v_mov_b64_e32 v[4:5], v[118:119]
.LBB51_30:
	s_and_saveexec_b64 s[8:9], s[0:1]
	s_cbranch_execz .LBB51_34
; %bb.31:
	v_mov_b32_e32 v7, 0
	v_subrev_u32_e32 v6, 48, v0
	v_add_u32_e32 v7, 0x308, v7
	s_movk_i32 s10, 0x640
	s_mov_b64 s[0:1], 0
.LBB51_32:                              ; =>This Inner Loop Header: Depth=1
	v_add_u32_e32 v117, -8, v7
	scratch_load_dwordx4 v[166:169], v117, off
	v_mov_b32_e32 v117, s10
	ds_read_b128 v[170:173], v117
	v_add_u32_e32 v6, -1, v6
	s_add_i32 s10, s10, 16
	v_cmp_eq_u32_e32 vcc, 0, v6
	v_add_u32_e32 v7, 16, v7
	s_or_b64 s[0:1], vcc, s[0:1]
	s_waitcnt vmcnt(0) lgkmcnt(0)
	v_mul_f64 v[118:119], v[172:173], v[168:169]
	v_mul_f64 v[168:169], v[170:171], v[168:169]
	v_fma_f64 v[118:119], v[170:171], v[166:167], -v[118:119]
	v_fmac_f64_e32 v[168:169], v[172:173], v[166:167]
	v_add_f64 v[2:3], v[2:3], v[118:119]
	v_add_f64 v[4:5], v[4:5], v[168:169]
	s_andn2_b64 exec, exec, s[0:1]
	s_cbranch_execnz .LBB51_32
; %bb.33:
	s_or_b64 exec, exec, s[0:1]
.LBB51_34:
	s_or_b64 exec, exec, s[8:9]
	v_mov_b32_e32 v6, 0
	ds_read_b128 v[166:169], v6 offset:752
	s_waitcnt lgkmcnt(0)
	v_mul_f64 v[6:7], v[4:5], v[168:169]
	v_mul_f64 v[170:171], v[2:3], v[168:169]
	v_fma_f64 v[168:169], v[2:3], v[166:167], -v[6:7]
	v_fmac_f64_e32 v[170:171], v[4:5], v[166:167]
	scratch_store_dwordx4 off, v[168:171], off offset:752
.LBB51_35:
	;; [unrolled: 63-line block ×10, first 2 shown]
	s_or_b64 exec, exec, s[4:5]
	scratch_load_dwordx4 v[2:5], v127, off
	v_cmp_lt_u32_e64 s[0:1], 38, v0
	s_waitcnt vmcnt(0)
	ds_write_b128 v9, v[2:5]
	s_waitcnt lgkmcnt(0)
	; wave barrier
	s_waitcnt lgkmcnt(0)
	s_and_saveexec_b64 s[4:5], s[0:1]
	s_cbranch_execz .LBB51_107
; %bb.100:
	ds_read_b128 v[2:5], v9
	s_andn2_b64 vcc, exec, s[6:7]
	s_cbranch_vccnz .LBB51_102
; %bb.101:
	scratch_load_dwordx4 v[166:169], v8, off
	s_waitcnt vmcnt(0) lgkmcnt(0)
	v_mul_f64 v[118:119], v[2:3], v[168:169]
	v_mul_f64 v[6:7], v[4:5], v[168:169]
	v_fmac_f64_e32 v[118:119], v[4:5], v[166:167]
	v_fma_f64 v[2:3], v[2:3], v[166:167], -v[6:7]
	v_mov_b64_e32 v[4:5], v[118:119]
.LBB51_102:
	s_and_saveexec_b64 s[8:9], s[2:3]
	s_cbranch_execz .LBB51_106
; %bb.103:
	v_mov_b32_e32 v7, 0
	v_subrev_u32_e32 v6, 39, v0
	v_add_u32_e32 v7, 0x278, v7
	s_movk_i32 s10, 0x5b0
	s_mov_b64 s[2:3], 0
.LBB51_104:                             ; =>This Inner Loop Header: Depth=1
	v_add_u32_e32 v117, -8, v7
	scratch_load_dwordx4 v[166:169], v117, off
	v_mov_b32_e32 v117, s10
	ds_read_b128 v[170:173], v117
	v_add_u32_e32 v6, -1, v6
	s_add_i32 s10, s10, 16
	v_cmp_eq_u32_e32 vcc, 0, v6
	v_add_u32_e32 v7, 16, v7
	s_or_b64 s[2:3], vcc, s[2:3]
	s_waitcnt vmcnt(0) lgkmcnt(0)
	v_mul_f64 v[118:119], v[172:173], v[168:169]
	v_mul_f64 v[168:169], v[170:171], v[168:169]
	v_fma_f64 v[118:119], v[170:171], v[166:167], -v[118:119]
	v_fmac_f64_e32 v[168:169], v[172:173], v[166:167]
	v_add_f64 v[2:3], v[2:3], v[118:119]
	v_add_f64 v[4:5], v[4:5], v[168:169]
	s_andn2_b64 exec, exec, s[2:3]
	s_cbranch_execnz .LBB51_104
; %bb.105:
	s_or_b64 exec, exec, s[2:3]
.LBB51_106:
	s_or_b64 exec, exec, s[8:9]
	v_mov_b32_e32 v6, 0
	ds_read_b128 v[166:169], v6 offset:608
	s_waitcnt lgkmcnt(0)
	v_mul_f64 v[6:7], v[4:5], v[168:169]
	v_mul_f64 v[170:171], v[2:3], v[168:169]
	v_fma_f64 v[168:169], v[2:3], v[166:167], -v[6:7]
	v_fmac_f64_e32 v[170:171], v[4:5], v[166:167]
	scratch_store_dwordx4 off, v[168:171], off offset:608
.LBB51_107:
	s_or_b64 exec, exec, s[4:5]
	scratch_load_dwordx4 v[2:5], v128, off
	v_cmp_lt_u32_e64 s[2:3], 37, v0
	s_waitcnt vmcnt(0)
	ds_write_b128 v9, v[2:5]
	s_waitcnt lgkmcnt(0)
	; wave barrier
	s_waitcnt lgkmcnt(0)
	s_and_saveexec_b64 s[4:5], s[2:3]
	s_cbranch_execz .LBB51_115
; %bb.108:
	ds_read_b128 v[2:5], v9
	s_andn2_b64 vcc, exec, s[6:7]
	s_cbranch_vccnz .LBB51_110
; %bb.109:
	scratch_load_dwordx4 v[166:169], v8, off
	s_waitcnt vmcnt(0) lgkmcnt(0)
	v_mul_f64 v[118:119], v[2:3], v[168:169]
	v_mul_f64 v[6:7], v[4:5], v[168:169]
	v_fmac_f64_e32 v[118:119], v[4:5], v[166:167]
	v_fma_f64 v[2:3], v[2:3], v[166:167], -v[6:7]
	v_mov_b64_e32 v[4:5], v[118:119]
.LBB51_110:
	s_and_saveexec_b64 s[8:9], s[0:1]
	s_cbranch_execz .LBB51_114
; %bb.111:
	v_mov_b32_e32 v7, 0
	v_subrev_u32_e32 v6, 38, v0
	v_add_u32_e32 v7, 0x268, v7
	s_movk_i32 s10, 0x5a0
	s_mov_b64 s[0:1], 0
.LBB51_112:                             ; =>This Inner Loop Header: Depth=1
	v_add_u32_e32 v117, -8, v7
	scratch_load_dwordx4 v[166:169], v117, off
	v_mov_b32_e32 v117, s10
	ds_read_b128 v[170:173], v117
	v_add_u32_e32 v6, -1, v6
	s_add_i32 s10, s10, 16
	v_cmp_eq_u32_e32 vcc, 0, v6
	v_add_u32_e32 v7, 16, v7
	s_or_b64 s[0:1], vcc, s[0:1]
	s_waitcnt vmcnt(0) lgkmcnt(0)
	v_mul_f64 v[118:119], v[172:173], v[168:169]
	v_mul_f64 v[168:169], v[170:171], v[168:169]
	v_fma_f64 v[118:119], v[170:171], v[166:167], -v[118:119]
	v_fmac_f64_e32 v[168:169], v[172:173], v[166:167]
	v_add_f64 v[2:3], v[2:3], v[118:119]
	v_add_f64 v[4:5], v[4:5], v[168:169]
	s_andn2_b64 exec, exec, s[0:1]
	s_cbranch_execnz .LBB51_112
; %bb.113:
	s_or_b64 exec, exec, s[0:1]
.LBB51_114:
	s_or_b64 exec, exec, s[8:9]
	v_mov_b32_e32 v6, 0
	ds_read_b128 v[166:169], v6 offset:592
	s_waitcnt lgkmcnt(0)
	v_mul_f64 v[6:7], v[4:5], v[168:169]
	v_mul_f64 v[170:171], v[2:3], v[168:169]
	v_fma_f64 v[168:169], v[2:3], v[166:167], -v[6:7]
	v_fmac_f64_e32 v[170:171], v[4:5], v[166:167]
	scratch_store_dwordx4 off, v[168:171], off offset:592
.LBB51_115:
	;; [unrolled: 63-line block ×23, first 2 shown]
	s_or_b64 exec, exec, s[4:5]
	scratch_load_dwordx4 v[2:5], v150, off
	v_cmp_lt_u32_e64 s[2:3], 15, v0
	s_waitcnt vmcnt(0)
	ds_write_b128 v9, v[2:5]
	s_waitcnt lgkmcnt(0)
	; wave barrier
	s_waitcnt lgkmcnt(0)
	s_and_saveexec_b64 s[4:5], s[2:3]
	s_cbranch_execz .LBB51_291
; %bb.284:
	ds_read_b128 v[2:5], v9
	s_andn2_b64 vcc, exec, s[6:7]
	s_cbranch_vccnz .LBB51_286
; %bb.285:
	scratch_load_dwordx4 v[166:169], v8, off
	s_waitcnt vmcnt(0) lgkmcnt(0)
	v_mul_f64 v[118:119], v[2:3], v[168:169]
	v_mul_f64 v[6:7], v[4:5], v[168:169]
	v_fmac_f64_e32 v[118:119], v[4:5], v[166:167]
	v_fma_f64 v[2:3], v[2:3], v[166:167], -v[6:7]
	v_mov_b64_e32 v[4:5], v[118:119]
.LBB51_286:
	s_and_saveexec_b64 s[8:9], s[0:1]
	s_cbranch_execz .LBB51_290
; %bb.287:
	v_mov_b32_e32 v7, 0
	v_add_u32_e32 v6, -16, v0
	v_add_u32_e32 v7, 0x108, v7
	s_movk_i32 s10, 0x440
	s_mov_b64 s[0:1], 0
.LBB51_288:                             ; =>This Inner Loop Header: Depth=1
	v_add_u32_e32 v117, -8, v7
	scratch_load_dwordx4 v[166:169], v117, off
	v_mov_b32_e32 v117, s10
	ds_read_b128 v[170:173], v117
	v_add_u32_e32 v6, -1, v6
	s_add_i32 s10, s10, 16
	v_cmp_eq_u32_e32 vcc, 0, v6
	v_add_u32_e32 v7, 16, v7
	s_or_b64 s[0:1], vcc, s[0:1]
	s_waitcnt vmcnt(0) lgkmcnt(0)
	v_mul_f64 v[118:119], v[172:173], v[168:169]
	v_mul_f64 v[168:169], v[170:171], v[168:169]
	v_fma_f64 v[118:119], v[170:171], v[166:167], -v[118:119]
	v_fmac_f64_e32 v[168:169], v[172:173], v[166:167]
	v_add_f64 v[2:3], v[2:3], v[118:119]
	v_add_f64 v[4:5], v[4:5], v[168:169]
	s_andn2_b64 exec, exec, s[0:1]
	s_cbranch_execnz .LBB51_288
; %bb.289:
	s_or_b64 exec, exec, s[0:1]
.LBB51_290:
	s_or_b64 exec, exec, s[8:9]
	v_mov_b32_e32 v6, 0
	ds_read_b128 v[166:169], v6 offset:240
	s_waitcnt lgkmcnt(0)
	v_mul_f64 v[6:7], v[4:5], v[168:169]
	v_mul_f64 v[170:171], v[2:3], v[168:169]
	v_fma_f64 v[168:169], v[2:3], v[166:167], -v[6:7]
	v_fmac_f64_e32 v[170:171], v[4:5], v[166:167]
	scratch_store_dwordx4 off, v[168:171], off offset:240
.LBB51_291:
	s_or_b64 exec, exec, s[4:5]
	scratch_load_dwordx4 v[2:5], v151, off
	v_cmp_lt_u32_e64 s[0:1], 14, v0
	s_waitcnt vmcnt(0)
	ds_write_b128 v9, v[2:5]
	s_waitcnt lgkmcnt(0)
	; wave barrier
	s_waitcnt lgkmcnt(0)
	s_and_saveexec_b64 s[4:5], s[0:1]
	s_cbranch_execz .LBB51_299
; %bb.292:
	ds_read_b128 v[2:5], v9
	s_andn2_b64 vcc, exec, s[6:7]
	s_cbranch_vccnz .LBB51_294
; %bb.293:
	scratch_load_dwordx4 v[166:169], v8, off
	s_waitcnt vmcnt(0) lgkmcnt(0)
	v_mul_f64 v[118:119], v[2:3], v[168:169]
	v_mul_f64 v[6:7], v[4:5], v[168:169]
	v_fmac_f64_e32 v[118:119], v[4:5], v[166:167]
	v_fma_f64 v[2:3], v[2:3], v[166:167], -v[6:7]
	v_mov_b64_e32 v[4:5], v[118:119]
.LBB51_294:
	s_and_saveexec_b64 s[8:9], s[2:3]
	s_cbranch_execz .LBB51_298
; %bb.295:
	v_mov_b32_e32 v7, 0
	v_add_u32_e32 v6, -15, v0
	v_add_u32_e32 v7, 0xf8, v7
	s_movk_i32 s10, 0x430
	s_mov_b64 s[2:3], 0
.LBB51_296:                             ; =>This Inner Loop Header: Depth=1
	v_add_u32_e32 v117, -8, v7
	scratch_load_dwordx4 v[166:169], v117, off
	v_mov_b32_e32 v117, s10
	ds_read_b128 v[170:173], v117
	v_add_u32_e32 v6, -1, v6
	s_add_i32 s10, s10, 16
	v_cmp_eq_u32_e32 vcc, 0, v6
	v_add_u32_e32 v7, 16, v7
	s_or_b64 s[2:3], vcc, s[2:3]
	s_waitcnt vmcnt(0) lgkmcnt(0)
	v_mul_f64 v[118:119], v[172:173], v[168:169]
	v_mul_f64 v[168:169], v[170:171], v[168:169]
	v_fma_f64 v[118:119], v[170:171], v[166:167], -v[118:119]
	v_fmac_f64_e32 v[168:169], v[172:173], v[166:167]
	v_add_f64 v[2:3], v[2:3], v[118:119]
	v_add_f64 v[4:5], v[4:5], v[168:169]
	s_andn2_b64 exec, exec, s[2:3]
	s_cbranch_execnz .LBB51_296
; %bb.297:
	s_or_b64 exec, exec, s[2:3]
.LBB51_298:
	s_or_b64 exec, exec, s[8:9]
	v_mov_b32_e32 v6, 0
	ds_read_b128 v[166:169], v6 offset:224
	s_waitcnt lgkmcnt(0)
	v_mul_f64 v[6:7], v[4:5], v[168:169]
	v_mul_f64 v[170:171], v[2:3], v[168:169]
	v_fma_f64 v[168:169], v[2:3], v[166:167], -v[6:7]
	v_fmac_f64_e32 v[170:171], v[4:5], v[166:167]
	scratch_store_dwordx4 off, v[168:171], off offset:224
.LBB51_299:
	;; [unrolled: 63-line block ×15, first 2 shown]
	s_or_b64 exec, exec, s[2:3]
	scratch_load_dwordx4 v[2:5], off, off
	v_cmp_ne_u32_e32 vcc, 0, v0
	s_mov_b64 s[2:3], 0
	s_mov_b64 s[4:5], 0
                                        ; implicit-def: $vgpr6_vgpr7
                                        ; implicit-def: $vgpr165
	s_waitcnt vmcnt(0)
	ds_write_b128 v9, v[2:5]
	s_waitcnt lgkmcnt(0)
	; wave barrier
	s_waitcnt lgkmcnt(0)
	s_and_saveexec_b64 s[8:9], vcc
	s_cbranch_execz .LBB51_411
; %bb.404:
	ds_read_b128 v[2:5], v9
	s_andn2_b64 vcc, exec, s[6:7]
	s_cbranch_vccnz .LBB51_406
; %bb.405:
	scratch_load_dwordx4 v[166:169], v8, off
	s_waitcnt vmcnt(0) lgkmcnt(0)
	v_mul_f64 v[118:119], v[2:3], v[168:169]
	v_mul_f64 v[6:7], v[4:5], v[168:169]
	v_fmac_f64_e32 v[118:119], v[4:5], v[166:167]
	v_fma_f64 v[2:3], v[2:3], v[166:167], -v[6:7]
	v_mov_b64_e32 v[4:5], v[118:119]
.LBB51_406:
	s_and_saveexec_b64 s[4:5], s[0:1]
	s_cbranch_execz .LBB51_410
; %bb.407:
	v_mov_b32_e32 v7, 0
	v_add_u32_e32 v6, -1, v0
	v_add_u32_e32 v7, 24, v7
	s_movk_i32 s10, 0x350
	s_mov_b64 s[0:1], 0
.LBB51_408:                             ; =>This Inner Loop Header: Depth=1
	v_add_u32_e32 v117, -8, v7
	scratch_load_dwordx4 v[166:169], v117, off
	v_mov_b32_e32 v117, s10
	ds_read_b128 v[170:173], v117
	v_add_u32_e32 v6, -1, v6
	s_add_i32 s10, s10, 16
	v_cmp_eq_u32_e32 vcc, 0, v6
	v_add_u32_e32 v7, 16, v7
	s_or_b64 s[0:1], vcc, s[0:1]
	s_waitcnt vmcnt(0) lgkmcnt(0)
	v_mul_f64 v[118:119], v[172:173], v[168:169]
	v_mul_f64 v[168:169], v[170:171], v[168:169]
	v_fma_f64 v[118:119], v[170:171], v[166:167], -v[118:119]
	v_fmac_f64_e32 v[168:169], v[172:173], v[166:167]
	v_add_f64 v[2:3], v[2:3], v[118:119]
	v_add_f64 v[4:5], v[4:5], v[168:169]
	s_andn2_b64 exec, exec, s[0:1]
	s_cbranch_execnz .LBB51_408
; %bb.409:
	s_or_b64 exec, exec, s[0:1]
.LBB51_410:
	s_or_b64 exec, exec, s[4:5]
	v_mov_b32_e32 v6, 0
	ds_read_b128 v[166:169], v6
	v_mov_b32_e32 v6, 0
	v_or_b32_e32 v165, 8, v6
	s_mov_b64 s[4:5], exec
	s_waitcnt lgkmcnt(0)
	v_mul_f64 v[118:119], v[4:5], v[168:169]
	v_mul_f64 v[6:7], v[2:3], v[168:169]
	v_fma_f64 v[2:3], v[2:3], v[166:167], -v[118:119]
	v_fmac_f64_e32 v[6:7], v[4:5], v[166:167]
	scratch_store_dwordx2 off, v[2:3], off
.LBB51_411:
	s_or_b64 exec, exec, s[8:9]
	s_and_b64 vcc, exec, s[2:3]
	s_cbranch_vccnz .LBB51_413
	s_branch .LBB51_816
.LBB51_412:
	s_mov_b64 s[4:5], 0
                                        ; implicit-def: $vgpr6_vgpr7
                                        ; implicit-def: $vgpr165
	s_cbranch_execz .LBB51_816
.LBB51_413:
	scratch_load_dwordx4 v[2:5], v164, off
	v_cndmask_b32_e64 v6, 0, 1, s[6:7]
	v_cmp_eq_u32_e64 s[2:3], 0, v0
	v_cmp_ne_u32_e64 s[0:1], 1, v6
	s_waitcnt vmcnt(0)
	ds_write_b128 v9, v[2:5]
	s_waitcnt lgkmcnt(0)
	; wave barrier
	s_waitcnt lgkmcnt(0)
	s_and_saveexec_b64 s[6:7], s[2:3]
	s_cbranch_execz .LBB51_417
; %bb.414:
	ds_read_b128 v[2:5], v9
	s_and_b64 vcc, exec, s[0:1]
	s_cbranch_vccnz .LBB51_416
; %bb.415:
	scratch_load_dwordx4 v[166:169], v8, off
	s_waitcnt vmcnt(0) lgkmcnt(0)
	v_mul_f64 v[118:119], v[2:3], v[168:169]
	v_mul_f64 v[6:7], v[4:5], v[168:169]
	v_fmac_f64_e32 v[118:119], v[4:5], v[166:167]
	v_fma_f64 v[2:3], v[2:3], v[166:167], -v[6:7]
	v_mov_b64_e32 v[4:5], v[118:119]
.LBB51_416:
	v_mov_b32_e32 v6, 0
	ds_read_b128 v[166:169], v6 offset:16
	s_waitcnt lgkmcnt(0)
	v_mul_f64 v[6:7], v[4:5], v[168:169]
	v_mul_f64 v[170:171], v[2:3], v[168:169]
	v_fma_f64 v[168:169], v[2:3], v[166:167], -v[6:7]
	v_fmac_f64_e32 v[170:171], v[4:5], v[166:167]
	scratch_store_dwordx4 off, v[168:171], off offset:16
.LBB51_417:
	s_or_b64 exec, exec, s[6:7]
	scratch_load_dwordx4 v[2:5], v163, off
	v_cmp_gt_u32_e32 vcc, 2, v0
	s_waitcnt vmcnt(0)
	ds_write_b128 v9, v[2:5]
	s_waitcnt lgkmcnt(0)
	; wave barrier
	s_waitcnt lgkmcnt(0)
	s_and_saveexec_b64 s[6:7], vcc
	s_cbranch_execz .LBB51_423
; %bb.418:
	ds_read_b128 v[2:5], v9
	s_and_b64 vcc, exec, s[0:1]
	s_cbranch_vccnz .LBB51_420
; %bb.419:
	scratch_load_dwordx4 v[166:169], v8, off
	s_waitcnt vmcnt(0) lgkmcnt(0)
	v_mul_f64 v[118:119], v[2:3], v[168:169]
	v_mul_f64 v[6:7], v[4:5], v[168:169]
	v_fmac_f64_e32 v[118:119], v[4:5], v[166:167]
	v_fma_f64 v[2:3], v[2:3], v[166:167], -v[6:7]
	v_mov_b64_e32 v[4:5], v[118:119]
.LBB51_420:
	s_and_saveexec_b64 s[8:9], s[2:3]
	s_cbranch_execz .LBB51_422
; %bb.421:
	scratch_load_dwordx4 v[166:169], v8, off offset:16
	ds_read_b128 v[170:173], v9 offset:16
	s_waitcnt vmcnt(0) lgkmcnt(0)
	v_mul_f64 v[6:7], v[172:173], v[168:169]
	v_mul_f64 v[118:119], v[170:171], v[168:169]
	v_fma_f64 v[6:7], v[170:171], v[166:167], -v[6:7]
	v_fmac_f64_e32 v[118:119], v[172:173], v[166:167]
	v_add_f64 v[2:3], v[2:3], v[6:7]
	v_add_f64 v[4:5], v[4:5], v[118:119]
.LBB51_422:
	s_or_b64 exec, exec, s[8:9]
	v_mov_b32_e32 v6, 0
	ds_read_b128 v[166:169], v6 offset:32
	s_waitcnt lgkmcnt(0)
	v_mul_f64 v[6:7], v[4:5], v[168:169]
	v_mul_f64 v[170:171], v[2:3], v[168:169]
	v_fma_f64 v[168:169], v[2:3], v[166:167], -v[6:7]
	v_fmac_f64_e32 v[170:171], v[4:5], v[166:167]
	scratch_store_dwordx4 off, v[168:171], off offset:32
.LBB51_423:
	s_or_b64 exec, exec, s[6:7]
	scratch_load_dwordx4 v[2:5], v162, off
	v_cmp_gt_u32_e32 vcc, 3, v0
	s_waitcnt vmcnt(0)
	ds_write_b128 v9, v[2:5]
	s_waitcnt lgkmcnt(0)
	; wave barrier
	s_waitcnt lgkmcnt(0)
	s_and_saveexec_b64 s[6:7], vcc
	s_cbranch_execz .LBB51_431
; %bb.424:
	ds_read_b128 v[2:5], v9
	s_and_b64 vcc, exec, s[0:1]
	s_cbranch_vccnz .LBB51_426
; %bb.425:
	scratch_load_dwordx4 v[166:169], v8, off
	s_waitcnt vmcnt(0) lgkmcnt(0)
	v_mul_f64 v[118:119], v[2:3], v[168:169]
	v_mul_f64 v[6:7], v[4:5], v[168:169]
	v_fmac_f64_e32 v[118:119], v[4:5], v[166:167]
	v_fma_f64 v[2:3], v[2:3], v[166:167], -v[6:7]
	v_mov_b64_e32 v[4:5], v[118:119]
.LBB51_426:
	v_cmp_ne_u32_e32 vcc, 2, v0
	s_and_saveexec_b64 s[8:9], vcc
	s_cbranch_execz .LBB51_430
; %bb.427:
	scratch_load_dwordx4 v[166:169], v8, off offset:16
	ds_read_b128 v[170:173], v9 offset:16
	s_waitcnt vmcnt(0) lgkmcnt(0)
	v_mul_f64 v[6:7], v[172:173], v[168:169]
	v_mul_f64 v[118:119], v[170:171], v[168:169]
	v_fma_f64 v[6:7], v[170:171], v[166:167], -v[6:7]
	v_fmac_f64_e32 v[118:119], v[172:173], v[166:167]
	v_add_f64 v[2:3], v[2:3], v[6:7]
	v_add_f64 v[4:5], v[4:5], v[118:119]
	s_and_saveexec_b64 s[10:11], s[2:3]
	s_cbranch_execz .LBB51_429
; %bb.428:
	scratch_load_dwordx4 v[166:169], off, off offset:32
	v_mov_b32_e32 v6, 0
	ds_read_b128 v[170:173], v6 offset:864
	s_waitcnt vmcnt(0) lgkmcnt(0)
	v_mul_f64 v[6:7], v[170:171], v[168:169]
	v_mul_f64 v[118:119], v[172:173], v[168:169]
	v_fmac_f64_e32 v[6:7], v[172:173], v[166:167]
	v_fma_f64 v[118:119], v[170:171], v[166:167], -v[118:119]
	v_add_f64 v[4:5], v[4:5], v[6:7]
	v_add_f64 v[2:3], v[2:3], v[118:119]
.LBB51_429:
	s_or_b64 exec, exec, s[10:11]
.LBB51_430:
	s_or_b64 exec, exec, s[8:9]
	v_mov_b32_e32 v6, 0
	ds_read_b128 v[166:169], v6 offset:48
	s_waitcnt lgkmcnt(0)
	v_mul_f64 v[6:7], v[4:5], v[168:169]
	v_mul_f64 v[170:171], v[2:3], v[168:169]
	v_fma_f64 v[168:169], v[2:3], v[166:167], -v[6:7]
	v_fmac_f64_e32 v[170:171], v[4:5], v[166:167]
	scratch_store_dwordx4 off, v[168:171], off offset:48
.LBB51_431:
	s_or_b64 exec, exec, s[6:7]
	scratch_load_dwordx4 v[2:5], v161, off
	v_cmp_gt_u32_e32 vcc, 4, v0
	s_waitcnt vmcnt(0)
	ds_write_b128 v9, v[2:5]
	s_waitcnt lgkmcnt(0)
	; wave barrier
	s_waitcnt lgkmcnt(0)
	s_and_saveexec_b64 s[2:3], vcc
	s_cbranch_execz .LBB51_439
; %bb.432:
	ds_read_b128 v[2:5], v9
	s_and_b64 vcc, exec, s[0:1]
	s_cbranch_vccnz .LBB51_434
; %bb.433:
	scratch_load_dwordx4 v[166:169], v8, off
	s_waitcnt vmcnt(0) lgkmcnt(0)
	v_mul_f64 v[118:119], v[2:3], v[168:169]
	v_mul_f64 v[6:7], v[4:5], v[168:169]
	v_fmac_f64_e32 v[118:119], v[4:5], v[166:167]
	v_fma_f64 v[2:3], v[2:3], v[166:167], -v[6:7]
	v_mov_b64_e32 v[4:5], v[118:119]
.LBB51_434:
	v_cmp_ne_u32_e32 vcc, 3, v0
	s_and_saveexec_b64 s[6:7], vcc
	s_cbranch_execz .LBB51_438
; %bb.435:
	v_mov_b32_e32 v7, 0
	v_add_u32_e32 v6, 0x350, v116
	v_add3_u32 v7, v116, v7, 24
	s_mov_b64 s[8:9], 0
	v_mov_b32_e32 v165, v0
.LBB51_436:                             ; =>This Inner Loop Header: Depth=1
	v_add_u32_e32 v117, -8, v7
	scratch_load_dwordx4 v[166:169], v117, off
	ds_read_b128 v[170:173], v6
	v_add_u32_e32 v165, 1, v165
	v_cmp_lt_u32_e32 vcc, 2, v165
	v_add_u32_e32 v6, 16, v6
	v_add_u32_e32 v7, 16, v7
	s_or_b64 s[8:9], vcc, s[8:9]
	s_waitcnt vmcnt(0) lgkmcnt(0)
	v_mul_f64 v[118:119], v[172:173], v[168:169]
	v_mul_f64 v[168:169], v[170:171], v[168:169]
	v_fma_f64 v[118:119], v[170:171], v[166:167], -v[118:119]
	v_fmac_f64_e32 v[168:169], v[172:173], v[166:167]
	v_add_f64 v[2:3], v[2:3], v[118:119]
	v_add_f64 v[4:5], v[4:5], v[168:169]
	s_andn2_b64 exec, exec, s[8:9]
	s_cbranch_execnz .LBB51_436
; %bb.437:
	s_or_b64 exec, exec, s[8:9]
.LBB51_438:
	s_or_b64 exec, exec, s[6:7]
	v_mov_b32_e32 v6, 0
	ds_read_b128 v[166:169], v6 offset:64
	s_waitcnt lgkmcnt(0)
	v_mul_f64 v[6:7], v[4:5], v[168:169]
	v_mul_f64 v[170:171], v[2:3], v[168:169]
	v_fma_f64 v[168:169], v[2:3], v[166:167], -v[6:7]
	v_fmac_f64_e32 v[170:171], v[4:5], v[166:167]
	scratch_store_dwordx4 off, v[168:171], off offset:64
.LBB51_439:
	s_or_b64 exec, exec, s[2:3]
	scratch_load_dwordx4 v[2:5], v160, off
	v_cmp_gt_u32_e32 vcc, 5, v0
	s_waitcnt vmcnt(0)
	ds_write_b128 v9, v[2:5]
	s_waitcnt lgkmcnt(0)
	; wave barrier
	s_waitcnt lgkmcnt(0)
	s_and_saveexec_b64 s[2:3], vcc
	s_cbranch_execz .LBB51_447
; %bb.440:
	ds_read_b128 v[2:5], v9
	s_and_b64 vcc, exec, s[0:1]
	s_cbranch_vccnz .LBB51_442
; %bb.441:
	scratch_load_dwordx4 v[166:169], v8, off
	s_waitcnt vmcnt(0) lgkmcnt(0)
	v_mul_f64 v[118:119], v[2:3], v[168:169]
	v_mul_f64 v[6:7], v[4:5], v[168:169]
	v_fmac_f64_e32 v[118:119], v[4:5], v[166:167]
	v_fma_f64 v[2:3], v[2:3], v[166:167], -v[6:7]
	v_mov_b64_e32 v[4:5], v[118:119]
.LBB51_442:
	v_cmp_ne_u32_e32 vcc, 4, v0
	s_and_saveexec_b64 s[6:7], vcc
	s_cbranch_execz .LBB51_446
; %bb.443:
	v_mov_b32_e32 v7, 0
	v_add_u32_e32 v6, 0x350, v116
	v_add3_u32 v7, v116, v7, 24
	s_mov_b64 s[8:9], 0
	v_mov_b32_e32 v165, v0
.LBB51_444:                             ; =>This Inner Loop Header: Depth=1
	v_add_u32_e32 v117, -8, v7
	scratch_load_dwordx4 v[166:169], v117, off
	ds_read_b128 v[170:173], v6
	v_add_u32_e32 v165, 1, v165
	v_cmp_lt_u32_e32 vcc, 3, v165
	v_add_u32_e32 v6, 16, v6
	v_add_u32_e32 v7, 16, v7
	s_or_b64 s[8:9], vcc, s[8:9]
	s_waitcnt vmcnt(0) lgkmcnt(0)
	v_mul_f64 v[118:119], v[172:173], v[168:169]
	v_mul_f64 v[168:169], v[170:171], v[168:169]
	v_fma_f64 v[118:119], v[170:171], v[166:167], -v[118:119]
	v_fmac_f64_e32 v[168:169], v[172:173], v[166:167]
	v_add_f64 v[2:3], v[2:3], v[118:119]
	v_add_f64 v[4:5], v[4:5], v[168:169]
	s_andn2_b64 exec, exec, s[8:9]
	s_cbranch_execnz .LBB51_444
; %bb.445:
	s_or_b64 exec, exec, s[8:9]
.LBB51_446:
	s_or_b64 exec, exec, s[6:7]
	v_mov_b32_e32 v6, 0
	ds_read_b128 v[166:169], v6 offset:80
	s_waitcnt lgkmcnt(0)
	v_mul_f64 v[6:7], v[4:5], v[168:169]
	v_mul_f64 v[170:171], v[2:3], v[168:169]
	v_fma_f64 v[168:169], v[2:3], v[166:167], -v[6:7]
	v_fmac_f64_e32 v[170:171], v[4:5], v[166:167]
	scratch_store_dwordx4 off, v[168:171], off offset:80
.LBB51_447:
	;; [unrolled: 63-line block ×46, first 2 shown]
	s_or_b64 exec, exec, s[2:3]
	scratch_load_dwordx4 v[2:5], v174, off
	v_cmp_gt_u32_e64 s[2:3], 50, v0
	s_waitcnt vmcnt(0)
	ds_write_b128 v9, v[2:5]
	s_waitcnt lgkmcnt(0)
	; wave barrier
	s_waitcnt lgkmcnt(0)
	s_and_saveexec_b64 s[6:7], s[2:3]
	s_cbranch_execz .LBB51_807
; %bb.800:
	ds_read_b128 v[2:5], v9
	s_and_b64 vcc, exec, s[0:1]
	s_cbranch_vccnz .LBB51_802
; %bb.801:
	scratch_load_dwordx4 v[166:169], v8, off
	s_waitcnt vmcnt(0) lgkmcnt(0)
	v_mul_f64 v[118:119], v[2:3], v[168:169]
	v_mul_f64 v[6:7], v[4:5], v[168:169]
	v_fmac_f64_e32 v[118:119], v[4:5], v[166:167]
	v_fma_f64 v[2:3], v[2:3], v[166:167], -v[6:7]
	v_mov_b64_e32 v[4:5], v[118:119]
.LBB51_802:
	v_cmp_ne_u32_e32 vcc, 49, v0
	s_and_saveexec_b64 s[8:9], vcc
	s_cbranch_execz .LBB51_806
; %bb.803:
	v_mov_b32_e32 v7, 0
	v_add_u32_e32 v6, 0x350, v116
	v_add3_u32 v7, v116, v7, 24
	s_mov_b64 s[10:11], 0
	v_mov_b32_e32 v165, v0
.LBB51_804:                             ; =>This Inner Loop Header: Depth=1
	v_add_u32_e32 v117, -8, v7
	scratch_load_dwordx4 v[166:169], v117, off
	ds_read_b128 v[170:173], v6
	v_add_u32_e32 v165, 1, v165
	v_cmp_lt_u32_e32 vcc, 48, v165
	v_add_u32_e32 v6, 16, v6
	v_add_u32_e32 v7, 16, v7
	s_or_b64 s[10:11], vcc, s[10:11]
	s_waitcnt vmcnt(0) lgkmcnt(0)
	v_mul_f64 v[118:119], v[172:173], v[168:169]
	v_mul_f64 v[168:169], v[170:171], v[168:169]
	v_fma_f64 v[118:119], v[170:171], v[166:167], -v[118:119]
	v_fmac_f64_e32 v[168:169], v[172:173], v[166:167]
	v_add_f64 v[2:3], v[2:3], v[118:119]
	v_add_f64 v[4:5], v[4:5], v[168:169]
	s_andn2_b64 exec, exec, s[10:11]
	s_cbranch_execnz .LBB51_804
; %bb.805:
	s_or_b64 exec, exec, s[10:11]
.LBB51_806:
	s_or_b64 exec, exec, s[8:9]
	v_mov_b32_e32 v6, 0
	ds_read_b128 v[166:169], v6 offset:800
	s_waitcnt lgkmcnt(0)
	v_mul_f64 v[6:7], v[4:5], v[168:169]
	v_mul_f64 v[170:171], v[2:3], v[168:169]
	v_fma_f64 v[168:169], v[2:3], v[166:167], -v[6:7]
	v_fmac_f64_e32 v[170:171], v[4:5], v[166:167]
	scratch_store_dwordx4 off, v[168:171], off offset:800
.LBB51_807:
	s_or_b64 exec, exec, s[6:7]
	scratch_load_dwordx4 v[2:5], v1, off
	v_cmp_ne_u32_e32 vcc, 51, v0
                                        ; implicit-def: $vgpr6_vgpr7
                                        ; implicit-def: $vgpr165
	s_waitcnt vmcnt(0)
	ds_write_b128 v9, v[2:5]
	s_waitcnt lgkmcnt(0)
	; wave barrier
	s_waitcnt lgkmcnt(0)
	s_and_saveexec_b64 s[6:7], vcc
	s_cbranch_execz .LBB51_815
; %bb.808:
	ds_read_b128 v[2:5], v9
	s_and_b64 vcc, exec, s[0:1]
	s_cbranch_vccnz .LBB51_810
; %bb.809:
	scratch_load_dwordx4 v[6:9], v8, off
	s_waitcnt vmcnt(0) lgkmcnt(0)
	v_mul_f64 v[118:119], v[4:5], v[8:9]
	v_mul_f64 v[8:9], v[2:3], v[8:9]
	v_fmac_f64_e32 v[8:9], v[4:5], v[6:7]
	v_fma_f64 v[2:3], v[2:3], v[6:7], -v[118:119]
	v_mov_b64_e32 v[4:5], v[8:9]
.LBB51_810:
	s_and_saveexec_b64 s[0:1], s[2:3]
	s_cbranch_execz .LBB51_814
; %bb.811:
	v_mov_b32_e32 v7, 0
	v_add_u32_e32 v6, 0x350, v116
	v_add3_u32 v7, v116, v7, 24
	s_mov_b64 s[2:3], 0
.LBB51_812:                             ; =>This Inner Loop Header: Depth=1
	v_add_u32_e32 v8, -8, v7
	scratch_load_dwordx4 v[166:169], v8, off
	ds_read_b128 v[170:173], v6
	v_add_u32_e32 v0, 1, v0
	v_cmp_lt_u32_e32 vcc, 49, v0
	v_add_u32_e32 v6, 16, v6
	v_add_u32_e32 v7, 16, v7
	s_or_b64 s[2:3], vcc, s[2:3]
	s_waitcnt vmcnt(0) lgkmcnt(0)
	v_mul_f64 v[8:9], v[172:173], v[168:169]
	v_mul_f64 v[116:117], v[170:171], v[168:169]
	v_fma_f64 v[8:9], v[170:171], v[166:167], -v[8:9]
	v_fmac_f64_e32 v[116:117], v[172:173], v[166:167]
	v_add_f64 v[2:3], v[2:3], v[8:9]
	v_add_f64 v[4:5], v[4:5], v[116:117]
	s_andn2_b64 exec, exec, s[2:3]
	s_cbranch_execnz .LBB51_812
; %bb.813:
	s_or_b64 exec, exec, s[2:3]
.LBB51_814:
	s_or_b64 exec, exec, s[0:1]
	v_mov_b32_e32 v0, 0
	ds_read_b128 v[166:169], v0 offset:816
	v_mov_b32_e32 v0, 0
	v_add_u32_e32 v165, 0x338, v0
	s_or_b64 s[4:5], s[4:5], exec
	s_waitcnt lgkmcnt(0)
	v_mul_f64 v[8:9], v[4:5], v[168:169]
	v_mul_f64 v[6:7], v[2:3], v[168:169]
	v_fma_f64 v[2:3], v[2:3], v[166:167], -v[8:9]
	v_fmac_f64_e32 v[6:7], v[4:5], v[166:167]
	scratch_store_dwordx2 off, v[2:3], off offset:816
.LBB51_815:
	s_or_b64 exec, exec, s[6:7]
.LBB51_816:
	v_accvgpr_write_b32 a1, v176
	v_accvgpr_write_b32 a0, v175
	v_mov_b32_e32 v0, v174
	s_and_saveexec_b64 s[0:1], s[4:5]
	s_cbranch_execz .LBB51_818
; %bb.817:
	scratch_store_dwordx2 v165, v[6:7], off
.LBB51_818:
	s_or_b64 exec, exec, s[0:1]
	scratch_load_dwordx4 v[2:5], off, off
	scratch_load_dwordx4 v[6:9], v164, off
	s_nop 0
	scratch_load_dwordx4 v[164:167], v163, off
	scratch_load_dwordx4 v[168:171], v162, off
	scratch_load_dwordx4 v[172:175], v161, off
	s_nop 0
	scratch_load_dwordx4 v[160:163], v160, off
	s_nop 0
	scratch_load_dwordx4 v[176:179], v159, off
	scratch_load_dwordx4 v[180:183], v158, off
	scratch_load_dwordx4 v[184:187], v157, off
	s_nop 0
	;; [unrolled: 6-line block ×7, first 2 shown]
	scratch_load_dwordx4 v[136:139], v136, off
	s_nop 0
	scratch_load_dwordx4 v[248:251], v135, off
	scratch_load_dwordx4 v[252:255], v134, off
	s_waitcnt vmcnt(31)
	global_store_dwordx4 v[40:41], v[2:5], off
	scratch_load_dwordx4 v[2:5], v133, off
	s_nop 0
	scratch_load_dwordx4 v[132:135], v132, off
	s_waitcnt vmcnt(33)
	global_store_dwordx4 v[38:39], v[6:9], off
	scratch_load_dwordx4 v[6:9], v131, off
	s_nop 0
	scratch_load_dwordx4 v[38:41], v130, off
	s_waitcnt vmcnt(35)
	global_store_dwordx4 v[24:25], v[164:167], off
	scratch_load_dwordx4 v[164:167], v129, off
	s_nop 0
	scratch_load_dwordx4 v[128:131], v128, off
	s_waitcnt vmcnt(37)
	global_store_dwordx4 v[32:33], v[168:171], off
	scratch_load_dwordx4 v[168:171], v127, off
	s_nop 0
	scratch_load_dwordx4 v[116:119], v126, off
	s_waitcnt vmcnt(39)
	global_store_dwordx4 v[26:27], v[172:175], off
	scratch_load_dwordx4 v[24:27], v125, off
	s_nop 0
	scratch_load_dwordx4 v[124:127], v124, off
	s_waitcnt vmcnt(41)
	global_store_dwordx4 v[30:31], v[160:163], off
	scratch_load_dwordx4 v[30:33], v123, off
	s_nop 0
	scratch_load_dwordx4 v[160:163], v122, off
	s_waitcnt vmcnt(43)
	global_store_dwordx4 v[18:19], v[176:179], off
	scratch_load_dwordx4 v[172:175], v121, off
	s_nop 0
	scratch_load_dwordx4 v[120:123], v120, off
	v_accvgpr_read_b32 v18, a1
	s_waitcnt vmcnt(45)
	global_store_dwordx4 v[20:21], v[180:183], off
	scratch_load_dwordx4 v[18:21], v18, off
	s_nop 0
	scratch_load_dwordx4 v[176:179], v11, off
	scratch_load_dwordx4 v[180:183], v10, off
	v_accvgpr_read_b32 v10, a0
	s_waitcnt vmcnt(48)
	global_store_dwordx4 v[14:15], v[184:187], off
	s_waitcnt vmcnt(48)
	global_store_dwordx4 v[16:17], v[156:159], off
	scratch_load_dwordx4 v[184:187], v10, off
	s_nop 0
	scratch_load_dwordx4 v[14:17], v0, off
	scratch_load_dwordx4 v[156:159], v1, off
	s_waitcnt vmcnt(51)
	global_store_dwordx4 v[12:13], v[188:191], off
	s_waitcnt vmcnt(51)
	global_store_dwordx4 v[22:23], v[192:195], off
	;; [unrolled: 2-line block ×42, first 2 shown]
.LBB51_819:
	s_endpgm
	.section	.rodata,"a",@progbits
	.p2align	6, 0x0
	.amdhsa_kernel _ZN9rocsolver6v33100L18trti2_kernel_smallILi52E19rocblas_complex_numIdEPS3_EEv13rocblas_fill_17rocblas_diagonal_T1_iil
		.amdhsa_group_segment_fixed_size 1664
		.amdhsa_private_segment_fixed_size 848
		.amdhsa_kernarg_size 32
		.amdhsa_user_sgpr_count 2
		.amdhsa_user_sgpr_dispatch_ptr 0
		.amdhsa_user_sgpr_queue_ptr 0
		.amdhsa_user_sgpr_kernarg_segment_ptr 1
		.amdhsa_user_sgpr_dispatch_id 0
		.amdhsa_user_sgpr_kernarg_preload_length 0
		.amdhsa_user_sgpr_kernarg_preload_offset 0
		.amdhsa_user_sgpr_private_segment_size 0
		.amdhsa_uses_dynamic_stack 0
		.amdhsa_enable_private_segment 1
		.amdhsa_system_sgpr_workgroup_id_x 1
		.amdhsa_system_sgpr_workgroup_id_y 0
		.amdhsa_system_sgpr_workgroup_id_z 0
		.amdhsa_system_sgpr_workgroup_info 0
		.amdhsa_system_vgpr_workitem_id 0
		.amdhsa_next_free_vgpr 258
		.amdhsa_next_free_sgpr 12
		.amdhsa_accum_offset 256
		.amdhsa_reserve_vcc 1
		.amdhsa_float_round_mode_32 0
		.amdhsa_float_round_mode_16_64 0
		.amdhsa_float_denorm_mode_32 3
		.amdhsa_float_denorm_mode_16_64 3
		.amdhsa_dx10_clamp 1
		.amdhsa_ieee_mode 1
		.amdhsa_fp16_overflow 0
		.amdhsa_tg_split 0
		.amdhsa_exception_fp_ieee_invalid_op 0
		.amdhsa_exception_fp_denorm_src 0
		.amdhsa_exception_fp_ieee_div_zero 0
		.amdhsa_exception_fp_ieee_overflow 0
		.amdhsa_exception_fp_ieee_underflow 0
		.amdhsa_exception_fp_ieee_inexact 0
		.amdhsa_exception_int_div_zero 0
	.end_amdhsa_kernel
	.section	.text._ZN9rocsolver6v33100L18trti2_kernel_smallILi52E19rocblas_complex_numIdEPS3_EEv13rocblas_fill_17rocblas_diagonal_T1_iil,"axG",@progbits,_ZN9rocsolver6v33100L18trti2_kernel_smallILi52E19rocblas_complex_numIdEPS3_EEv13rocblas_fill_17rocblas_diagonal_T1_iil,comdat
.Lfunc_end51:
	.size	_ZN9rocsolver6v33100L18trti2_kernel_smallILi52E19rocblas_complex_numIdEPS3_EEv13rocblas_fill_17rocblas_diagonal_T1_iil, .Lfunc_end51-_ZN9rocsolver6v33100L18trti2_kernel_smallILi52E19rocblas_complex_numIdEPS3_EEv13rocblas_fill_17rocblas_diagonal_T1_iil
                                        ; -- End function
	.section	.AMDGPU.csdata,"",@progbits
; Kernel info:
; codeLenInByte = 34360
; NumSgprs: 18
; NumVgprs: 256
; NumAgprs: 2
; TotalNumVgprs: 258
; ScratchSize: 848
; MemoryBound: 0
; FloatMode: 240
; IeeeMode: 1
; LDSByteSize: 1664 bytes/workgroup (compile time only)
; SGPRBlocks: 2
; VGPRBlocks: 32
; NumSGPRsForWavesPerEU: 18
; NumVGPRsForWavesPerEU: 258
; AccumOffset: 256
; Occupancy: 1
; WaveLimiterHint : 0
; COMPUTE_PGM_RSRC2:SCRATCH_EN: 1
; COMPUTE_PGM_RSRC2:USER_SGPR: 2
; COMPUTE_PGM_RSRC2:TRAP_HANDLER: 0
; COMPUTE_PGM_RSRC2:TGID_X_EN: 1
; COMPUTE_PGM_RSRC2:TGID_Y_EN: 0
; COMPUTE_PGM_RSRC2:TGID_Z_EN: 0
; COMPUTE_PGM_RSRC2:TIDIG_COMP_CNT: 0
; COMPUTE_PGM_RSRC3_GFX90A:ACCUM_OFFSET: 63
; COMPUTE_PGM_RSRC3_GFX90A:TG_SPLIT: 0
	.section	.text._ZN9rocsolver6v33100L18trti2_kernel_smallILi53E19rocblas_complex_numIdEPS3_EEv13rocblas_fill_17rocblas_diagonal_T1_iil,"axG",@progbits,_ZN9rocsolver6v33100L18trti2_kernel_smallILi53E19rocblas_complex_numIdEPS3_EEv13rocblas_fill_17rocblas_diagonal_T1_iil,comdat
	.globl	_ZN9rocsolver6v33100L18trti2_kernel_smallILi53E19rocblas_complex_numIdEPS3_EEv13rocblas_fill_17rocblas_diagonal_T1_iil ; -- Begin function _ZN9rocsolver6v33100L18trti2_kernel_smallILi53E19rocblas_complex_numIdEPS3_EEv13rocblas_fill_17rocblas_diagonal_T1_iil
	.p2align	8
	.type	_ZN9rocsolver6v33100L18trti2_kernel_smallILi53E19rocblas_complex_numIdEPS3_EEv13rocblas_fill_17rocblas_diagonal_T1_iil,@function
_ZN9rocsolver6v33100L18trti2_kernel_smallILi53E19rocblas_complex_numIdEPS3_EEv13rocblas_fill_17rocblas_diagonal_T1_iil: ; @_ZN9rocsolver6v33100L18trti2_kernel_smallILi53E19rocblas_complex_numIdEPS3_EEv13rocblas_fill_17rocblas_diagonal_T1_iil
; %bb.0:
	v_cmp_gt_u32_e32 vcc, 53, v0
	s_and_saveexec_b64 s[4:5], vcc
	s_cbranch_execz .LBB52_835
; %bb.1:
	s_load_dwordx8 s[4:11], s[0:1], 0x0
	s_ashr_i32 s3, s2, 31
	v_lshlrev_b32_e32 v68, 4, v0
	v_mov_b32_e32 v69, 0
	v_mov_b32_e32 v1, 0
	s_waitcnt lgkmcnt(0)
	s_ashr_i32 s1, s8, 31
	s_mov_b32 s0, s8
	s_mul_i32 s8, s2, s11
	s_mul_hi_u32 s11, s2, s10
	s_add_i32 s8, s11, s8
	s_mul_i32 s3, s3, s10
	s_add_i32 s3, s8, s3
	s_mul_i32 s2, s2, s10
	s_lshl_b64 s[2:3], s[2:3], 4
	s_add_u32 s2, s6, s2
	s_addc_u32 s3, s7, s3
	s_lshl_b64 s[0:1], s[0:1], 4
	s_add_u32 s0, s2, s0
	s_addc_u32 s1, s3, s1
	v_lshl_add_u64 v[14:15], s[0:1], 0, v[68:69]
	s_ashr_i32 s3, s9, 31
	s_mov_b32 s2, s9
	v_lshl_add_u64 v[16:17], s[2:3], 4, v[14:15]
	s_add_i32 s2, s9, s9
	v_add_u32_e32 v2, s2, v0
	v_ashrrev_i32_e32 v3, 31, v2
	v_lshl_add_u64 v[18:19], v[2:3], 4, s[0:1]
	v_add_u32_e32 v2, s9, v2
	v_ashrrev_i32_e32 v3, 31, v2
	v_lshl_add_u64 v[20:21], v[2:3], 4, s[0:1]
	;; [unrolled: 3-line block ×6, first 2 shown]
	v_add_u32_e32 v2, s9, v2
	v_ashrrev_i32_e32 v3, 31, v2
	v_add_u32_e32 v4, s9, v2
	v_lshl_add_u64 v[30:31], v[2:3], 4, s[0:1]
	v_ashrrev_i32_e32 v5, 31, v4
	v_add_u32_e32 v2, s9, v4
	v_lshl_add_u64 v[32:33], v[4:5], 4, s[0:1]
	;; [unrolled: 3-line block ×8, first 2 shown]
	v_ashrrev_i32_e32 v3, 31, v2
	global_load_dwordx4 v[6:9], v68, s[0:1]
	global_load_dwordx4 v[10:13], v[16:17], off
	global_load_dwordx4 v[52:55], v[18:19], off
	;; [unrolled: 1-line block ×14, first 2 shown]
	v_lshl_add_u64 v[46:47], v[2:3], 4, s[0:1]
	global_load_dwordx4 v[106:109], v[44:45], off
	global_load_dwordx4 v[110:113], v[46:47], off
	v_add_u32_e32 v4, s9, v2
	v_ashrrev_i32_e32 v5, 31, v4
	v_lshl_add_u64 v[48:49], v[4:5], 4, s[0:1]
	global_load_dwordx4 v[114:117], v[48:49], off
	v_add_u32_e32 v2, s9, v4
	v_ashrrev_i32_e32 v3, 31, v2
	v_add_u32_e32 v36, s9, v2
	v_lshl_add_u64 v[50:51], v[2:3], 4, s[0:1]
	global_load_dwordx4 v[2:5], v[50:51], off
	v_ashrrev_i32_e32 v37, 31, v36
	s_cmpk_lg_i32 s5, 0x84
	s_cselect_b64 s[6:7], -1, 0
	s_cmpk_eq_i32 s5, 0x84
	s_waitcnt vmcnt(18)
	scratch_store_dwordx4 off, v[6:9], off
	s_waitcnt vmcnt(18)
	scratch_store_dwordx4 off, v[10:13], off offset:16
	s_waitcnt vmcnt(18)
	scratch_store_dwordx4 off, v[52:55], off offset:32
	;; [unrolled: 2-line block ×17, first 2 shown]
	v_lshl_add_u64 v[52:53], v[36:37], 4, s[0:1]
	v_add_u32_e32 v36, s9, v36
	v_ashrrev_i32_e32 v37, 31, v36
	v_lshl_add_u64 v[54:55], v[36:37], 4, s[0:1]
	v_add_u32_e32 v36, s9, v36
	v_ashrrev_i32_e32 v37, 31, v36
	;; [unrolled: 3-line block ×33, first 2 shown]
	global_load_dwordx4 v[6:9], v[52:53], off
	global_load_dwordx4 v[10:13], v[54:55], off
	;; [unrolled: 1-line block ×32, first 2 shown]
	v_lshl_add_u64 v[120:121], v[36:37], 4, s[0:1]
	global_load_dwordx4 v[242:245], v[118:119], off
	global_load_dwordx4 v[246:249], v[120:121], off
	s_waitcnt vmcnt(52)
	scratch_store_dwordx4 off, v[2:5], off offset:288
	s_waitcnt vmcnt(34)
	scratch_store_dwordx4 off, v[6:9], off offset:304
	;; [unrolled: 2-line block ×35, first 2 shown]
	s_cbranch_scc1 .LBB52_7
; %bb.2:
	scratch_load_dwordx4 v[8:11], v68, off
                                        ; implicit-def: $vgpr6_vgpr7
	s_waitcnt vmcnt(0)
	v_xor_b32_e32 v3, 0x80000000, v9
	v_cmp_gt_f64_e32 vcc, 0, v[8:9]
	v_xor_b32_e32 v4, 0x80000000, v11
	v_mov_b32_e32 v2, v8
	v_cndmask_b32_e32 v3, v9, v3, vcc
	v_cmp_gt_f64_e32 vcc, 0, v[10:11]
	s_nop 1
	v_cndmask_b32_e32 v5, v11, v4, vcc
	v_mov_b32_e32 v4, v10
	v_cmp_ngt_f64_e32 vcc, v[2:3], v[4:5]
                                        ; implicit-def: $vgpr2_vgpr3
	s_and_saveexec_b64 s[0:1], vcc
	s_xor_b64 s[0:1], exec, s[0:1]
	s_cbranch_execz .LBB52_4
; %bb.3:
	v_div_scale_f64 v[2:3], s[2:3], v[10:11], v[10:11], v[8:9]
	v_rcp_f64_e32 v[4:5], v[2:3]
	v_div_scale_f64 v[6:7], vcc, v[8:9], v[10:11], v[8:9]
	v_fma_f64 v[12:13], -v[2:3], v[4:5], 1.0
	v_fmac_f64_e32 v[4:5], v[4:5], v[12:13]
	v_fma_f64 v[12:13], -v[2:3], v[4:5], 1.0
	v_fmac_f64_e32 v[4:5], v[4:5], v[12:13]
	v_mul_f64 v[12:13], v[6:7], v[4:5]
	v_fma_f64 v[2:3], -v[2:3], v[12:13], v[6:7]
	v_div_fmas_f64 v[2:3], v[2:3], v[4:5], v[12:13]
	v_div_fixup_f64 v[2:3], v[2:3], v[10:11], v[8:9]
	v_fmac_f64_e32 v[10:11], v[8:9], v[2:3]
	v_div_scale_f64 v[4:5], s[2:3], v[10:11], v[10:11], 1.0
	v_rcp_f64_e32 v[6:7], v[4:5]
	s_nop 0
	v_fma_f64 v[8:9], -v[4:5], v[6:7], 1.0
	v_fmac_f64_e32 v[6:7], v[6:7], v[8:9]
	v_fma_f64 v[8:9], -v[4:5], v[6:7], 1.0
	v_fmac_f64_e32 v[6:7], v[6:7], v[8:9]
	v_div_scale_f64 v[8:9], vcc, 1.0, v[10:11], 1.0
	v_mul_f64 v[12:13], v[8:9], v[6:7]
	v_fma_f64 v[4:5], -v[4:5], v[12:13], v[8:9]
                                        ; implicit-def: $vgpr8_vgpr9
	s_nop 1
	v_div_fmas_f64 v[4:5], v[4:5], v[6:7], v[12:13]
	v_div_fixup_f64 v[4:5], v[4:5], v[10:11], 1.0
	v_mul_f64 v[2:3], v[2:3], v[4:5]
	v_xor_b32_e32 v5, 0x80000000, v5
	v_xor_b32_e32 v7, 0x80000000, v3
	v_mov_b32_e32 v6, v2
.LBB52_4:
	s_or_saveexec_b64 s[0:1], s[0:1]
	v_add_u32_e32 v12, 0, v68
	s_xor_b64 exec, exec, s[0:1]
	s_cbranch_execz .LBB52_6
; %bb.5:
	v_div_scale_f64 v[2:3], s[2:3], v[8:9], v[8:9], v[10:11]
	v_rcp_f64_e32 v[4:5], v[2:3]
	v_div_scale_f64 v[6:7], vcc, v[10:11], v[8:9], v[10:11]
	v_fma_f64 v[36:37], -v[2:3], v[4:5], 1.0
	v_fmac_f64_e32 v[4:5], v[4:5], v[36:37]
	v_fma_f64 v[36:37], -v[2:3], v[4:5], 1.0
	v_fmac_f64_e32 v[4:5], v[4:5], v[36:37]
	v_mul_f64 v[36:37], v[6:7], v[4:5]
	v_fma_f64 v[2:3], -v[2:3], v[36:37], v[6:7]
	v_div_fmas_f64 v[2:3], v[2:3], v[4:5], v[36:37]
	v_div_fixup_f64 v[4:5], v[2:3], v[8:9], v[10:11]
	v_fmac_f64_e32 v[8:9], v[10:11], v[4:5]
	v_div_scale_f64 v[2:3], s[2:3], v[8:9], v[8:9], 1.0
	v_rcp_f64_e32 v[6:7], v[2:3]
	s_nop 0
	v_fma_f64 v[10:11], -v[2:3], v[6:7], 1.0
	v_fmac_f64_e32 v[6:7], v[6:7], v[10:11]
	v_fma_f64 v[10:11], -v[2:3], v[6:7], 1.0
	v_fmac_f64_e32 v[6:7], v[6:7], v[10:11]
	v_div_scale_f64 v[10:11], vcc, 1.0, v[8:9], 1.0
	v_mul_f64 v[36:37], v[10:11], v[6:7]
	v_fma_f64 v[2:3], -v[2:3], v[36:37], v[10:11]
	s_nop 1
	v_div_fmas_f64 v[2:3], v[2:3], v[6:7], v[36:37]
	v_div_fixup_f64 v[2:3], v[2:3], v[8:9], 1.0
	v_xor_b32_e32 v7, 0x80000000, v3
	v_mov_b32_e32 v6, v2
	v_mul_f64 v[4:5], v[4:5], -v[2:3]
.LBB52_6:
	s_or_b64 exec, exec, s[0:1]
	scratch_store_dwordx4 v12, v[2:5], off
	s_nop 1
	v_xor_b32_e32 v5, 0x80000000, v5
	s_branch .LBB52_8
.LBB52_7:
	v_mov_b64_e32 v[4:5], 0
	v_mov_b64_e32 v[6:7], -1.0
.LBB52_8:
	v_mov_b32_e32 v8, v4
	v_mov_b32_e32 v9, v5
	v_add_u32_e32 v167, 16, v1
	v_add_u32_e32 v166, 32, v1
	;; [unrolled: 1-line block ×52, first 2 shown]
	ds_write_b128 v68, v[6:9]
	s_cmpk_eq_i32 s4, 0x79
	v_add_u32_e32 v9, 0x350, v68
	v_add_u32_e32 v8, 0, v68
	s_cbranch_scc1 .LBB52_420
; %bb.9:
	scratch_load_dwordx4 v[2:5], v36, off
	v_cmp_eq_u32_e64 s[0:1], 52, v0
	s_waitcnt vmcnt(0)
	ds_write_b128 v9, v[2:5]
	s_waitcnt lgkmcnt(0)
	; wave barrier
	s_waitcnt lgkmcnt(0)
	s_and_saveexec_b64 s[2:3], s[0:1]
	s_cbranch_execz .LBB52_13
; %bb.10:
	ds_read_b128 v[2:5], v9
	s_andn2_b64 vcc, exec, s[6:7]
	s_cbranch_vccnz .LBB52_12
; %bb.11:
	scratch_load_dwordx4 v[168:171], v8, off
	s_waitcnt vmcnt(0) lgkmcnt(0)
	v_mul_f64 v[10:11], v[2:3], v[170:171]
	v_mul_f64 v[6:7], v[4:5], v[170:171]
	v_fmac_f64_e32 v[10:11], v[4:5], v[168:169]
	v_fma_f64 v[2:3], v[2:3], v[168:169], -v[6:7]
	v_mov_b64_e32 v[4:5], v[10:11]
.LBB52_12:
	v_mov_b32_e32 v6, 0
	ds_read_b128 v[168:171], v6 offset:816
	s_waitcnt lgkmcnt(0)
	v_mul_f64 v[6:7], v[4:5], v[170:171]
	v_mul_f64 v[172:173], v[2:3], v[170:171]
	v_fma_f64 v[170:171], v[2:3], v[168:169], -v[6:7]
	v_fmac_f64_e32 v[172:173], v[4:5], v[168:169]
	scratch_store_dwordx4 off, v[170:173], off offset:816
.LBB52_13:
	s_or_b64 exec, exec, s[2:3]
	scratch_load_dwordx4 v[2:5], v37, off
	v_cmp_lt_u32_e64 s[2:3], 50, v0
	s_waitcnt vmcnt(0)
	ds_write_b128 v9, v[2:5]
	s_waitcnt lgkmcnt(0)
	; wave barrier
	s_waitcnt lgkmcnt(0)
	s_and_saveexec_b64 s[4:5], s[2:3]
	s_cbranch_execz .LBB52_19
; %bb.14:
	ds_read_b128 v[2:5], v9
	s_andn2_b64 vcc, exec, s[6:7]
	s_cbranch_vccnz .LBB52_16
; %bb.15:
	scratch_load_dwordx4 v[168:171], v8, off
	s_waitcnt vmcnt(0) lgkmcnt(0)
	v_mul_f64 v[10:11], v[2:3], v[170:171]
	v_mul_f64 v[6:7], v[4:5], v[170:171]
	v_fmac_f64_e32 v[10:11], v[4:5], v[168:169]
	v_fma_f64 v[2:3], v[2:3], v[168:169], -v[6:7]
	v_mov_b64_e32 v[4:5], v[10:11]
.LBB52_16:
	s_and_saveexec_b64 s[8:9], s[0:1]
	s_cbranch_execz .LBB52_18
; %bb.17:
	scratch_load_dwordx4 v[168:171], off, off offset:816
	v_mov_b32_e32 v6, 0
	ds_read_b128 v[172:175], v6 offset:1664
	s_waitcnt vmcnt(0) lgkmcnt(0)
	v_mul_f64 v[6:7], v[172:173], v[170:171]
	v_mul_f64 v[10:11], v[174:175], v[170:171]
	v_fmac_f64_e32 v[6:7], v[174:175], v[168:169]
	v_fma_f64 v[10:11], v[172:173], v[168:169], -v[10:11]
	v_add_f64 v[4:5], v[4:5], v[6:7]
	v_add_f64 v[2:3], v[2:3], v[10:11]
.LBB52_18:
	s_or_b64 exec, exec, s[8:9]
	v_mov_b32_e32 v6, 0
	ds_read_b128 v[168:171], v6 offset:800
	s_waitcnt lgkmcnt(0)
	v_mul_f64 v[6:7], v[4:5], v[170:171]
	v_mul_f64 v[172:173], v[2:3], v[170:171]
	v_fma_f64 v[170:171], v[2:3], v[168:169], -v[6:7]
	v_fmac_f64_e32 v[172:173], v[4:5], v[168:169]
	scratch_store_dwordx4 off, v[170:173], off offset:800
.LBB52_19:
	s_or_b64 exec, exec, s[4:5]
	scratch_load_dwordx4 v[2:5], v178, off
	v_cmp_lt_u32_e64 s[0:1], 49, v0
	s_waitcnt vmcnt(0)
	ds_write_b128 v9, v[2:5]
	s_waitcnt lgkmcnt(0)
	; wave barrier
	s_waitcnt lgkmcnt(0)
	s_and_saveexec_b64 s[4:5], s[0:1]
	s_cbranch_execz .LBB52_27
; %bb.20:
	ds_read_b128 v[2:5], v9
	s_andn2_b64 vcc, exec, s[6:7]
	s_cbranch_vccnz .LBB52_22
; %bb.21:
	scratch_load_dwordx4 v[168:171], v8, off
	s_waitcnt vmcnt(0) lgkmcnt(0)
	v_mul_f64 v[10:11], v[2:3], v[170:171]
	v_mul_f64 v[6:7], v[4:5], v[170:171]
	v_fmac_f64_e32 v[10:11], v[4:5], v[168:169]
	v_fma_f64 v[2:3], v[2:3], v[168:169], -v[6:7]
	v_mov_b64_e32 v[4:5], v[10:11]
.LBB52_22:
	s_and_saveexec_b64 s[8:9], s[2:3]
	s_cbranch_execz .LBB52_26
; %bb.23:
	v_mov_b32_e32 v7, 0
	v_subrev_u32_e32 v6, 50, v0
	v_add_u32_e32 v7, 0x328, v7
	s_movk_i32 s10, 0x670
	s_mov_b64 s[2:3], 0
.LBB52_24:                              ; =>This Inner Loop Header: Depth=1
	v_add_u32_e32 v10, -8, v7
	scratch_load_dwordx4 v[168:171], v10, off
	v_mov_b32_e32 v10, s10
	ds_read_b128 v[172:175], v10
	v_add_u32_e32 v6, -1, v6
	s_add_i32 s10, s10, 16
	v_cmp_eq_u32_e32 vcc, 0, v6
	v_add_u32_e32 v7, 16, v7
	s_or_b64 s[2:3], vcc, s[2:3]
	s_waitcnt vmcnt(0) lgkmcnt(0)
	v_mul_f64 v[10:11], v[174:175], v[170:171]
	v_mul_f64 v[12:13], v[172:173], v[170:171]
	v_fma_f64 v[10:11], v[172:173], v[168:169], -v[10:11]
	v_fmac_f64_e32 v[12:13], v[174:175], v[168:169]
	v_add_f64 v[2:3], v[2:3], v[10:11]
	v_add_f64 v[4:5], v[4:5], v[12:13]
	s_andn2_b64 exec, exec, s[2:3]
	s_cbranch_execnz .LBB52_24
; %bb.25:
	s_or_b64 exec, exec, s[2:3]
.LBB52_26:
	s_or_b64 exec, exec, s[8:9]
	v_mov_b32_e32 v6, 0
	ds_read_b128 v[168:171], v6 offset:784
	s_waitcnt lgkmcnt(0)
	v_mul_f64 v[6:7], v[4:5], v[170:171]
	v_mul_f64 v[172:173], v[2:3], v[170:171]
	v_fma_f64 v[170:171], v[2:3], v[168:169], -v[6:7]
	v_fmac_f64_e32 v[172:173], v[4:5], v[168:169]
	scratch_store_dwordx4 off, v[170:173], off offset:784
.LBB52_27:
	s_or_b64 exec, exec, s[4:5]
	scratch_load_dwordx4 v[2:5], v179, off
	v_cmp_lt_u32_e64 s[2:3], 48, v0
	s_waitcnt vmcnt(0)
	ds_write_b128 v9, v[2:5]
	s_waitcnt lgkmcnt(0)
	; wave barrier
	s_waitcnt lgkmcnt(0)
	s_and_saveexec_b64 s[4:5], s[2:3]
	s_cbranch_execz .LBB52_35
; %bb.28:
	ds_read_b128 v[2:5], v9
	s_andn2_b64 vcc, exec, s[6:7]
	s_cbranch_vccnz .LBB52_30
; %bb.29:
	scratch_load_dwordx4 v[168:171], v8, off
	s_waitcnt vmcnt(0) lgkmcnt(0)
	v_mul_f64 v[10:11], v[2:3], v[170:171]
	v_mul_f64 v[6:7], v[4:5], v[170:171]
	v_fmac_f64_e32 v[10:11], v[4:5], v[168:169]
	v_fma_f64 v[2:3], v[2:3], v[168:169], -v[6:7]
	v_mov_b64_e32 v[4:5], v[10:11]
.LBB52_30:
	s_and_saveexec_b64 s[8:9], s[0:1]
	s_cbranch_execz .LBB52_34
; %bb.31:
	v_mov_b32_e32 v7, 0
	v_subrev_u32_e32 v6, 49, v0
	v_add_u32_e32 v7, 0x318, v7
	s_movk_i32 s10, 0x660
	s_mov_b64 s[0:1], 0
.LBB52_32:                              ; =>This Inner Loop Header: Depth=1
	v_add_u32_e32 v10, -8, v7
	scratch_load_dwordx4 v[168:171], v10, off
	v_mov_b32_e32 v10, s10
	ds_read_b128 v[172:175], v10
	v_add_u32_e32 v6, -1, v6
	s_add_i32 s10, s10, 16
	v_cmp_eq_u32_e32 vcc, 0, v6
	v_add_u32_e32 v7, 16, v7
	s_or_b64 s[0:1], vcc, s[0:1]
	s_waitcnt vmcnt(0) lgkmcnt(0)
	v_mul_f64 v[10:11], v[174:175], v[170:171]
	v_mul_f64 v[12:13], v[172:173], v[170:171]
	v_fma_f64 v[10:11], v[172:173], v[168:169], -v[10:11]
	v_fmac_f64_e32 v[12:13], v[174:175], v[168:169]
	v_add_f64 v[2:3], v[2:3], v[10:11]
	v_add_f64 v[4:5], v[4:5], v[12:13]
	s_andn2_b64 exec, exec, s[0:1]
	s_cbranch_execnz .LBB52_32
; %bb.33:
	s_or_b64 exec, exec, s[0:1]
.LBB52_34:
	s_or_b64 exec, exec, s[8:9]
	v_mov_b32_e32 v6, 0
	ds_read_b128 v[168:171], v6 offset:768
	s_waitcnt lgkmcnt(0)
	v_mul_f64 v[6:7], v[4:5], v[170:171]
	v_mul_f64 v[172:173], v[2:3], v[170:171]
	v_fma_f64 v[170:171], v[2:3], v[168:169], -v[6:7]
	v_fmac_f64_e32 v[172:173], v[4:5], v[168:169]
	scratch_store_dwordx4 off, v[170:173], off offset:768
.LBB52_35:
	;; [unrolled: 63-line block ×10, first 2 shown]
	s_or_b64 exec, exec, s[4:5]
	scratch_load_dwordx4 v[2:5], v129, off
	v_cmp_lt_u32_e64 s[0:1], 39, v0
	s_waitcnt vmcnt(0)
	ds_write_b128 v9, v[2:5]
	s_waitcnt lgkmcnt(0)
	; wave barrier
	s_waitcnt lgkmcnt(0)
	s_and_saveexec_b64 s[4:5], s[0:1]
	s_cbranch_execz .LBB52_107
; %bb.100:
	ds_read_b128 v[2:5], v9
	s_andn2_b64 vcc, exec, s[6:7]
	s_cbranch_vccnz .LBB52_102
; %bb.101:
	scratch_load_dwordx4 v[168:171], v8, off
	s_waitcnt vmcnt(0) lgkmcnt(0)
	v_mul_f64 v[10:11], v[2:3], v[170:171]
	v_mul_f64 v[6:7], v[4:5], v[170:171]
	v_fmac_f64_e32 v[10:11], v[4:5], v[168:169]
	v_fma_f64 v[2:3], v[2:3], v[168:169], -v[6:7]
	v_mov_b64_e32 v[4:5], v[10:11]
.LBB52_102:
	s_and_saveexec_b64 s[8:9], s[2:3]
	s_cbranch_execz .LBB52_106
; %bb.103:
	v_mov_b32_e32 v7, 0
	v_subrev_u32_e32 v6, 40, v0
	v_add_u32_e32 v7, 0x288, v7
	s_movk_i32 s10, 0x5d0
	s_mov_b64 s[2:3], 0
.LBB52_104:                             ; =>This Inner Loop Header: Depth=1
	v_add_u32_e32 v10, -8, v7
	scratch_load_dwordx4 v[168:171], v10, off
	v_mov_b32_e32 v10, s10
	ds_read_b128 v[172:175], v10
	v_add_u32_e32 v6, -1, v6
	s_add_i32 s10, s10, 16
	v_cmp_eq_u32_e32 vcc, 0, v6
	v_add_u32_e32 v7, 16, v7
	s_or_b64 s[2:3], vcc, s[2:3]
	s_waitcnt vmcnt(0) lgkmcnt(0)
	v_mul_f64 v[10:11], v[174:175], v[170:171]
	v_mul_f64 v[12:13], v[172:173], v[170:171]
	v_fma_f64 v[10:11], v[172:173], v[168:169], -v[10:11]
	v_fmac_f64_e32 v[12:13], v[174:175], v[168:169]
	v_add_f64 v[2:3], v[2:3], v[10:11]
	v_add_f64 v[4:5], v[4:5], v[12:13]
	s_andn2_b64 exec, exec, s[2:3]
	s_cbranch_execnz .LBB52_104
; %bb.105:
	s_or_b64 exec, exec, s[2:3]
.LBB52_106:
	s_or_b64 exec, exec, s[8:9]
	v_mov_b32_e32 v6, 0
	ds_read_b128 v[168:171], v6 offset:624
	s_waitcnt lgkmcnt(0)
	v_mul_f64 v[6:7], v[4:5], v[170:171]
	v_mul_f64 v[172:173], v[2:3], v[170:171]
	v_fma_f64 v[170:171], v[2:3], v[168:169], -v[6:7]
	v_fmac_f64_e32 v[172:173], v[4:5], v[168:169]
	scratch_store_dwordx4 off, v[170:173], off offset:624
.LBB52_107:
	s_or_b64 exec, exec, s[4:5]
	scratch_load_dwordx4 v[2:5], v130, off
	v_cmp_lt_u32_e64 s[2:3], 38, v0
	s_waitcnt vmcnt(0)
	ds_write_b128 v9, v[2:5]
	s_waitcnt lgkmcnt(0)
	; wave barrier
	s_waitcnt lgkmcnt(0)
	s_and_saveexec_b64 s[4:5], s[2:3]
	s_cbranch_execz .LBB52_115
; %bb.108:
	ds_read_b128 v[2:5], v9
	s_andn2_b64 vcc, exec, s[6:7]
	s_cbranch_vccnz .LBB52_110
; %bb.109:
	scratch_load_dwordx4 v[168:171], v8, off
	s_waitcnt vmcnt(0) lgkmcnt(0)
	v_mul_f64 v[10:11], v[2:3], v[170:171]
	v_mul_f64 v[6:7], v[4:5], v[170:171]
	v_fmac_f64_e32 v[10:11], v[4:5], v[168:169]
	v_fma_f64 v[2:3], v[2:3], v[168:169], -v[6:7]
	v_mov_b64_e32 v[4:5], v[10:11]
.LBB52_110:
	s_and_saveexec_b64 s[8:9], s[0:1]
	s_cbranch_execz .LBB52_114
; %bb.111:
	v_mov_b32_e32 v7, 0
	v_subrev_u32_e32 v6, 39, v0
	v_add_u32_e32 v7, 0x278, v7
	s_movk_i32 s10, 0x5c0
	s_mov_b64 s[0:1], 0
.LBB52_112:                             ; =>This Inner Loop Header: Depth=1
	v_add_u32_e32 v10, -8, v7
	scratch_load_dwordx4 v[168:171], v10, off
	v_mov_b32_e32 v10, s10
	ds_read_b128 v[172:175], v10
	v_add_u32_e32 v6, -1, v6
	s_add_i32 s10, s10, 16
	v_cmp_eq_u32_e32 vcc, 0, v6
	v_add_u32_e32 v7, 16, v7
	s_or_b64 s[0:1], vcc, s[0:1]
	s_waitcnt vmcnt(0) lgkmcnt(0)
	v_mul_f64 v[10:11], v[174:175], v[170:171]
	v_mul_f64 v[12:13], v[172:173], v[170:171]
	v_fma_f64 v[10:11], v[172:173], v[168:169], -v[10:11]
	v_fmac_f64_e32 v[12:13], v[174:175], v[168:169]
	v_add_f64 v[2:3], v[2:3], v[10:11]
	v_add_f64 v[4:5], v[4:5], v[12:13]
	s_andn2_b64 exec, exec, s[0:1]
	s_cbranch_execnz .LBB52_112
; %bb.113:
	s_or_b64 exec, exec, s[0:1]
.LBB52_114:
	s_or_b64 exec, exec, s[8:9]
	v_mov_b32_e32 v6, 0
	ds_read_b128 v[168:171], v6 offset:608
	s_waitcnt lgkmcnt(0)
	v_mul_f64 v[6:7], v[4:5], v[170:171]
	v_mul_f64 v[172:173], v[2:3], v[170:171]
	v_fma_f64 v[170:171], v[2:3], v[168:169], -v[6:7]
	v_fmac_f64_e32 v[172:173], v[4:5], v[168:169]
	scratch_store_dwordx4 off, v[170:173], off offset:608
.LBB52_115:
	;; [unrolled: 63-line block ×24, first 2 shown]
	s_or_b64 exec, exec, s[4:5]
	scratch_load_dwordx4 v[2:5], v153, off
	v_cmp_lt_u32_e64 s[0:1], 15, v0
	s_waitcnt vmcnt(0)
	ds_write_b128 v9, v[2:5]
	s_waitcnt lgkmcnt(0)
	; wave barrier
	s_waitcnt lgkmcnt(0)
	s_and_saveexec_b64 s[4:5], s[0:1]
	s_cbranch_execz .LBB52_299
; %bb.292:
	ds_read_b128 v[2:5], v9
	s_andn2_b64 vcc, exec, s[6:7]
	s_cbranch_vccnz .LBB52_294
; %bb.293:
	scratch_load_dwordx4 v[168:171], v8, off
	s_waitcnt vmcnt(0) lgkmcnt(0)
	v_mul_f64 v[10:11], v[2:3], v[170:171]
	v_mul_f64 v[6:7], v[4:5], v[170:171]
	v_fmac_f64_e32 v[10:11], v[4:5], v[168:169]
	v_fma_f64 v[2:3], v[2:3], v[168:169], -v[6:7]
	v_mov_b64_e32 v[4:5], v[10:11]
.LBB52_294:
	s_and_saveexec_b64 s[8:9], s[2:3]
	s_cbranch_execz .LBB52_298
; %bb.295:
	v_mov_b32_e32 v7, 0
	v_add_u32_e32 v6, -16, v0
	v_add_u32_e32 v7, 0x108, v7
	s_movk_i32 s10, 0x450
	s_mov_b64 s[2:3], 0
.LBB52_296:                             ; =>This Inner Loop Header: Depth=1
	v_add_u32_e32 v10, -8, v7
	scratch_load_dwordx4 v[168:171], v10, off
	v_mov_b32_e32 v10, s10
	ds_read_b128 v[172:175], v10
	v_add_u32_e32 v6, -1, v6
	s_add_i32 s10, s10, 16
	v_cmp_eq_u32_e32 vcc, 0, v6
	v_add_u32_e32 v7, 16, v7
	s_or_b64 s[2:3], vcc, s[2:3]
	s_waitcnt vmcnt(0) lgkmcnt(0)
	v_mul_f64 v[10:11], v[174:175], v[170:171]
	v_mul_f64 v[12:13], v[172:173], v[170:171]
	v_fma_f64 v[10:11], v[172:173], v[168:169], -v[10:11]
	v_fmac_f64_e32 v[12:13], v[174:175], v[168:169]
	v_add_f64 v[2:3], v[2:3], v[10:11]
	v_add_f64 v[4:5], v[4:5], v[12:13]
	s_andn2_b64 exec, exec, s[2:3]
	s_cbranch_execnz .LBB52_296
; %bb.297:
	s_or_b64 exec, exec, s[2:3]
.LBB52_298:
	s_or_b64 exec, exec, s[8:9]
	v_mov_b32_e32 v6, 0
	ds_read_b128 v[168:171], v6 offset:240
	s_waitcnt lgkmcnt(0)
	v_mul_f64 v[6:7], v[4:5], v[170:171]
	v_mul_f64 v[172:173], v[2:3], v[170:171]
	v_fma_f64 v[170:171], v[2:3], v[168:169], -v[6:7]
	v_fmac_f64_e32 v[172:173], v[4:5], v[168:169]
	scratch_store_dwordx4 off, v[170:173], off offset:240
.LBB52_299:
	s_or_b64 exec, exec, s[4:5]
	scratch_load_dwordx4 v[2:5], v154, off
	v_cmp_lt_u32_e64 s[2:3], 14, v0
	s_waitcnt vmcnt(0)
	ds_write_b128 v9, v[2:5]
	s_waitcnt lgkmcnt(0)
	; wave barrier
	s_waitcnt lgkmcnt(0)
	s_and_saveexec_b64 s[4:5], s[2:3]
	s_cbranch_execz .LBB52_307
; %bb.300:
	ds_read_b128 v[2:5], v9
	s_andn2_b64 vcc, exec, s[6:7]
	s_cbranch_vccnz .LBB52_302
; %bb.301:
	scratch_load_dwordx4 v[168:171], v8, off
	s_waitcnt vmcnt(0) lgkmcnt(0)
	v_mul_f64 v[10:11], v[2:3], v[170:171]
	v_mul_f64 v[6:7], v[4:5], v[170:171]
	v_fmac_f64_e32 v[10:11], v[4:5], v[168:169]
	v_fma_f64 v[2:3], v[2:3], v[168:169], -v[6:7]
	v_mov_b64_e32 v[4:5], v[10:11]
.LBB52_302:
	s_and_saveexec_b64 s[8:9], s[0:1]
	s_cbranch_execz .LBB52_306
; %bb.303:
	v_mov_b32_e32 v7, 0
	v_add_u32_e32 v6, -15, v0
	v_add_u32_e32 v7, 0xf8, v7
	s_movk_i32 s10, 0x440
	s_mov_b64 s[0:1], 0
.LBB52_304:                             ; =>This Inner Loop Header: Depth=1
	v_add_u32_e32 v10, -8, v7
	scratch_load_dwordx4 v[168:171], v10, off
	v_mov_b32_e32 v10, s10
	ds_read_b128 v[172:175], v10
	v_add_u32_e32 v6, -1, v6
	s_add_i32 s10, s10, 16
	v_cmp_eq_u32_e32 vcc, 0, v6
	v_add_u32_e32 v7, 16, v7
	s_or_b64 s[0:1], vcc, s[0:1]
	s_waitcnt vmcnt(0) lgkmcnt(0)
	v_mul_f64 v[10:11], v[174:175], v[170:171]
	v_mul_f64 v[12:13], v[172:173], v[170:171]
	v_fma_f64 v[10:11], v[172:173], v[168:169], -v[10:11]
	v_fmac_f64_e32 v[12:13], v[174:175], v[168:169]
	v_add_f64 v[2:3], v[2:3], v[10:11]
	v_add_f64 v[4:5], v[4:5], v[12:13]
	s_andn2_b64 exec, exec, s[0:1]
	s_cbranch_execnz .LBB52_304
; %bb.305:
	s_or_b64 exec, exec, s[0:1]
.LBB52_306:
	s_or_b64 exec, exec, s[8:9]
	v_mov_b32_e32 v6, 0
	ds_read_b128 v[168:171], v6 offset:224
	s_waitcnt lgkmcnt(0)
	v_mul_f64 v[6:7], v[4:5], v[170:171]
	v_mul_f64 v[172:173], v[2:3], v[170:171]
	v_fma_f64 v[170:171], v[2:3], v[168:169], -v[6:7]
	v_fmac_f64_e32 v[172:173], v[4:5], v[168:169]
	scratch_store_dwordx4 off, v[170:173], off offset:224
.LBB52_307:
	;; [unrolled: 63-line block ×15, first 2 shown]
	s_or_b64 exec, exec, s[4:5]
	scratch_load_dwordx4 v[2:5], off, off
	v_cmp_ne_u32_e32 vcc, 0, v0
	s_mov_b64 s[2:3], 0
	s_mov_b64 s[4:5], 0
                                        ; implicit-def: $vgpr6_vgpr7
                                        ; implicit-def: $vgpr168
	s_waitcnt vmcnt(0)
	ds_write_b128 v9, v[2:5]
	s_waitcnt lgkmcnt(0)
	; wave barrier
	s_waitcnt lgkmcnt(0)
	s_and_saveexec_b64 s[8:9], vcc
	s_cbranch_execz .LBB52_419
; %bb.412:
	ds_read_b128 v[2:5], v9
	s_andn2_b64 vcc, exec, s[6:7]
	s_cbranch_vccnz .LBB52_414
; %bb.413:
	scratch_load_dwordx4 v[168:171], v8, off
	s_waitcnt vmcnt(0) lgkmcnt(0)
	v_mul_f64 v[10:11], v[2:3], v[170:171]
	v_mul_f64 v[6:7], v[4:5], v[170:171]
	v_fmac_f64_e32 v[10:11], v[4:5], v[168:169]
	v_fma_f64 v[2:3], v[2:3], v[168:169], -v[6:7]
	v_mov_b64_e32 v[4:5], v[10:11]
.LBB52_414:
	s_and_saveexec_b64 s[4:5], s[0:1]
	s_cbranch_execz .LBB52_418
; %bb.415:
	v_mov_b32_e32 v7, 0
	v_add_u32_e32 v6, -1, v0
	v_add_u32_e32 v7, 24, v7
	s_movk_i32 s10, 0x360
	s_mov_b64 s[0:1], 0
.LBB52_416:                             ; =>This Inner Loop Header: Depth=1
	v_add_u32_e32 v10, -8, v7
	scratch_load_dwordx4 v[168:171], v10, off
	v_mov_b32_e32 v10, s10
	ds_read_b128 v[172:175], v10
	v_add_u32_e32 v6, -1, v6
	s_add_i32 s10, s10, 16
	v_cmp_eq_u32_e32 vcc, 0, v6
	v_add_u32_e32 v7, 16, v7
	s_or_b64 s[0:1], vcc, s[0:1]
	s_waitcnt vmcnt(0) lgkmcnt(0)
	v_mul_f64 v[10:11], v[174:175], v[170:171]
	v_mul_f64 v[12:13], v[172:173], v[170:171]
	v_fma_f64 v[10:11], v[172:173], v[168:169], -v[10:11]
	v_fmac_f64_e32 v[12:13], v[174:175], v[168:169]
	v_add_f64 v[2:3], v[2:3], v[10:11]
	v_add_f64 v[4:5], v[4:5], v[12:13]
	s_andn2_b64 exec, exec, s[0:1]
	s_cbranch_execnz .LBB52_416
; %bb.417:
	s_or_b64 exec, exec, s[0:1]
.LBB52_418:
	s_or_b64 exec, exec, s[4:5]
	v_mov_b32_e32 v6, 0
	ds_read_b128 v[170:173], v6
	v_mov_b32_e32 v6, 0
	v_or_b32_e32 v168, 8, v6
	s_mov_b64 s[4:5], exec
	s_waitcnt lgkmcnt(0)
	v_mul_f64 v[10:11], v[4:5], v[172:173]
	v_mul_f64 v[6:7], v[2:3], v[172:173]
	v_fma_f64 v[2:3], v[2:3], v[170:171], -v[10:11]
	v_fmac_f64_e32 v[6:7], v[4:5], v[170:171]
	scratch_store_dwordx2 off, v[2:3], off
.LBB52_419:
	s_or_b64 exec, exec, s[8:9]
	s_and_b64 vcc, exec, s[2:3]
	s_cbranch_vccnz .LBB52_421
	s_branch .LBB52_832
.LBB52_420:
	s_mov_b64 s[4:5], 0
                                        ; implicit-def: $vgpr6_vgpr7
                                        ; implicit-def: $vgpr168
	s_cbranch_execz .LBB52_832
.LBB52_421:
	scratch_load_dwordx4 v[2:5], v167, off
	v_cndmask_b32_e64 v6, 0, 1, s[6:7]
	v_cmp_eq_u32_e64 s[2:3], 0, v0
	v_cmp_ne_u32_e64 s[0:1], 1, v6
	s_waitcnt vmcnt(0)
	ds_write_b128 v9, v[2:5]
	s_waitcnt lgkmcnt(0)
	; wave barrier
	s_waitcnt lgkmcnt(0)
	s_and_saveexec_b64 s[6:7], s[2:3]
	s_cbranch_execz .LBB52_425
; %bb.422:
	ds_read_b128 v[2:5], v9
	s_and_b64 vcc, exec, s[0:1]
	s_cbranch_vccnz .LBB52_424
; %bb.423:
	scratch_load_dwordx4 v[168:171], v8, off
	s_waitcnt vmcnt(0) lgkmcnt(0)
	v_mul_f64 v[10:11], v[2:3], v[170:171]
	v_mul_f64 v[6:7], v[4:5], v[170:171]
	v_fmac_f64_e32 v[10:11], v[4:5], v[168:169]
	v_fma_f64 v[2:3], v[2:3], v[168:169], -v[6:7]
	v_mov_b64_e32 v[4:5], v[10:11]
.LBB52_424:
	v_mov_b32_e32 v6, 0
	ds_read_b128 v[168:171], v6 offset:16
	s_waitcnt lgkmcnt(0)
	v_mul_f64 v[6:7], v[4:5], v[170:171]
	v_mul_f64 v[172:173], v[2:3], v[170:171]
	v_fma_f64 v[170:171], v[2:3], v[168:169], -v[6:7]
	v_fmac_f64_e32 v[172:173], v[4:5], v[168:169]
	scratch_store_dwordx4 off, v[170:173], off offset:16
.LBB52_425:
	s_or_b64 exec, exec, s[6:7]
	scratch_load_dwordx4 v[2:5], v166, off
	v_cmp_gt_u32_e32 vcc, 2, v0
	s_waitcnt vmcnt(0)
	ds_write_b128 v9, v[2:5]
	s_waitcnt lgkmcnt(0)
	; wave barrier
	s_waitcnt lgkmcnt(0)
	s_and_saveexec_b64 s[6:7], vcc
	s_cbranch_execz .LBB52_431
; %bb.426:
	ds_read_b128 v[2:5], v9
	s_and_b64 vcc, exec, s[0:1]
	s_cbranch_vccnz .LBB52_428
; %bb.427:
	scratch_load_dwordx4 v[168:171], v8, off
	s_waitcnt vmcnt(0) lgkmcnt(0)
	v_mul_f64 v[10:11], v[2:3], v[170:171]
	v_mul_f64 v[6:7], v[4:5], v[170:171]
	v_fmac_f64_e32 v[10:11], v[4:5], v[168:169]
	v_fma_f64 v[2:3], v[2:3], v[168:169], -v[6:7]
	v_mov_b64_e32 v[4:5], v[10:11]
.LBB52_428:
	s_and_saveexec_b64 s[8:9], s[2:3]
	s_cbranch_execz .LBB52_430
; %bb.429:
	scratch_load_dwordx4 v[168:171], v8, off offset:16
	ds_read_b128 v[172:175], v9 offset:16
	s_waitcnt vmcnt(0) lgkmcnt(0)
	v_mul_f64 v[6:7], v[174:175], v[170:171]
	v_mul_f64 v[10:11], v[172:173], v[170:171]
	v_fma_f64 v[6:7], v[172:173], v[168:169], -v[6:7]
	v_fmac_f64_e32 v[10:11], v[174:175], v[168:169]
	v_add_f64 v[2:3], v[2:3], v[6:7]
	v_add_f64 v[4:5], v[4:5], v[10:11]
.LBB52_430:
	s_or_b64 exec, exec, s[8:9]
	v_mov_b32_e32 v6, 0
	ds_read_b128 v[168:171], v6 offset:32
	s_waitcnt lgkmcnt(0)
	v_mul_f64 v[6:7], v[4:5], v[170:171]
	v_mul_f64 v[172:173], v[2:3], v[170:171]
	v_fma_f64 v[170:171], v[2:3], v[168:169], -v[6:7]
	v_fmac_f64_e32 v[172:173], v[4:5], v[168:169]
	scratch_store_dwordx4 off, v[170:173], off offset:32
.LBB52_431:
	s_or_b64 exec, exec, s[6:7]
	scratch_load_dwordx4 v[2:5], v165, off
	v_cmp_gt_u32_e32 vcc, 3, v0
	s_waitcnt vmcnt(0)
	ds_write_b128 v9, v[2:5]
	s_waitcnt lgkmcnt(0)
	; wave barrier
	s_waitcnt lgkmcnt(0)
	s_and_saveexec_b64 s[6:7], vcc
	s_cbranch_execz .LBB52_439
; %bb.432:
	ds_read_b128 v[2:5], v9
	s_and_b64 vcc, exec, s[0:1]
	s_cbranch_vccnz .LBB52_434
; %bb.433:
	scratch_load_dwordx4 v[168:171], v8, off
	s_waitcnt vmcnt(0) lgkmcnt(0)
	v_mul_f64 v[10:11], v[2:3], v[170:171]
	v_mul_f64 v[6:7], v[4:5], v[170:171]
	v_fmac_f64_e32 v[10:11], v[4:5], v[168:169]
	v_fma_f64 v[2:3], v[2:3], v[168:169], -v[6:7]
	v_mov_b64_e32 v[4:5], v[10:11]
.LBB52_434:
	v_cmp_ne_u32_e32 vcc, 2, v0
	s_and_saveexec_b64 s[8:9], vcc
	s_cbranch_execz .LBB52_438
; %bb.435:
	scratch_load_dwordx4 v[168:171], v8, off offset:16
	ds_read_b128 v[172:175], v9 offset:16
	s_waitcnt vmcnt(0) lgkmcnt(0)
	v_mul_f64 v[6:7], v[174:175], v[170:171]
	v_mul_f64 v[10:11], v[172:173], v[170:171]
	v_fma_f64 v[6:7], v[172:173], v[168:169], -v[6:7]
	v_fmac_f64_e32 v[10:11], v[174:175], v[168:169]
	v_add_f64 v[2:3], v[2:3], v[6:7]
	v_add_f64 v[4:5], v[4:5], v[10:11]
	s_and_saveexec_b64 s[10:11], s[2:3]
	s_cbranch_execz .LBB52_437
; %bb.436:
	scratch_load_dwordx4 v[168:171], off, off offset:32
	v_mov_b32_e32 v6, 0
	ds_read_b128 v[172:175], v6 offset:880
	s_waitcnt vmcnt(0) lgkmcnt(0)
	v_mul_f64 v[6:7], v[172:173], v[170:171]
	v_mul_f64 v[10:11], v[174:175], v[170:171]
	v_fmac_f64_e32 v[6:7], v[174:175], v[168:169]
	v_fma_f64 v[10:11], v[172:173], v[168:169], -v[10:11]
	v_add_f64 v[4:5], v[4:5], v[6:7]
	v_add_f64 v[2:3], v[2:3], v[10:11]
.LBB52_437:
	s_or_b64 exec, exec, s[10:11]
.LBB52_438:
	s_or_b64 exec, exec, s[8:9]
	v_mov_b32_e32 v6, 0
	ds_read_b128 v[168:171], v6 offset:48
	s_waitcnt lgkmcnt(0)
	v_mul_f64 v[6:7], v[4:5], v[170:171]
	v_mul_f64 v[172:173], v[2:3], v[170:171]
	v_fma_f64 v[170:171], v[2:3], v[168:169], -v[6:7]
	v_fmac_f64_e32 v[172:173], v[4:5], v[168:169]
	scratch_store_dwordx4 off, v[170:173], off offset:48
.LBB52_439:
	s_or_b64 exec, exec, s[6:7]
	scratch_load_dwordx4 v[2:5], v164, off
	v_cmp_gt_u32_e32 vcc, 4, v0
	s_waitcnt vmcnt(0)
	ds_write_b128 v9, v[2:5]
	s_waitcnt lgkmcnt(0)
	; wave barrier
	s_waitcnt lgkmcnt(0)
	s_and_saveexec_b64 s[2:3], vcc
	s_cbranch_execz .LBB52_447
; %bb.440:
	ds_read_b128 v[2:5], v9
	s_and_b64 vcc, exec, s[0:1]
	s_cbranch_vccnz .LBB52_442
; %bb.441:
	scratch_load_dwordx4 v[168:171], v8, off
	s_waitcnt vmcnt(0) lgkmcnt(0)
	v_mul_f64 v[10:11], v[2:3], v[170:171]
	v_mul_f64 v[6:7], v[4:5], v[170:171]
	v_fmac_f64_e32 v[10:11], v[4:5], v[168:169]
	v_fma_f64 v[2:3], v[2:3], v[168:169], -v[6:7]
	v_mov_b64_e32 v[4:5], v[10:11]
.LBB52_442:
	v_cmp_ne_u32_e32 vcc, 3, v0
	s_and_saveexec_b64 s[6:7], vcc
	s_cbranch_execz .LBB52_446
; %bb.443:
	v_mov_b32_e32 v7, 0
	v_add_u32_e32 v6, 0x360, v68
	v_add3_u32 v7, v68, v7, 24
	s_mov_b64 s[8:9], 0
	v_mov_b32_e32 v168, v0
.LBB52_444:                             ; =>This Inner Loop Header: Depth=1
	v_add_u32_e32 v10, -8, v7
	scratch_load_dwordx4 v[170:173], v10, off
	ds_read_b128 v[174:177], v6
	v_add_u32_e32 v168, 1, v168
	v_cmp_lt_u32_e32 vcc, 2, v168
	v_add_u32_e32 v6, 16, v6
	v_add_u32_e32 v7, 16, v7
	s_or_b64 s[8:9], vcc, s[8:9]
	s_waitcnt vmcnt(0) lgkmcnt(0)
	v_mul_f64 v[10:11], v[176:177], v[172:173]
	v_mul_f64 v[12:13], v[174:175], v[172:173]
	v_fma_f64 v[10:11], v[174:175], v[170:171], -v[10:11]
	v_fmac_f64_e32 v[12:13], v[176:177], v[170:171]
	v_add_f64 v[2:3], v[2:3], v[10:11]
	v_add_f64 v[4:5], v[4:5], v[12:13]
	s_andn2_b64 exec, exec, s[8:9]
	s_cbranch_execnz .LBB52_444
; %bb.445:
	s_or_b64 exec, exec, s[8:9]
.LBB52_446:
	s_or_b64 exec, exec, s[6:7]
	v_mov_b32_e32 v6, 0
	ds_read_b128 v[168:171], v6 offset:64
	s_waitcnt lgkmcnt(0)
	v_mul_f64 v[6:7], v[4:5], v[170:171]
	v_mul_f64 v[172:173], v[2:3], v[170:171]
	v_fma_f64 v[170:171], v[2:3], v[168:169], -v[6:7]
	v_fmac_f64_e32 v[172:173], v[4:5], v[168:169]
	scratch_store_dwordx4 off, v[170:173], off offset:64
.LBB52_447:
	s_or_b64 exec, exec, s[2:3]
	scratch_load_dwordx4 v[2:5], v163, off
	v_cmp_gt_u32_e32 vcc, 5, v0
	s_waitcnt vmcnt(0)
	ds_write_b128 v9, v[2:5]
	s_waitcnt lgkmcnt(0)
	; wave barrier
	s_waitcnt lgkmcnt(0)
	s_and_saveexec_b64 s[2:3], vcc
	s_cbranch_execz .LBB52_455
; %bb.448:
	ds_read_b128 v[2:5], v9
	s_and_b64 vcc, exec, s[0:1]
	s_cbranch_vccnz .LBB52_450
; %bb.449:
	scratch_load_dwordx4 v[168:171], v8, off
	s_waitcnt vmcnt(0) lgkmcnt(0)
	v_mul_f64 v[10:11], v[2:3], v[170:171]
	v_mul_f64 v[6:7], v[4:5], v[170:171]
	v_fmac_f64_e32 v[10:11], v[4:5], v[168:169]
	v_fma_f64 v[2:3], v[2:3], v[168:169], -v[6:7]
	v_mov_b64_e32 v[4:5], v[10:11]
.LBB52_450:
	v_cmp_ne_u32_e32 vcc, 4, v0
	s_and_saveexec_b64 s[6:7], vcc
	s_cbranch_execz .LBB52_454
; %bb.451:
	v_mov_b32_e32 v7, 0
	v_add_u32_e32 v6, 0x360, v68
	v_add3_u32 v7, v68, v7, 24
	s_mov_b64 s[8:9], 0
	v_mov_b32_e32 v168, v0
.LBB52_452:                             ; =>This Inner Loop Header: Depth=1
	v_add_u32_e32 v10, -8, v7
	scratch_load_dwordx4 v[170:173], v10, off
	ds_read_b128 v[174:177], v6
	v_add_u32_e32 v168, 1, v168
	v_cmp_lt_u32_e32 vcc, 3, v168
	v_add_u32_e32 v6, 16, v6
	v_add_u32_e32 v7, 16, v7
	s_or_b64 s[8:9], vcc, s[8:9]
	s_waitcnt vmcnt(0) lgkmcnt(0)
	v_mul_f64 v[10:11], v[176:177], v[172:173]
	v_mul_f64 v[12:13], v[174:175], v[172:173]
	v_fma_f64 v[10:11], v[174:175], v[170:171], -v[10:11]
	v_fmac_f64_e32 v[12:13], v[176:177], v[170:171]
	v_add_f64 v[2:3], v[2:3], v[10:11]
	v_add_f64 v[4:5], v[4:5], v[12:13]
	s_andn2_b64 exec, exec, s[8:9]
	s_cbranch_execnz .LBB52_452
; %bb.453:
	s_or_b64 exec, exec, s[8:9]
.LBB52_454:
	s_or_b64 exec, exec, s[6:7]
	v_mov_b32_e32 v6, 0
	ds_read_b128 v[168:171], v6 offset:80
	s_waitcnt lgkmcnt(0)
	v_mul_f64 v[6:7], v[4:5], v[170:171]
	v_mul_f64 v[172:173], v[2:3], v[170:171]
	v_fma_f64 v[170:171], v[2:3], v[168:169], -v[6:7]
	v_fmac_f64_e32 v[172:173], v[4:5], v[168:169]
	scratch_store_dwordx4 off, v[170:173], off offset:80
.LBB52_455:
	;; [unrolled: 63-line block ×47, first 2 shown]
	s_or_b64 exec, exec, s[2:3]
	scratch_load_dwordx4 v[2:5], v36, off
	v_cmp_gt_u32_e64 s[2:3], 51, v0
	s_waitcnt vmcnt(0)
	ds_write_b128 v9, v[2:5]
	s_waitcnt lgkmcnt(0)
	; wave barrier
	s_waitcnt lgkmcnt(0)
	s_and_saveexec_b64 s[6:7], s[2:3]
	s_cbranch_execz .LBB52_823
; %bb.816:
	ds_read_b128 v[2:5], v9
	s_and_b64 vcc, exec, s[0:1]
	s_cbranch_vccnz .LBB52_818
; %bb.817:
	scratch_load_dwordx4 v[168:171], v8, off
	s_waitcnt vmcnt(0) lgkmcnt(0)
	v_mul_f64 v[10:11], v[2:3], v[170:171]
	v_mul_f64 v[6:7], v[4:5], v[170:171]
	v_fmac_f64_e32 v[10:11], v[4:5], v[168:169]
	v_fma_f64 v[2:3], v[2:3], v[168:169], -v[6:7]
	v_mov_b64_e32 v[4:5], v[10:11]
.LBB52_818:
	v_cmp_ne_u32_e32 vcc, 50, v0
	s_and_saveexec_b64 s[8:9], vcc
	s_cbranch_execz .LBB52_822
; %bb.819:
	v_mov_b32_e32 v7, 0
	v_add_u32_e32 v6, 0x360, v68
	v_add3_u32 v7, v68, v7, 24
	s_mov_b64 s[10:11], 0
	v_mov_b32_e32 v168, v0
.LBB52_820:                             ; =>This Inner Loop Header: Depth=1
	v_add_u32_e32 v10, -8, v7
	scratch_load_dwordx4 v[170:173], v10, off
	ds_read_b128 v[174:177], v6
	v_add_u32_e32 v168, 1, v168
	v_cmp_lt_u32_e32 vcc, 49, v168
	v_add_u32_e32 v6, 16, v6
	v_add_u32_e32 v7, 16, v7
	s_or_b64 s[10:11], vcc, s[10:11]
	s_waitcnt vmcnt(0) lgkmcnt(0)
	v_mul_f64 v[10:11], v[176:177], v[172:173]
	v_mul_f64 v[12:13], v[174:175], v[172:173]
	v_fma_f64 v[10:11], v[174:175], v[170:171], -v[10:11]
	v_fmac_f64_e32 v[12:13], v[176:177], v[170:171]
	v_add_f64 v[2:3], v[2:3], v[10:11]
	v_add_f64 v[4:5], v[4:5], v[12:13]
	s_andn2_b64 exec, exec, s[10:11]
	s_cbranch_execnz .LBB52_820
; %bb.821:
	s_or_b64 exec, exec, s[10:11]
.LBB52_822:
	s_or_b64 exec, exec, s[8:9]
	v_mov_b32_e32 v6, 0
	ds_read_b128 v[168:171], v6 offset:816
	s_waitcnt lgkmcnt(0)
	v_mul_f64 v[6:7], v[4:5], v[170:171]
	v_mul_f64 v[172:173], v[2:3], v[170:171]
	v_fma_f64 v[170:171], v[2:3], v[168:169], -v[6:7]
	v_fmac_f64_e32 v[172:173], v[4:5], v[168:169]
	scratch_store_dwordx4 off, v[170:173], off offset:816
.LBB52_823:
	s_or_b64 exec, exec, s[6:7]
	scratch_load_dwordx4 v[2:5], v1, off
	v_cmp_ne_u32_e32 vcc, 52, v0
                                        ; implicit-def: $vgpr6_vgpr7
                                        ; implicit-def: $vgpr168
	s_waitcnt vmcnt(0)
	ds_write_b128 v9, v[2:5]
	s_waitcnt lgkmcnt(0)
	; wave barrier
	s_waitcnt lgkmcnt(0)
	s_and_saveexec_b64 s[6:7], vcc
	s_cbranch_execz .LBB52_831
; %bb.824:
	ds_read_b128 v[2:5], v9
	s_and_b64 vcc, exec, s[0:1]
	s_cbranch_vccnz .LBB52_826
; %bb.825:
	scratch_load_dwordx4 v[6:9], v8, off
	s_waitcnt vmcnt(0) lgkmcnt(0)
	v_mul_f64 v[10:11], v[4:5], v[8:9]
	v_mul_f64 v[8:9], v[2:3], v[8:9]
	v_fmac_f64_e32 v[8:9], v[4:5], v[6:7]
	v_fma_f64 v[2:3], v[2:3], v[6:7], -v[10:11]
	v_mov_b64_e32 v[4:5], v[8:9]
.LBB52_826:
	s_and_saveexec_b64 s[0:1], s[2:3]
	s_cbranch_execz .LBB52_830
; %bb.827:
	v_mov_b32_e32 v7, 0
	v_add_u32_e32 v6, 0x360, v68
	v_add3_u32 v7, v68, v7, 24
	s_mov_b64 s[2:3], 0
.LBB52_828:                             ; =>This Inner Loop Header: Depth=1
	v_add_u32_e32 v8, -8, v7
	scratch_load_dwordx4 v[168:171], v8, off
	ds_read_b128 v[172:175], v6
	v_add_u32_e32 v0, 1, v0
	v_cmp_lt_u32_e32 vcc, 50, v0
	v_add_u32_e32 v6, 16, v6
	v_add_u32_e32 v7, 16, v7
	s_or_b64 s[2:3], vcc, s[2:3]
	s_waitcnt vmcnt(0) lgkmcnt(0)
	v_mul_f64 v[8:9], v[174:175], v[170:171]
	v_mul_f64 v[10:11], v[172:173], v[170:171]
	v_fma_f64 v[8:9], v[172:173], v[168:169], -v[8:9]
	v_fmac_f64_e32 v[10:11], v[174:175], v[168:169]
	v_add_f64 v[2:3], v[2:3], v[8:9]
	v_add_f64 v[4:5], v[4:5], v[10:11]
	s_andn2_b64 exec, exec, s[2:3]
	s_cbranch_execnz .LBB52_828
; %bb.829:
	s_or_b64 exec, exec, s[2:3]
.LBB52_830:
	s_or_b64 exec, exec, s[0:1]
	v_mov_b32_e32 v0, 0
	ds_read_b128 v[170:173], v0 offset:832
	v_mov_b32_e32 v0, 0
	v_add_u32_e32 v168, 0x348, v0
	s_or_b64 s[4:5], s[4:5], exec
	s_waitcnt lgkmcnt(0)
	v_mul_f64 v[8:9], v[4:5], v[172:173]
	v_mul_f64 v[6:7], v[2:3], v[172:173]
	v_fma_f64 v[2:3], v[2:3], v[170:171], -v[8:9]
	v_fmac_f64_e32 v[6:7], v[4:5], v[170:171]
	scratch_store_dwordx2 off, v[2:3], off offset:832
.LBB52_831:
	s_or_b64 exec, exec, s[6:7]
.LBB52_832:
	v_mov_b32_e32 v68, v179
	v_mov_b32_e32 v0, v178
	s_and_saveexec_b64 s[0:1], s[4:5]
	s_cbranch_execz .LBB52_834
; %bb.833:
	scratch_store_dwordx2 v168, v[6:7], off
.LBB52_834:
	s_or_b64 exec, exec, s[0:1]
	scratch_load_dwordx4 v[2:5], off, off
	scratch_load_dwordx4 v[6:9], v167, off
	s_nop 0
	scratch_load_dwordx4 v[166:169], v166, off
	s_nop 0
	scratch_load_dwordx4 v[170:173], v165, off
	scratch_load_dwordx4 v[174:177], v164, off
	scratch_load_dwordx4 v[178:181], v163, off
	s_nop 0
	scratch_load_dwordx4 v[162:165], v162, off
	s_nop 0
	scratch_load_dwordx4 v[182:185], v161, off
	scratch_load_dwordx4 v[186:189], v160, off
	;; [unrolled: 6-line block ×7, first 2 shown]
	scratch_load_dwordx4 v[250:253], v139, off
	s_nop 0
	scratch_load_dwordx4 v[138:141], v138, off
	s_waitcnt vmcnt(30)
	global_store_dwordx4 v[14:15], v[2:5], off
	scratch_load_dwordx4 v[2:5], v137, off
	s_nop 0
	scratch_load_dwordx4 v[10:13], v136, off
	s_waitcnt vmcnt(32)
	global_store_dwordx4 v[16:17], v[6:9], off
	;; [unrolled: 5-line block ×12, first 2 shown]
	s_waitcnt vmcnt(52)
	global_store_dwordx4 v[38:39], v[198:201], off
	s_waitcnt vmcnt(52)
	global_store_dwordx4 v[40:41], v[202:205], off
	;; [unrolled: 2-line block ×41, first 2 shown]
.LBB52_835:
	s_endpgm
	.section	.rodata,"a",@progbits
	.p2align	6, 0x0
	.amdhsa_kernel _ZN9rocsolver6v33100L18trti2_kernel_smallILi53E19rocblas_complex_numIdEPS3_EEv13rocblas_fill_17rocblas_diagonal_T1_iil
		.amdhsa_group_segment_fixed_size 1696
		.amdhsa_private_segment_fixed_size 864
		.amdhsa_kernarg_size 32
		.amdhsa_user_sgpr_count 2
		.amdhsa_user_sgpr_dispatch_ptr 0
		.amdhsa_user_sgpr_queue_ptr 0
		.amdhsa_user_sgpr_kernarg_segment_ptr 1
		.amdhsa_user_sgpr_dispatch_id 0
		.amdhsa_user_sgpr_kernarg_preload_length 0
		.amdhsa_user_sgpr_kernarg_preload_offset 0
		.amdhsa_user_sgpr_private_segment_size 0
		.amdhsa_uses_dynamic_stack 0
		.amdhsa_enable_private_segment 1
		.amdhsa_system_sgpr_workgroup_id_x 1
		.amdhsa_system_sgpr_workgroup_id_y 0
		.amdhsa_system_sgpr_workgroup_id_z 0
		.amdhsa_system_sgpr_workgroup_info 0
		.amdhsa_system_vgpr_workitem_id 0
		.amdhsa_next_free_vgpr 256
		.amdhsa_next_free_sgpr 12
		.amdhsa_accum_offset 256
		.amdhsa_reserve_vcc 1
		.amdhsa_float_round_mode_32 0
		.amdhsa_float_round_mode_16_64 0
		.amdhsa_float_denorm_mode_32 3
		.amdhsa_float_denorm_mode_16_64 3
		.amdhsa_dx10_clamp 1
		.amdhsa_ieee_mode 1
		.amdhsa_fp16_overflow 0
		.amdhsa_tg_split 0
		.amdhsa_exception_fp_ieee_invalid_op 0
		.amdhsa_exception_fp_denorm_src 0
		.amdhsa_exception_fp_ieee_div_zero 0
		.amdhsa_exception_fp_ieee_overflow 0
		.amdhsa_exception_fp_ieee_underflow 0
		.amdhsa_exception_fp_ieee_inexact 0
		.amdhsa_exception_int_div_zero 0
	.end_amdhsa_kernel
	.section	.text._ZN9rocsolver6v33100L18trti2_kernel_smallILi53E19rocblas_complex_numIdEPS3_EEv13rocblas_fill_17rocblas_diagonal_T1_iil,"axG",@progbits,_ZN9rocsolver6v33100L18trti2_kernel_smallILi53E19rocblas_complex_numIdEPS3_EEv13rocblas_fill_17rocblas_diagonal_T1_iil,comdat
.Lfunc_end52:
	.size	_ZN9rocsolver6v33100L18trti2_kernel_smallILi53E19rocblas_complex_numIdEPS3_EEv13rocblas_fill_17rocblas_diagonal_T1_iil, .Lfunc_end52-_ZN9rocsolver6v33100L18trti2_kernel_smallILi53E19rocblas_complex_numIdEPS3_EEv13rocblas_fill_17rocblas_diagonal_T1_iil
                                        ; -- End function
	.section	.AMDGPU.csdata,"",@progbits
; Kernel info:
; codeLenInByte = 35008
; NumSgprs: 18
; NumVgprs: 256
; NumAgprs: 0
; TotalNumVgprs: 256
; ScratchSize: 864
; MemoryBound: 0
; FloatMode: 240
; IeeeMode: 1
; LDSByteSize: 1696 bytes/workgroup (compile time only)
; SGPRBlocks: 2
; VGPRBlocks: 31
; NumSGPRsForWavesPerEU: 18
; NumVGPRsForWavesPerEU: 256
; AccumOffset: 256
; Occupancy: 2
; WaveLimiterHint : 0
; COMPUTE_PGM_RSRC2:SCRATCH_EN: 1
; COMPUTE_PGM_RSRC2:USER_SGPR: 2
; COMPUTE_PGM_RSRC2:TRAP_HANDLER: 0
; COMPUTE_PGM_RSRC2:TGID_X_EN: 1
; COMPUTE_PGM_RSRC2:TGID_Y_EN: 0
; COMPUTE_PGM_RSRC2:TGID_Z_EN: 0
; COMPUTE_PGM_RSRC2:TIDIG_COMP_CNT: 0
; COMPUTE_PGM_RSRC3_GFX90A:ACCUM_OFFSET: 63
; COMPUTE_PGM_RSRC3_GFX90A:TG_SPLIT: 0
	.section	.text._ZN9rocsolver6v33100L18trti2_kernel_smallILi54E19rocblas_complex_numIdEPS3_EEv13rocblas_fill_17rocblas_diagonal_T1_iil,"axG",@progbits,_ZN9rocsolver6v33100L18trti2_kernel_smallILi54E19rocblas_complex_numIdEPS3_EEv13rocblas_fill_17rocblas_diagonal_T1_iil,comdat
	.globl	_ZN9rocsolver6v33100L18trti2_kernel_smallILi54E19rocblas_complex_numIdEPS3_EEv13rocblas_fill_17rocblas_diagonal_T1_iil ; -- Begin function _ZN9rocsolver6v33100L18trti2_kernel_smallILi54E19rocblas_complex_numIdEPS3_EEv13rocblas_fill_17rocblas_diagonal_T1_iil
	.p2align	8
	.type	_ZN9rocsolver6v33100L18trti2_kernel_smallILi54E19rocblas_complex_numIdEPS3_EEv13rocblas_fill_17rocblas_diagonal_T1_iil,@function
_ZN9rocsolver6v33100L18trti2_kernel_smallILi54E19rocblas_complex_numIdEPS3_EEv13rocblas_fill_17rocblas_diagonal_T1_iil: ; @_ZN9rocsolver6v33100L18trti2_kernel_smallILi54E19rocblas_complex_numIdEPS3_EEv13rocblas_fill_17rocblas_diagonal_T1_iil
; %bb.0:
	v_cmp_gt_u32_e32 vcc, 54, v0
	s_and_saveexec_b64 s[4:5], vcc
	s_cbranch_execz .LBB53_851
; %bb.1:
	s_load_dwordx8 s[4:11], s[0:1], 0x0
	s_ashr_i32 s3, s2, 31
	v_lshlrev_b32_e32 v120, 4, v0
	v_mov_b32_e32 v121, 0
	v_mov_b32_e32 v1, 0
	s_waitcnt lgkmcnt(0)
	s_ashr_i32 s1, s8, 31
	s_mov_b32 s0, s8
	s_mul_i32 s8, s2, s11
	s_mul_hi_u32 s11, s2, s10
	s_add_i32 s8, s11, s8
	s_mul_i32 s3, s3, s10
	s_add_i32 s3, s8, s3
	s_mul_i32 s2, s2, s10
	s_lshl_b64 s[2:3], s[2:3], 4
	s_add_u32 s2, s6, s2
	s_addc_u32 s3, s7, s3
	s_lshl_b64 s[0:1], s[0:1], 4
	s_add_u32 s0, s2, s0
	s_addc_u32 s1, s3, s1
	s_add_i32 s2, s9, s9
	v_add_u32_e32 v4, s2, v0
	v_add_u32_e32 v2, s9, v4
	;; [unrolled: 1-line block ×15, first 2 shown]
	v_ashrrev_i32_e32 v11, 31, v10
	v_ashrrev_i32_e32 v39, 31, v38
	v_add_u32_e32 v52, s9, v50
	s_mov_b32 s2, s9
	s_ashr_i32 s3, s9, 31
	v_lshl_add_u64 v[48:49], s[0:1], 0, v[120:121]
	v_ashrrev_i32_e32 v3, 31, v2
	v_ashrrev_i32_e32 v9, 31, v8
	v_lshl_add_u64 v[24:25], v[10:11], 4, s[0:1]
	v_ashrrev_i32_e32 v13, 31, v12
	v_ashrrev_i32_e32 v17, 31, v16
	;; [unrolled: 1-line block ×3, first 2 shown]
	v_lshl_add_u64 v[10:11], v[38:39], 4, s[0:1]
	v_add_u32_e32 v54, s9, v52
	v_ashrrev_i32_e32 v5, 31, v4
	v_lshl_add_u64 v[42:43], s[2:3], 4, v[48:49]
	v_lshl_add_u64 v[36:37], v[2:3], 4, s[0:1]
	v_ashrrev_i32_e32 v7, 31, v6
	v_lshl_add_u64 v[34:35], v[8:9], 4, s[0:1]
	v_lshl_add_u64 v[28:29], v[12:13], 4, s[0:1]
	v_ashrrev_i32_e32 v15, 31, v14
	v_lshl_add_u64 v[20:21], v[16:17], 4, s[0:1]
	v_ashrrev_i32_e32 v23, 31, v22
	v_lshl_add_u64 v[12:13], v[26:27], 4, s[0:1]
	v_accvgpr_write_b32 a0, v10
	v_ashrrev_i32_e32 v41, 31, v40
	v_ashrrev_i32_e32 v45, 31, v44
	;; [unrolled: 1-line block ×4, first 2 shown]
	global_load_dwordx4 v[56:59], v120, s[0:1]
	v_lshl_add_u64 v[30:31], v[4:5], 4, s[0:1]
	global_load_dwordx4 v[60:63], v[42:43], off
	global_load_dwordx4 v[64:67], v[30:31], off
	v_lshl_add_u64 v[32:33], v[6:7], 4, s[0:1]
	global_load_dwordx4 v[2:5], v[36:37], off
	global_load_dwordx4 v[68:71], v[32:33], off
	;; [unrolled: 1-line block ×4, first 2 shown]
	v_lshl_add_u64 v[18:19], v[14:15], 4, s[0:1]
	global_load_dwordx4 v[76:79], v[28:29], off
	global_load_dwordx4 v[80:83], v[18:19], off
	v_lshl_add_u64 v[22:23], v[22:23], 4, s[0:1]
	global_load_dwordx4 v[84:87], v[20:21], off
	global_load_dwordx4 v[88:91], v[22:23], off
	;; [unrolled: 1-line block ×4, first 2 shown]
	v_accvgpr_write_b32 a1, v11
	v_lshl_add_u64 v[10:11], v[40:41], 4, s[0:1]
	v_lshl_add_u64 v[254:255], v[44:45], 4, s[0:1]
	;; [unrolled: 1-line block ×3, first 2 shown]
	v_ashrrev_i32_e32 v51, 31, v50
	v_lshl_add_u64 v[44:45], v[52:53], 4, s[0:1]
	v_ashrrev_i32_e32 v55, 31, v54
	global_load_dwordx4 v[100:103], v[10:11], off
	global_load_dwordx4 v[104:107], v[254:255], off
	v_lshl_add_u64 v[40:41], v[50:51], 4, s[0:1]
	global_load_dwordx4 v[108:111], v[38:39], off
	global_load_dwordx4 v[112:115], v[40:41], off
	v_lshl_add_u64 v[46:47], v[54:55], 4, s[0:1]
	global_load_dwordx4 v[116:119], v[44:45], off
	global_load_dwordx4 v[122:125], v[46:47], off
	v_accvgpr_write_b32 a4, v10
	v_accvgpr_write_b32 a2, v12
	;; [unrolled: 1-line block ×3, first 2 shown]
	v_add_u32_e32 v10, s9, v54
	v_accvgpr_write_b32 a3, v13
	v_add_u32_e32 v12, s9, v10
	v_add_u32_e32 v14, s9, v12
	v_add_u32_e32 v16, s9, v14
	v_add_u32_e32 v26, s9, v16
	v_add_u32_e32 v134, s9, v26
	v_add_u32_e32 v142, s9, v134
	v_add_u32_e32 v144, s9, v142
	v_add_u32_e32 v150, s9, v144
	v_add_u32_e32 v152, s9, v150
	v_add_u32_e32 v158, s9, v152
	v_add_u32_e32 v160, s9, v158
	v_add_u32_e32 v166, s9, v160
	v_add_u32_e32 v168, s9, v166
	v_add_u32_e32 v174, s9, v168
	v_add_u32_e32 v176, s9, v174
	v_add_u32_e32 v182, s9, v176
	v_add_u32_e32 v184, s9, v182
	v_add_u32_e32 v190, s9, v184
	v_add_u32_e32 v192, s9, v190
	v_add_u32_e32 v198, s9, v192
	v_add_u32_e32 v200, s9, v198
	v_add_u32_e32 v206, s9, v200
	v_add_u32_e32 v208, s9, v206
	v_add_u32_e32 v214, s9, v208
	v_add_u32_e32 v216, s9, v214
	v_add_u32_e32 v222, s9, v216
	v_add_u32_e32 v224, s9, v222
	v_add_u32_e32 v230, s9, v224
	v_add_u32_e32 v232, s9, v230
	v_add_u32_e32 v238, s9, v232
	v_add_u32_e32 v240, s9, v238
	v_add_u32_e32 v246, s9, v240
	v_add_u32_e32 v248, s9, v246
	v_add_u32_e32 v50, s9, v248
	v_ashrrev_i32_e32 v51, 31, v50
	v_lshl_add_u64 v[50:51], v[50:51], 4, s[0:1]
	v_ashrrev_i32_e32 v11, 31, v10
	v_ashrrev_i32_e32 v15, 31, v14
	v_ashrrev_i32_e32 v27, 31, v26
	v_ashrrev_i32_e32 v143, 31, v142
	v_ashrrev_i32_e32 v151, 31, v150
	v_ashrrev_i32_e32 v159, 31, v158
	v_ashrrev_i32_e32 v167, 31, v166
	v_ashrrev_i32_e32 v175, 31, v174
	v_ashrrev_i32_e32 v183, 31, v182
	v_ashrrev_i32_e32 v191, 31, v190
	v_ashrrev_i32_e32 v199, 31, v198
	v_ashrrev_i32_e32 v207, 31, v206
	v_ashrrev_i32_e32 v215, 31, v214
	v_ashrrev_i32_e32 v223, 31, v222
	v_ashrrev_i32_e32 v231, 31, v230
	v_ashrrev_i32_e32 v239, 31, v238
	v_ashrrev_i32_e32 v247, 31, v246
	global_load_dwordx4 v[126:129], v[50:51], off
	s_waitcnt vmcnt(19)
	scratch_store_dwordx4 off, v[56:59], off
	s_waitcnt vmcnt(19)
	scratch_store_dwordx4 off, v[60:63], off offset:16
	s_waitcnt vmcnt(19)
	scratch_store_dwordx4 off, v[64:67], off offset:32
	;; [unrolled: 2-line block ×18, first 2 shown]
	v_lshl_add_u64 v[52:53], v[10:11], 4, s[0:1]
	v_ashrrev_i32_e32 v13, 31, v12
	v_lshl_add_u64 v[56:57], v[14:15], 4, s[0:1]
	v_ashrrev_i32_e32 v17, 31, v16
	;; [unrolled: 2-line block ×17, first 2 shown]
	v_lshl_add_u64 v[54:55], v[12:13], 4, s[0:1]
	global_load_dwordx4 v[2:5], v[52:53], off
	global_load_dwordx4 v[6:9], v[54:55], off
	v_lshl_add_u64 v[58:59], v[16:17], 4, s[0:1]
	global_load_dwordx4 v[122:125], v[56:57], off
	global_load_dwordx4 v[130:133], v[58:59], off
	;; [unrolled: 3-line block ×17, first 2 shown]
	s_cmpk_lg_i32 s5, 0x84
	s_cselect_b64 s[6:7], -1, 0
	s_cmpk_eq_i32 s5, 0x84
	s_waitcnt vmcnt(33)
	scratch_store_dwordx4 off, v[2:5], off offset:304
	s_waitcnt vmcnt(33)
	scratch_store_dwordx4 off, v[6:9], off offset:320
	;; [unrolled: 2-line block ×34, first 2 shown]
	scratch_store_dwordx4 off, v[126:129], off offset:848
	s_cbranch_scc1 .LBB53_7
; %bb.2:
	scratch_load_dwordx4 v[8:11], v120, off
                                        ; implicit-def: $vgpr6_vgpr7
	s_waitcnt vmcnt(0)
	v_xor_b32_e32 v3, 0x80000000, v9
	v_cmp_gt_f64_e32 vcc, 0, v[8:9]
	v_xor_b32_e32 v4, 0x80000000, v11
	v_mov_b32_e32 v2, v8
	v_cndmask_b32_e32 v3, v9, v3, vcc
	v_cmp_gt_f64_e32 vcc, 0, v[10:11]
	s_nop 1
	v_cndmask_b32_e32 v5, v11, v4, vcc
	v_mov_b32_e32 v4, v10
	v_cmp_ngt_f64_e32 vcc, v[2:3], v[4:5]
                                        ; implicit-def: $vgpr2_vgpr3
	s_and_saveexec_b64 s[0:1], vcc
	s_xor_b64 s[0:1], exec, s[0:1]
	s_cbranch_execz .LBB53_4
; %bb.3:
	v_div_scale_f64 v[2:3], s[2:3], v[10:11], v[10:11], v[8:9]
	v_rcp_f64_e32 v[4:5], v[2:3]
	v_div_scale_f64 v[6:7], vcc, v[8:9], v[10:11], v[8:9]
	v_fma_f64 v[12:13], -v[2:3], v[4:5], 1.0
	v_fmac_f64_e32 v[4:5], v[4:5], v[12:13]
	v_fma_f64 v[12:13], -v[2:3], v[4:5], 1.0
	v_fmac_f64_e32 v[4:5], v[4:5], v[12:13]
	v_mul_f64 v[12:13], v[6:7], v[4:5]
	v_fma_f64 v[2:3], -v[2:3], v[12:13], v[6:7]
	v_div_fmas_f64 v[2:3], v[2:3], v[4:5], v[12:13]
	v_div_fixup_f64 v[2:3], v[2:3], v[10:11], v[8:9]
	v_fmac_f64_e32 v[10:11], v[8:9], v[2:3]
	v_div_scale_f64 v[4:5], s[2:3], v[10:11], v[10:11], 1.0
	v_rcp_f64_e32 v[6:7], v[4:5]
	s_nop 0
	v_fma_f64 v[8:9], -v[4:5], v[6:7], 1.0
	v_fmac_f64_e32 v[6:7], v[6:7], v[8:9]
	v_fma_f64 v[8:9], -v[4:5], v[6:7], 1.0
	v_fmac_f64_e32 v[6:7], v[6:7], v[8:9]
	v_div_scale_f64 v[8:9], vcc, 1.0, v[10:11], 1.0
	v_mul_f64 v[12:13], v[8:9], v[6:7]
	v_fma_f64 v[4:5], -v[4:5], v[12:13], v[8:9]
                                        ; implicit-def: $vgpr8_vgpr9
	s_nop 1
	v_div_fmas_f64 v[4:5], v[4:5], v[6:7], v[12:13]
	v_div_fixup_f64 v[4:5], v[4:5], v[10:11], 1.0
	v_mul_f64 v[2:3], v[2:3], v[4:5]
	v_xor_b32_e32 v5, 0x80000000, v5
	v_xor_b32_e32 v7, 0x80000000, v3
	v_mov_b32_e32 v6, v2
.LBB53_4:
	s_or_saveexec_b64 s[0:1], s[0:1]
	v_add_u32_e32 v121, 0, v120
	s_xor_b64 exec, exec, s[0:1]
	s_cbranch_execz .LBB53_6
; %bb.5:
	v_div_scale_f64 v[2:3], s[2:3], v[8:9], v[8:9], v[10:11]
	v_rcp_f64_e32 v[4:5], v[2:3]
	v_div_scale_f64 v[6:7], vcc, v[10:11], v[8:9], v[10:11]
	v_fma_f64 v[12:13], -v[2:3], v[4:5], 1.0
	v_fmac_f64_e32 v[4:5], v[4:5], v[12:13]
	v_fma_f64 v[12:13], -v[2:3], v[4:5], 1.0
	v_fmac_f64_e32 v[4:5], v[4:5], v[12:13]
	v_mul_f64 v[12:13], v[6:7], v[4:5]
	v_fma_f64 v[2:3], -v[2:3], v[12:13], v[6:7]
	v_div_fmas_f64 v[2:3], v[2:3], v[4:5], v[12:13]
	v_div_fixup_f64 v[4:5], v[2:3], v[8:9], v[10:11]
	v_fmac_f64_e32 v[8:9], v[10:11], v[4:5]
	v_div_scale_f64 v[2:3], s[2:3], v[8:9], v[8:9], 1.0
	v_rcp_f64_e32 v[6:7], v[2:3]
	s_nop 0
	v_fma_f64 v[10:11], -v[2:3], v[6:7], 1.0
	v_fmac_f64_e32 v[6:7], v[6:7], v[10:11]
	v_fma_f64 v[10:11], -v[2:3], v[6:7], 1.0
	v_fmac_f64_e32 v[6:7], v[6:7], v[10:11]
	v_div_scale_f64 v[10:11], vcc, 1.0, v[8:9], 1.0
	v_mul_f64 v[12:13], v[10:11], v[6:7]
	v_fma_f64 v[2:3], -v[2:3], v[12:13], v[10:11]
	s_nop 1
	v_div_fmas_f64 v[2:3], v[2:3], v[6:7], v[12:13]
	v_div_fixup_f64 v[2:3], v[2:3], v[8:9], 1.0
	v_xor_b32_e32 v7, 0x80000000, v3
	v_mov_b32_e32 v6, v2
	v_mul_f64 v[4:5], v[4:5], -v[2:3]
.LBB53_6:
	s_or_b64 exec, exec, s[0:1]
	scratch_store_dwordx4 v121, v[2:5], off
	s_nop 1
	v_xor_b32_e32 v5, 0x80000000, v5
	s_branch .LBB53_8
.LBB53_7:
	v_mov_b64_e32 v[4:5], 0
	v_mov_b64_e32 v[6:7], -1.0
.LBB53_8:
	v_mov_b32_e32 v8, v4
	v_mov_b32_e32 v9, v5
	v_add_u32_e32 v170, 16, v1
	v_add_u32_e32 v169, 32, v1
	;; [unrolled: 1-line block ×53, first 2 shown]
	ds_write_b128 v120, v[6:9]
	s_cmpk_eq_i32 s4, 0x79
	v_add_u32_e32 v9, 0x360, v120
	v_add_u32_e32 v8, 0, v120
	s_cbranch_scc1 .LBB53_428
; %bb.9:
	scratch_load_dwordx4 v[2:5], v16, off
	v_cmp_eq_u32_e64 s[0:1], 53, v0
	s_waitcnt vmcnt(0)
	ds_write_b128 v9, v[2:5]
	s_waitcnt lgkmcnt(0)
	; wave barrier
	s_waitcnt lgkmcnt(0)
	s_and_saveexec_b64 s[2:3], s[0:1]
	s_cbranch_execz .LBB53_13
; %bb.10:
	ds_read_b128 v[2:5], v9
	s_andn2_b64 vcc, exec, s[6:7]
	s_cbranch_vccnz .LBB53_12
; %bb.11:
	scratch_load_dwordx4 v[172:175], v8, off
	s_waitcnt vmcnt(0) lgkmcnt(0)
	v_mul_f64 v[12:13], v[2:3], v[174:175]
	v_mul_f64 v[6:7], v[4:5], v[174:175]
	v_fmac_f64_e32 v[12:13], v[4:5], v[172:173]
	v_fma_f64 v[2:3], v[2:3], v[172:173], -v[6:7]
	v_mov_b64_e32 v[4:5], v[12:13]
.LBB53_12:
	v_mov_b32_e32 v6, 0
	ds_read_b128 v[172:175], v6 offset:832
	s_waitcnt lgkmcnt(0)
	v_mul_f64 v[6:7], v[4:5], v[174:175]
	v_mul_f64 v[176:177], v[2:3], v[174:175]
	v_fma_f64 v[174:175], v[2:3], v[172:173], -v[6:7]
	v_fmac_f64_e32 v[176:177], v[4:5], v[172:173]
	scratch_store_dwordx4 off, v[174:177], off offset:832
.LBB53_13:
	s_or_b64 exec, exec, s[2:3]
	scratch_load_dwordx4 v[2:5], v26, off
	v_cmp_lt_u32_e64 s[2:3], 51, v0
	s_waitcnt vmcnt(0)
	ds_write_b128 v9, v[2:5]
	s_waitcnt lgkmcnt(0)
	; wave barrier
	s_waitcnt lgkmcnt(0)
	s_and_saveexec_b64 s[4:5], s[2:3]
	s_cbranch_execz .LBB53_19
; %bb.14:
	ds_read_b128 v[2:5], v9
	s_andn2_b64 vcc, exec, s[6:7]
	s_cbranch_vccnz .LBB53_16
; %bb.15:
	scratch_load_dwordx4 v[172:175], v8, off
	s_waitcnt vmcnt(0) lgkmcnt(0)
	v_mul_f64 v[12:13], v[2:3], v[174:175]
	v_mul_f64 v[6:7], v[4:5], v[174:175]
	v_fmac_f64_e32 v[12:13], v[4:5], v[172:173]
	v_fma_f64 v[2:3], v[2:3], v[172:173], -v[6:7]
	v_mov_b64_e32 v[4:5], v[12:13]
.LBB53_16:
	s_and_saveexec_b64 s[8:9], s[0:1]
	s_cbranch_execz .LBB53_18
; %bb.17:
	scratch_load_dwordx4 v[172:175], off, off offset:832
	v_mov_b32_e32 v6, 0
	ds_read_b128 v[176:179], v6 offset:1696
	s_waitcnt vmcnt(0) lgkmcnt(0)
	v_mul_f64 v[6:7], v[176:177], v[174:175]
	v_mul_f64 v[12:13], v[178:179], v[174:175]
	v_fmac_f64_e32 v[6:7], v[178:179], v[172:173]
	v_fma_f64 v[12:13], v[176:177], v[172:173], -v[12:13]
	v_add_f64 v[4:5], v[4:5], v[6:7]
	v_add_f64 v[2:3], v[2:3], v[12:13]
.LBB53_18:
	s_or_b64 exec, exec, s[8:9]
	v_mov_b32_e32 v6, 0
	ds_read_b128 v[172:175], v6 offset:816
	s_waitcnt lgkmcnt(0)
	v_mul_f64 v[6:7], v[4:5], v[174:175]
	v_mul_f64 v[176:177], v[2:3], v[174:175]
	v_fma_f64 v[174:175], v[2:3], v[172:173], -v[6:7]
	v_fmac_f64_e32 v[176:177], v[4:5], v[172:173]
	scratch_store_dwordx4 off, v[174:177], off offset:816
.LBB53_19:
	s_or_b64 exec, exec, s[4:5]
	scratch_load_dwordx4 v[2:5], v27, off
	v_cmp_lt_u32_e64 s[0:1], 50, v0
	s_waitcnt vmcnt(0)
	ds_write_b128 v9, v[2:5]
	s_waitcnt lgkmcnt(0)
	; wave barrier
	s_waitcnt lgkmcnt(0)
	s_and_saveexec_b64 s[4:5], s[0:1]
	s_cbranch_execz .LBB53_27
; %bb.20:
	ds_read_b128 v[2:5], v9
	s_andn2_b64 vcc, exec, s[6:7]
	s_cbranch_vccnz .LBB53_22
; %bb.21:
	scratch_load_dwordx4 v[172:175], v8, off
	s_waitcnt vmcnt(0) lgkmcnt(0)
	v_mul_f64 v[12:13], v[2:3], v[174:175]
	v_mul_f64 v[6:7], v[4:5], v[174:175]
	v_fmac_f64_e32 v[12:13], v[4:5], v[172:173]
	v_fma_f64 v[2:3], v[2:3], v[172:173], -v[6:7]
	v_mov_b64_e32 v[4:5], v[12:13]
.LBB53_22:
	s_and_saveexec_b64 s[8:9], s[2:3]
	s_cbranch_execz .LBB53_26
; %bb.23:
	v_mov_b32_e32 v7, 0
	v_subrev_u32_e32 v6, 51, v0
	v_add_u32_e32 v7, 0x338, v7
	s_movk_i32 s10, 0x690
	s_mov_b64 s[2:3], 0
.LBB53_24:                              ; =>This Inner Loop Header: Depth=1
	v_add_u32_e32 v12, -8, v7
	scratch_load_dwordx4 v[172:175], v12, off
	v_mov_b32_e32 v12, s10
	ds_read_b128 v[176:179], v12
	v_add_u32_e32 v6, -1, v6
	s_add_i32 s10, s10, 16
	v_cmp_eq_u32_e32 vcc, 0, v6
	v_add_u32_e32 v7, 16, v7
	s_or_b64 s[2:3], vcc, s[2:3]
	s_waitcnt vmcnt(0) lgkmcnt(0)
	v_mul_f64 v[12:13], v[178:179], v[174:175]
	v_mul_f64 v[14:15], v[176:177], v[174:175]
	v_fma_f64 v[12:13], v[176:177], v[172:173], -v[12:13]
	v_fmac_f64_e32 v[14:15], v[178:179], v[172:173]
	v_add_f64 v[2:3], v[2:3], v[12:13]
	v_add_f64 v[4:5], v[4:5], v[14:15]
	s_andn2_b64 exec, exec, s[2:3]
	s_cbranch_execnz .LBB53_24
; %bb.25:
	s_or_b64 exec, exec, s[2:3]
.LBB53_26:
	s_or_b64 exec, exec, s[8:9]
	v_mov_b32_e32 v6, 0
	ds_read_b128 v[172:175], v6 offset:800
	s_waitcnt lgkmcnt(0)
	v_mul_f64 v[6:7], v[4:5], v[174:175]
	v_mul_f64 v[176:177], v[2:3], v[174:175]
	v_fma_f64 v[174:175], v[2:3], v[172:173], -v[6:7]
	v_fmac_f64_e32 v[176:177], v[4:5], v[172:173]
	scratch_store_dwordx4 off, v[174:177], off offset:800
.LBB53_27:
	s_or_b64 exec, exec, s[4:5]
	scratch_load_dwordx4 v[2:5], v17, off
	v_cmp_lt_u32_e64 s[2:3], 49, v0
	s_waitcnt vmcnt(0)
	ds_write_b128 v9, v[2:5]
	s_waitcnt lgkmcnt(0)
	; wave barrier
	s_waitcnt lgkmcnt(0)
	s_and_saveexec_b64 s[4:5], s[2:3]
	s_cbranch_execz .LBB53_35
; %bb.28:
	ds_read_b128 v[2:5], v9
	s_andn2_b64 vcc, exec, s[6:7]
	s_cbranch_vccnz .LBB53_30
; %bb.29:
	scratch_load_dwordx4 v[172:175], v8, off
	s_waitcnt vmcnt(0) lgkmcnt(0)
	v_mul_f64 v[12:13], v[2:3], v[174:175]
	v_mul_f64 v[6:7], v[4:5], v[174:175]
	v_fmac_f64_e32 v[12:13], v[4:5], v[172:173]
	v_fma_f64 v[2:3], v[2:3], v[172:173], -v[6:7]
	v_mov_b64_e32 v[4:5], v[12:13]
.LBB53_30:
	s_and_saveexec_b64 s[8:9], s[0:1]
	s_cbranch_execz .LBB53_34
; %bb.31:
	v_mov_b32_e32 v7, 0
	v_subrev_u32_e32 v6, 50, v0
	v_add_u32_e32 v7, 0x328, v7
	s_movk_i32 s10, 0x680
	s_mov_b64 s[0:1], 0
.LBB53_32:                              ; =>This Inner Loop Header: Depth=1
	v_add_u32_e32 v12, -8, v7
	scratch_load_dwordx4 v[172:175], v12, off
	v_mov_b32_e32 v12, s10
	ds_read_b128 v[176:179], v12
	v_add_u32_e32 v6, -1, v6
	s_add_i32 s10, s10, 16
	v_cmp_eq_u32_e32 vcc, 0, v6
	v_add_u32_e32 v7, 16, v7
	s_or_b64 s[0:1], vcc, s[0:1]
	s_waitcnt vmcnt(0) lgkmcnt(0)
	v_mul_f64 v[12:13], v[178:179], v[174:175]
	v_mul_f64 v[14:15], v[176:177], v[174:175]
	v_fma_f64 v[12:13], v[176:177], v[172:173], -v[12:13]
	v_fmac_f64_e32 v[14:15], v[178:179], v[172:173]
	v_add_f64 v[2:3], v[2:3], v[12:13]
	v_add_f64 v[4:5], v[4:5], v[14:15]
	s_andn2_b64 exec, exec, s[0:1]
	s_cbranch_execnz .LBB53_32
; %bb.33:
	s_or_b64 exec, exec, s[0:1]
.LBB53_34:
	s_or_b64 exec, exec, s[8:9]
	v_mov_b32_e32 v6, 0
	ds_read_b128 v[172:175], v6 offset:784
	s_waitcnt lgkmcnt(0)
	v_mul_f64 v[6:7], v[4:5], v[174:175]
	v_mul_f64 v[176:177], v[2:3], v[174:175]
	v_fma_f64 v[174:175], v[2:3], v[172:173], -v[6:7]
	v_fmac_f64_e32 v[176:177], v[4:5], v[172:173]
	scratch_store_dwordx4 off, v[174:177], off offset:784
.LBB53_35:
	;; [unrolled: 63-line block ×10, first 2 shown]
	s_or_b64 exec, exec, s[4:5]
	scratch_load_dwordx4 v[2:5], v131, off
	v_cmp_lt_u32_e64 s[0:1], 40, v0
	s_waitcnt vmcnt(0)
	ds_write_b128 v9, v[2:5]
	s_waitcnt lgkmcnt(0)
	; wave barrier
	s_waitcnt lgkmcnt(0)
	s_and_saveexec_b64 s[4:5], s[0:1]
	s_cbranch_execz .LBB53_107
; %bb.100:
	ds_read_b128 v[2:5], v9
	s_andn2_b64 vcc, exec, s[6:7]
	s_cbranch_vccnz .LBB53_102
; %bb.101:
	scratch_load_dwordx4 v[172:175], v8, off
	s_waitcnt vmcnt(0) lgkmcnt(0)
	v_mul_f64 v[12:13], v[2:3], v[174:175]
	v_mul_f64 v[6:7], v[4:5], v[174:175]
	v_fmac_f64_e32 v[12:13], v[4:5], v[172:173]
	v_fma_f64 v[2:3], v[2:3], v[172:173], -v[6:7]
	v_mov_b64_e32 v[4:5], v[12:13]
.LBB53_102:
	s_and_saveexec_b64 s[8:9], s[2:3]
	s_cbranch_execz .LBB53_106
; %bb.103:
	v_mov_b32_e32 v7, 0
	v_subrev_u32_e32 v6, 41, v0
	v_add_u32_e32 v7, 0x298, v7
	s_movk_i32 s10, 0x5f0
	s_mov_b64 s[2:3], 0
.LBB53_104:                             ; =>This Inner Loop Header: Depth=1
	v_add_u32_e32 v12, -8, v7
	scratch_load_dwordx4 v[172:175], v12, off
	v_mov_b32_e32 v12, s10
	ds_read_b128 v[176:179], v12
	v_add_u32_e32 v6, -1, v6
	s_add_i32 s10, s10, 16
	v_cmp_eq_u32_e32 vcc, 0, v6
	v_add_u32_e32 v7, 16, v7
	s_or_b64 s[2:3], vcc, s[2:3]
	s_waitcnt vmcnt(0) lgkmcnt(0)
	v_mul_f64 v[12:13], v[178:179], v[174:175]
	v_mul_f64 v[14:15], v[176:177], v[174:175]
	v_fma_f64 v[12:13], v[176:177], v[172:173], -v[12:13]
	v_fmac_f64_e32 v[14:15], v[178:179], v[172:173]
	v_add_f64 v[2:3], v[2:3], v[12:13]
	v_add_f64 v[4:5], v[4:5], v[14:15]
	s_andn2_b64 exec, exec, s[2:3]
	s_cbranch_execnz .LBB53_104
; %bb.105:
	s_or_b64 exec, exec, s[2:3]
.LBB53_106:
	s_or_b64 exec, exec, s[8:9]
	v_mov_b32_e32 v6, 0
	ds_read_b128 v[172:175], v6 offset:640
	s_waitcnt lgkmcnt(0)
	v_mul_f64 v[6:7], v[4:5], v[174:175]
	v_mul_f64 v[176:177], v[2:3], v[174:175]
	v_fma_f64 v[174:175], v[2:3], v[172:173], -v[6:7]
	v_fmac_f64_e32 v[176:177], v[4:5], v[172:173]
	scratch_store_dwordx4 off, v[174:177], off offset:640
.LBB53_107:
	s_or_b64 exec, exec, s[4:5]
	scratch_load_dwordx4 v[2:5], v132, off
	v_cmp_lt_u32_e64 s[2:3], 39, v0
	s_waitcnt vmcnt(0)
	ds_write_b128 v9, v[2:5]
	s_waitcnt lgkmcnt(0)
	; wave barrier
	s_waitcnt lgkmcnt(0)
	s_and_saveexec_b64 s[4:5], s[2:3]
	s_cbranch_execz .LBB53_115
; %bb.108:
	ds_read_b128 v[2:5], v9
	s_andn2_b64 vcc, exec, s[6:7]
	s_cbranch_vccnz .LBB53_110
; %bb.109:
	scratch_load_dwordx4 v[172:175], v8, off
	s_waitcnt vmcnt(0) lgkmcnt(0)
	v_mul_f64 v[12:13], v[2:3], v[174:175]
	v_mul_f64 v[6:7], v[4:5], v[174:175]
	v_fmac_f64_e32 v[12:13], v[4:5], v[172:173]
	v_fma_f64 v[2:3], v[2:3], v[172:173], -v[6:7]
	v_mov_b64_e32 v[4:5], v[12:13]
.LBB53_110:
	s_and_saveexec_b64 s[8:9], s[0:1]
	s_cbranch_execz .LBB53_114
; %bb.111:
	v_mov_b32_e32 v7, 0
	v_subrev_u32_e32 v6, 40, v0
	v_add_u32_e32 v7, 0x288, v7
	s_movk_i32 s10, 0x5e0
	s_mov_b64 s[0:1], 0
.LBB53_112:                             ; =>This Inner Loop Header: Depth=1
	v_add_u32_e32 v12, -8, v7
	scratch_load_dwordx4 v[172:175], v12, off
	v_mov_b32_e32 v12, s10
	ds_read_b128 v[176:179], v12
	v_add_u32_e32 v6, -1, v6
	s_add_i32 s10, s10, 16
	v_cmp_eq_u32_e32 vcc, 0, v6
	v_add_u32_e32 v7, 16, v7
	s_or_b64 s[0:1], vcc, s[0:1]
	s_waitcnt vmcnt(0) lgkmcnt(0)
	v_mul_f64 v[12:13], v[178:179], v[174:175]
	v_mul_f64 v[14:15], v[176:177], v[174:175]
	v_fma_f64 v[12:13], v[176:177], v[172:173], -v[12:13]
	v_fmac_f64_e32 v[14:15], v[178:179], v[172:173]
	v_add_f64 v[2:3], v[2:3], v[12:13]
	v_add_f64 v[4:5], v[4:5], v[14:15]
	s_andn2_b64 exec, exec, s[0:1]
	s_cbranch_execnz .LBB53_112
; %bb.113:
	s_or_b64 exec, exec, s[0:1]
.LBB53_114:
	s_or_b64 exec, exec, s[8:9]
	v_mov_b32_e32 v6, 0
	ds_read_b128 v[172:175], v6 offset:624
	s_waitcnt lgkmcnt(0)
	v_mul_f64 v[6:7], v[4:5], v[174:175]
	v_mul_f64 v[176:177], v[2:3], v[174:175]
	v_fma_f64 v[174:175], v[2:3], v[172:173], -v[6:7]
	v_fmac_f64_e32 v[176:177], v[4:5], v[172:173]
	scratch_store_dwordx4 off, v[174:177], off offset:624
.LBB53_115:
	;; [unrolled: 63-line block ×25, first 2 shown]
	s_or_b64 exec, exec, s[4:5]
	scratch_load_dwordx4 v[2:5], v156, off
	v_cmp_lt_u32_e64 s[2:3], 15, v0
	s_waitcnt vmcnt(0)
	ds_write_b128 v9, v[2:5]
	s_waitcnt lgkmcnt(0)
	; wave barrier
	s_waitcnt lgkmcnt(0)
	s_and_saveexec_b64 s[4:5], s[2:3]
	s_cbranch_execz .LBB53_307
; %bb.300:
	ds_read_b128 v[2:5], v9
	s_andn2_b64 vcc, exec, s[6:7]
	s_cbranch_vccnz .LBB53_302
; %bb.301:
	scratch_load_dwordx4 v[172:175], v8, off
	s_waitcnt vmcnt(0) lgkmcnt(0)
	v_mul_f64 v[12:13], v[2:3], v[174:175]
	v_mul_f64 v[6:7], v[4:5], v[174:175]
	v_fmac_f64_e32 v[12:13], v[4:5], v[172:173]
	v_fma_f64 v[2:3], v[2:3], v[172:173], -v[6:7]
	v_mov_b64_e32 v[4:5], v[12:13]
.LBB53_302:
	s_and_saveexec_b64 s[8:9], s[0:1]
	s_cbranch_execz .LBB53_306
; %bb.303:
	v_mov_b32_e32 v7, 0
	v_add_u32_e32 v6, -16, v0
	v_add_u32_e32 v7, 0x108, v7
	s_movk_i32 s10, 0x460
	s_mov_b64 s[0:1], 0
.LBB53_304:                             ; =>This Inner Loop Header: Depth=1
	v_add_u32_e32 v12, -8, v7
	scratch_load_dwordx4 v[172:175], v12, off
	v_mov_b32_e32 v12, s10
	ds_read_b128 v[176:179], v12
	v_add_u32_e32 v6, -1, v6
	s_add_i32 s10, s10, 16
	v_cmp_eq_u32_e32 vcc, 0, v6
	v_add_u32_e32 v7, 16, v7
	s_or_b64 s[0:1], vcc, s[0:1]
	s_waitcnt vmcnt(0) lgkmcnt(0)
	v_mul_f64 v[12:13], v[178:179], v[174:175]
	v_mul_f64 v[14:15], v[176:177], v[174:175]
	v_fma_f64 v[12:13], v[176:177], v[172:173], -v[12:13]
	v_fmac_f64_e32 v[14:15], v[178:179], v[172:173]
	v_add_f64 v[2:3], v[2:3], v[12:13]
	v_add_f64 v[4:5], v[4:5], v[14:15]
	s_andn2_b64 exec, exec, s[0:1]
	s_cbranch_execnz .LBB53_304
; %bb.305:
	s_or_b64 exec, exec, s[0:1]
.LBB53_306:
	s_or_b64 exec, exec, s[8:9]
	v_mov_b32_e32 v6, 0
	ds_read_b128 v[172:175], v6 offset:240
	s_waitcnt lgkmcnt(0)
	v_mul_f64 v[6:7], v[4:5], v[174:175]
	v_mul_f64 v[176:177], v[2:3], v[174:175]
	v_fma_f64 v[174:175], v[2:3], v[172:173], -v[6:7]
	v_fmac_f64_e32 v[176:177], v[4:5], v[172:173]
	scratch_store_dwordx4 off, v[174:177], off offset:240
.LBB53_307:
	s_or_b64 exec, exec, s[4:5]
	scratch_load_dwordx4 v[2:5], v157, off
	v_cmp_lt_u32_e64 s[0:1], 14, v0
	s_waitcnt vmcnt(0)
	ds_write_b128 v9, v[2:5]
	s_waitcnt lgkmcnt(0)
	; wave barrier
	s_waitcnt lgkmcnt(0)
	s_and_saveexec_b64 s[4:5], s[0:1]
	s_cbranch_execz .LBB53_315
; %bb.308:
	ds_read_b128 v[2:5], v9
	s_andn2_b64 vcc, exec, s[6:7]
	s_cbranch_vccnz .LBB53_310
; %bb.309:
	scratch_load_dwordx4 v[172:175], v8, off
	s_waitcnt vmcnt(0) lgkmcnt(0)
	v_mul_f64 v[12:13], v[2:3], v[174:175]
	v_mul_f64 v[6:7], v[4:5], v[174:175]
	v_fmac_f64_e32 v[12:13], v[4:5], v[172:173]
	v_fma_f64 v[2:3], v[2:3], v[172:173], -v[6:7]
	v_mov_b64_e32 v[4:5], v[12:13]
.LBB53_310:
	s_and_saveexec_b64 s[8:9], s[2:3]
	s_cbranch_execz .LBB53_314
; %bb.311:
	v_mov_b32_e32 v7, 0
	v_add_u32_e32 v6, -15, v0
	v_add_u32_e32 v7, 0xf8, v7
	s_movk_i32 s10, 0x450
	s_mov_b64 s[2:3], 0
.LBB53_312:                             ; =>This Inner Loop Header: Depth=1
	v_add_u32_e32 v12, -8, v7
	scratch_load_dwordx4 v[172:175], v12, off
	v_mov_b32_e32 v12, s10
	ds_read_b128 v[176:179], v12
	v_add_u32_e32 v6, -1, v6
	s_add_i32 s10, s10, 16
	v_cmp_eq_u32_e32 vcc, 0, v6
	v_add_u32_e32 v7, 16, v7
	s_or_b64 s[2:3], vcc, s[2:3]
	s_waitcnt vmcnt(0) lgkmcnt(0)
	v_mul_f64 v[12:13], v[178:179], v[174:175]
	v_mul_f64 v[14:15], v[176:177], v[174:175]
	v_fma_f64 v[12:13], v[176:177], v[172:173], -v[12:13]
	v_fmac_f64_e32 v[14:15], v[178:179], v[172:173]
	v_add_f64 v[2:3], v[2:3], v[12:13]
	v_add_f64 v[4:5], v[4:5], v[14:15]
	s_andn2_b64 exec, exec, s[2:3]
	s_cbranch_execnz .LBB53_312
; %bb.313:
	s_or_b64 exec, exec, s[2:3]
.LBB53_314:
	s_or_b64 exec, exec, s[8:9]
	v_mov_b32_e32 v6, 0
	ds_read_b128 v[172:175], v6 offset:224
	s_waitcnt lgkmcnt(0)
	v_mul_f64 v[6:7], v[4:5], v[174:175]
	v_mul_f64 v[176:177], v[2:3], v[174:175]
	v_fma_f64 v[174:175], v[2:3], v[172:173], -v[6:7]
	v_fmac_f64_e32 v[176:177], v[4:5], v[172:173]
	scratch_store_dwordx4 off, v[174:177], off offset:224
.LBB53_315:
	;; [unrolled: 63-line block ×15, first 2 shown]
	s_or_b64 exec, exec, s[2:3]
	scratch_load_dwordx4 v[2:5], off, off
	v_cmp_ne_u32_e32 vcc, 0, v0
	s_mov_b64 s[2:3], 0
	s_mov_b64 s[4:5], 0
                                        ; implicit-def: $vgpr6_vgpr7
                                        ; implicit-def: $vgpr171
	s_waitcnt vmcnt(0)
	ds_write_b128 v9, v[2:5]
	s_waitcnt lgkmcnt(0)
	; wave barrier
	s_waitcnt lgkmcnt(0)
	s_and_saveexec_b64 s[8:9], vcc
	s_cbranch_execz .LBB53_427
; %bb.420:
	ds_read_b128 v[2:5], v9
	s_andn2_b64 vcc, exec, s[6:7]
	s_cbranch_vccnz .LBB53_422
; %bb.421:
	scratch_load_dwordx4 v[172:175], v8, off
	s_waitcnt vmcnt(0) lgkmcnt(0)
	v_mul_f64 v[12:13], v[2:3], v[174:175]
	v_mul_f64 v[6:7], v[4:5], v[174:175]
	v_fmac_f64_e32 v[12:13], v[4:5], v[172:173]
	v_fma_f64 v[2:3], v[2:3], v[172:173], -v[6:7]
	v_mov_b64_e32 v[4:5], v[12:13]
.LBB53_422:
	s_and_saveexec_b64 s[4:5], s[0:1]
	s_cbranch_execz .LBB53_426
; %bb.423:
	v_mov_b32_e32 v7, 0
	v_add_u32_e32 v6, -1, v0
	v_add_u32_e32 v7, 24, v7
	s_movk_i32 s10, 0x370
	s_mov_b64 s[0:1], 0
.LBB53_424:                             ; =>This Inner Loop Header: Depth=1
	v_add_u32_e32 v12, -8, v7
	scratch_load_dwordx4 v[172:175], v12, off
	v_mov_b32_e32 v12, s10
	ds_read_b128 v[176:179], v12
	v_add_u32_e32 v6, -1, v6
	s_add_i32 s10, s10, 16
	v_cmp_eq_u32_e32 vcc, 0, v6
	v_add_u32_e32 v7, 16, v7
	s_or_b64 s[0:1], vcc, s[0:1]
	s_waitcnt vmcnt(0) lgkmcnt(0)
	v_mul_f64 v[12:13], v[178:179], v[174:175]
	v_mul_f64 v[14:15], v[176:177], v[174:175]
	v_fma_f64 v[12:13], v[176:177], v[172:173], -v[12:13]
	v_fmac_f64_e32 v[14:15], v[178:179], v[172:173]
	v_add_f64 v[2:3], v[2:3], v[12:13]
	v_add_f64 v[4:5], v[4:5], v[14:15]
	s_andn2_b64 exec, exec, s[0:1]
	s_cbranch_execnz .LBB53_424
; %bb.425:
	s_or_b64 exec, exec, s[0:1]
.LBB53_426:
	s_or_b64 exec, exec, s[4:5]
	v_mov_b32_e32 v6, 0
	ds_read_b128 v[172:175], v6
	v_mov_b32_e32 v6, 0
	v_or_b32_e32 v171, 8, v6
	s_mov_b64 s[4:5], exec
	s_waitcnt lgkmcnt(0)
	v_mul_f64 v[12:13], v[4:5], v[174:175]
	v_mul_f64 v[6:7], v[2:3], v[174:175]
	v_fma_f64 v[2:3], v[2:3], v[172:173], -v[12:13]
	v_fmac_f64_e32 v[6:7], v[4:5], v[172:173]
	scratch_store_dwordx2 off, v[2:3], off
.LBB53_427:
	s_or_b64 exec, exec, s[8:9]
	s_and_b64 vcc, exec, s[2:3]
	s_cbranch_vccnz .LBB53_429
	s_branch .LBB53_848
.LBB53_428:
	s_mov_b64 s[4:5], 0
                                        ; implicit-def: $vgpr6_vgpr7
                                        ; implicit-def: $vgpr171
	s_cbranch_execz .LBB53_848
.LBB53_429:
	scratch_load_dwordx4 v[2:5], v170, off
	v_cndmask_b32_e64 v6, 0, 1, s[6:7]
	v_cmp_eq_u32_e64 s[2:3], 0, v0
	v_cmp_ne_u32_e64 s[0:1], 1, v6
	s_waitcnt vmcnt(0)
	ds_write_b128 v9, v[2:5]
	s_waitcnt lgkmcnt(0)
	; wave barrier
	s_waitcnt lgkmcnt(0)
	s_and_saveexec_b64 s[6:7], s[2:3]
	s_cbranch_execz .LBB53_433
; %bb.430:
	ds_read_b128 v[2:5], v9
	s_and_b64 vcc, exec, s[0:1]
	s_cbranch_vccnz .LBB53_432
; %bb.431:
	scratch_load_dwordx4 v[172:175], v8, off
	s_waitcnt vmcnt(0) lgkmcnt(0)
	v_mul_f64 v[12:13], v[2:3], v[174:175]
	v_mul_f64 v[6:7], v[4:5], v[174:175]
	v_fmac_f64_e32 v[12:13], v[4:5], v[172:173]
	v_fma_f64 v[2:3], v[2:3], v[172:173], -v[6:7]
	v_mov_b64_e32 v[4:5], v[12:13]
.LBB53_432:
	v_mov_b32_e32 v6, 0
	ds_read_b128 v[172:175], v6 offset:16
	s_waitcnt lgkmcnt(0)
	v_mul_f64 v[6:7], v[4:5], v[174:175]
	v_mul_f64 v[176:177], v[2:3], v[174:175]
	v_fma_f64 v[174:175], v[2:3], v[172:173], -v[6:7]
	v_fmac_f64_e32 v[176:177], v[4:5], v[172:173]
	scratch_store_dwordx4 off, v[174:177], off offset:16
.LBB53_433:
	s_or_b64 exec, exec, s[6:7]
	scratch_load_dwordx4 v[2:5], v169, off
	v_cmp_gt_u32_e32 vcc, 2, v0
	s_waitcnt vmcnt(0)
	ds_write_b128 v9, v[2:5]
	s_waitcnt lgkmcnt(0)
	; wave barrier
	s_waitcnt lgkmcnt(0)
	s_and_saveexec_b64 s[6:7], vcc
	s_cbranch_execz .LBB53_439
; %bb.434:
	ds_read_b128 v[2:5], v9
	s_and_b64 vcc, exec, s[0:1]
	s_cbranch_vccnz .LBB53_436
; %bb.435:
	scratch_load_dwordx4 v[172:175], v8, off
	s_waitcnt vmcnt(0) lgkmcnt(0)
	v_mul_f64 v[12:13], v[2:3], v[174:175]
	v_mul_f64 v[6:7], v[4:5], v[174:175]
	v_fmac_f64_e32 v[12:13], v[4:5], v[172:173]
	v_fma_f64 v[2:3], v[2:3], v[172:173], -v[6:7]
	v_mov_b64_e32 v[4:5], v[12:13]
.LBB53_436:
	s_and_saveexec_b64 s[8:9], s[2:3]
	s_cbranch_execz .LBB53_438
; %bb.437:
	scratch_load_dwordx4 v[172:175], v8, off offset:16
	ds_read_b128 v[176:179], v9 offset:16
	s_waitcnt vmcnt(0) lgkmcnt(0)
	v_mul_f64 v[6:7], v[178:179], v[174:175]
	v_mul_f64 v[12:13], v[176:177], v[174:175]
	v_fma_f64 v[6:7], v[176:177], v[172:173], -v[6:7]
	v_fmac_f64_e32 v[12:13], v[178:179], v[172:173]
	v_add_f64 v[2:3], v[2:3], v[6:7]
	v_add_f64 v[4:5], v[4:5], v[12:13]
.LBB53_438:
	s_or_b64 exec, exec, s[8:9]
	v_mov_b32_e32 v6, 0
	ds_read_b128 v[172:175], v6 offset:32
	s_waitcnt lgkmcnt(0)
	v_mul_f64 v[6:7], v[4:5], v[174:175]
	v_mul_f64 v[176:177], v[2:3], v[174:175]
	v_fma_f64 v[174:175], v[2:3], v[172:173], -v[6:7]
	v_fmac_f64_e32 v[176:177], v[4:5], v[172:173]
	scratch_store_dwordx4 off, v[174:177], off offset:32
.LBB53_439:
	s_or_b64 exec, exec, s[6:7]
	scratch_load_dwordx4 v[2:5], v168, off
	v_cmp_gt_u32_e32 vcc, 3, v0
	s_waitcnt vmcnt(0)
	ds_write_b128 v9, v[2:5]
	s_waitcnt lgkmcnt(0)
	; wave barrier
	s_waitcnt lgkmcnt(0)
	s_and_saveexec_b64 s[6:7], vcc
	s_cbranch_execz .LBB53_447
; %bb.440:
	ds_read_b128 v[2:5], v9
	s_and_b64 vcc, exec, s[0:1]
	s_cbranch_vccnz .LBB53_442
; %bb.441:
	scratch_load_dwordx4 v[172:175], v8, off
	s_waitcnt vmcnt(0) lgkmcnt(0)
	v_mul_f64 v[12:13], v[2:3], v[174:175]
	v_mul_f64 v[6:7], v[4:5], v[174:175]
	v_fmac_f64_e32 v[12:13], v[4:5], v[172:173]
	v_fma_f64 v[2:3], v[2:3], v[172:173], -v[6:7]
	v_mov_b64_e32 v[4:5], v[12:13]
.LBB53_442:
	v_cmp_ne_u32_e32 vcc, 2, v0
	s_and_saveexec_b64 s[8:9], vcc
	s_cbranch_execz .LBB53_446
; %bb.443:
	scratch_load_dwordx4 v[172:175], v8, off offset:16
	ds_read_b128 v[176:179], v9 offset:16
	s_waitcnt vmcnt(0) lgkmcnt(0)
	v_mul_f64 v[6:7], v[178:179], v[174:175]
	v_mul_f64 v[12:13], v[176:177], v[174:175]
	v_fma_f64 v[6:7], v[176:177], v[172:173], -v[6:7]
	v_fmac_f64_e32 v[12:13], v[178:179], v[172:173]
	v_add_f64 v[2:3], v[2:3], v[6:7]
	v_add_f64 v[4:5], v[4:5], v[12:13]
	s_and_saveexec_b64 s[10:11], s[2:3]
	s_cbranch_execz .LBB53_445
; %bb.444:
	scratch_load_dwordx4 v[172:175], off, off offset:32
	v_mov_b32_e32 v6, 0
	ds_read_b128 v[176:179], v6 offset:896
	s_waitcnt vmcnt(0) lgkmcnt(0)
	v_mul_f64 v[6:7], v[176:177], v[174:175]
	v_mul_f64 v[12:13], v[178:179], v[174:175]
	v_fmac_f64_e32 v[6:7], v[178:179], v[172:173]
	v_fma_f64 v[12:13], v[176:177], v[172:173], -v[12:13]
	v_add_f64 v[4:5], v[4:5], v[6:7]
	v_add_f64 v[2:3], v[2:3], v[12:13]
.LBB53_445:
	s_or_b64 exec, exec, s[10:11]
.LBB53_446:
	s_or_b64 exec, exec, s[8:9]
	v_mov_b32_e32 v6, 0
	ds_read_b128 v[172:175], v6 offset:48
	s_waitcnt lgkmcnt(0)
	v_mul_f64 v[6:7], v[4:5], v[174:175]
	v_mul_f64 v[176:177], v[2:3], v[174:175]
	v_fma_f64 v[174:175], v[2:3], v[172:173], -v[6:7]
	v_fmac_f64_e32 v[176:177], v[4:5], v[172:173]
	scratch_store_dwordx4 off, v[174:177], off offset:48
.LBB53_447:
	s_or_b64 exec, exec, s[6:7]
	scratch_load_dwordx4 v[2:5], v167, off
	v_cmp_gt_u32_e32 vcc, 4, v0
	s_waitcnt vmcnt(0)
	ds_write_b128 v9, v[2:5]
	s_waitcnt lgkmcnt(0)
	; wave barrier
	s_waitcnt lgkmcnt(0)
	s_and_saveexec_b64 s[2:3], vcc
	s_cbranch_execz .LBB53_455
; %bb.448:
	ds_read_b128 v[2:5], v9
	s_and_b64 vcc, exec, s[0:1]
	s_cbranch_vccnz .LBB53_450
; %bb.449:
	scratch_load_dwordx4 v[172:175], v8, off
	s_waitcnt vmcnt(0) lgkmcnt(0)
	v_mul_f64 v[12:13], v[2:3], v[174:175]
	v_mul_f64 v[6:7], v[4:5], v[174:175]
	v_fmac_f64_e32 v[12:13], v[4:5], v[172:173]
	v_fma_f64 v[2:3], v[2:3], v[172:173], -v[6:7]
	v_mov_b64_e32 v[4:5], v[12:13]
.LBB53_450:
	v_cmp_ne_u32_e32 vcc, 3, v0
	s_and_saveexec_b64 s[6:7], vcc
	s_cbranch_execz .LBB53_454
; %bb.451:
	v_mov_b32_e32 v7, 0
	v_add_u32_e32 v6, 0x370, v120
	v_add3_u32 v7, v120, v7, 24
	s_mov_b64 s[8:9], 0
	v_mov_b32_e32 v171, v0
.LBB53_452:                             ; =>This Inner Loop Header: Depth=1
	v_add_u32_e32 v12, -8, v7
	scratch_load_dwordx4 v[172:175], v12, off
	ds_read_b128 v[176:179], v6
	v_add_u32_e32 v171, 1, v171
	v_cmp_lt_u32_e32 vcc, 2, v171
	v_add_u32_e32 v6, 16, v6
	v_add_u32_e32 v7, 16, v7
	s_or_b64 s[8:9], vcc, s[8:9]
	s_waitcnt vmcnt(0) lgkmcnt(0)
	v_mul_f64 v[12:13], v[178:179], v[174:175]
	v_mul_f64 v[14:15], v[176:177], v[174:175]
	v_fma_f64 v[12:13], v[176:177], v[172:173], -v[12:13]
	v_fmac_f64_e32 v[14:15], v[178:179], v[172:173]
	v_add_f64 v[2:3], v[2:3], v[12:13]
	v_add_f64 v[4:5], v[4:5], v[14:15]
	s_andn2_b64 exec, exec, s[8:9]
	s_cbranch_execnz .LBB53_452
; %bb.453:
	s_or_b64 exec, exec, s[8:9]
.LBB53_454:
	s_or_b64 exec, exec, s[6:7]
	v_mov_b32_e32 v6, 0
	ds_read_b128 v[172:175], v6 offset:64
	s_waitcnt lgkmcnt(0)
	v_mul_f64 v[6:7], v[4:5], v[174:175]
	v_mul_f64 v[176:177], v[2:3], v[174:175]
	v_fma_f64 v[174:175], v[2:3], v[172:173], -v[6:7]
	v_fmac_f64_e32 v[176:177], v[4:5], v[172:173]
	scratch_store_dwordx4 off, v[174:177], off offset:64
.LBB53_455:
	s_or_b64 exec, exec, s[2:3]
	scratch_load_dwordx4 v[2:5], v166, off
	v_cmp_gt_u32_e32 vcc, 5, v0
	s_waitcnt vmcnt(0)
	ds_write_b128 v9, v[2:5]
	s_waitcnt lgkmcnt(0)
	; wave barrier
	s_waitcnt lgkmcnt(0)
	s_and_saveexec_b64 s[2:3], vcc
	s_cbranch_execz .LBB53_463
; %bb.456:
	ds_read_b128 v[2:5], v9
	s_and_b64 vcc, exec, s[0:1]
	s_cbranch_vccnz .LBB53_458
; %bb.457:
	scratch_load_dwordx4 v[172:175], v8, off
	s_waitcnt vmcnt(0) lgkmcnt(0)
	v_mul_f64 v[12:13], v[2:3], v[174:175]
	v_mul_f64 v[6:7], v[4:5], v[174:175]
	v_fmac_f64_e32 v[12:13], v[4:5], v[172:173]
	v_fma_f64 v[2:3], v[2:3], v[172:173], -v[6:7]
	v_mov_b64_e32 v[4:5], v[12:13]
.LBB53_458:
	v_cmp_ne_u32_e32 vcc, 4, v0
	s_and_saveexec_b64 s[6:7], vcc
	s_cbranch_execz .LBB53_462
; %bb.459:
	v_mov_b32_e32 v7, 0
	v_add_u32_e32 v6, 0x370, v120
	v_add3_u32 v7, v120, v7, 24
	s_mov_b64 s[8:9], 0
	v_mov_b32_e32 v171, v0
.LBB53_460:                             ; =>This Inner Loop Header: Depth=1
	v_add_u32_e32 v12, -8, v7
	scratch_load_dwordx4 v[172:175], v12, off
	ds_read_b128 v[176:179], v6
	v_add_u32_e32 v171, 1, v171
	v_cmp_lt_u32_e32 vcc, 3, v171
	v_add_u32_e32 v6, 16, v6
	v_add_u32_e32 v7, 16, v7
	s_or_b64 s[8:9], vcc, s[8:9]
	s_waitcnt vmcnt(0) lgkmcnt(0)
	v_mul_f64 v[12:13], v[178:179], v[174:175]
	v_mul_f64 v[14:15], v[176:177], v[174:175]
	v_fma_f64 v[12:13], v[176:177], v[172:173], -v[12:13]
	v_fmac_f64_e32 v[14:15], v[178:179], v[172:173]
	v_add_f64 v[2:3], v[2:3], v[12:13]
	v_add_f64 v[4:5], v[4:5], v[14:15]
	s_andn2_b64 exec, exec, s[8:9]
	s_cbranch_execnz .LBB53_460
; %bb.461:
	s_or_b64 exec, exec, s[8:9]
.LBB53_462:
	s_or_b64 exec, exec, s[6:7]
	v_mov_b32_e32 v6, 0
	ds_read_b128 v[172:175], v6 offset:80
	s_waitcnt lgkmcnt(0)
	v_mul_f64 v[6:7], v[4:5], v[174:175]
	v_mul_f64 v[176:177], v[2:3], v[174:175]
	v_fma_f64 v[174:175], v[2:3], v[172:173], -v[6:7]
	v_fmac_f64_e32 v[176:177], v[4:5], v[172:173]
	scratch_store_dwordx4 off, v[174:177], off offset:80
.LBB53_463:
	;; [unrolled: 63-line block ×48, first 2 shown]
	s_or_b64 exec, exec, s[2:3]
	scratch_load_dwordx4 v[2:5], v16, off
	v_cmp_gt_u32_e64 s[2:3], 52, v0
	s_waitcnt vmcnt(0)
	ds_write_b128 v9, v[2:5]
	s_waitcnt lgkmcnt(0)
	; wave barrier
	s_waitcnt lgkmcnt(0)
	s_and_saveexec_b64 s[6:7], s[2:3]
	s_cbranch_execz .LBB53_839
; %bb.832:
	ds_read_b128 v[2:5], v9
	s_and_b64 vcc, exec, s[0:1]
	s_cbranch_vccnz .LBB53_834
; %bb.833:
	scratch_load_dwordx4 v[172:175], v8, off
	s_waitcnt vmcnt(0) lgkmcnt(0)
	v_mul_f64 v[12:13], v[2:3], v[174:175]
	v_mul_f64 v[6:7], v[4:5], v[174:175]
	v_fmac_f64_e32 v[12:13], v[4:5], v[172:173]
	v_fma_f64 v[2:3], v[2:3], v[172:173], -v[6:7]
	v_mov_b64_e32 v[4:5], v[12:13]
.LBB53_834:
	v_cmp_ne_u32_e32 vcc, 51, v0
	s_and_saveexec_b64 s[8:9], vcc
	s_cbranch_execz .LBB53_838
; %bb.835:
	v_mov_b32_e32 v7, 0
	v_add_u32_e32 v6, 0x370, v120
	v_add3_u32 v7, v120, v7, 24
	s_mov_b64 s[10:11], 0
	v_mov_b32_e32 v171, v0
.LBB53_836:                             ; =>This Inner Loop Header: Depth=1
	v_add_u32_e32 v12, -8, v7
	scratch_load_dwordx4 v[172:175], v12, off
	ds_read_b128 v[176:179], v6
	v_add_u32_e32 v171, 1, v171
	v_cmp_lt_u32_e32 vcc, 50, v171
	v_add_u32_e32 v6, 16, v6
	v_add_u32_e32 v7, 16, v7
	s_or_b64 s[10:11], vcc, s[10:11]
	s_waitcnt vmcnt(0) lgkmcnt(0)
	v_mul_f64 v[12:13], v[178:179], v[174:175]
	v_mul_f64 v[14:15], v[176:177], v[174:175]
	v_fma_f64 v[12:13], v[176:177], v[172:173], -v[12:13]
	v_fmac_f64_e32 v[14:15], v[178:179], v[172:173]
	v_add_f64 v[2:3], v[2:3], v[12:13]
	v_add_f64 v[4:5], v[4:5], v[14:15]
	s_andn2_b64 exec, exec, s[10:11]
	s_cbranch_execnz .LBB53_836
; %bb.837:
	s_or_b64 exec, exec, s[10:11]
.LBB53_838:
	s_or_b64 exec, exec, s[8:9]
	v_mov_b32_e32 v6, 0
	ds_read_b128 v[172:175], v6 offset:832
	s_waitcnt lgkmcnt(0)
	v_mul_f64 v[6:7], v[4:5], v[174:175]
	v_mul_f64 v[176:177], v[2:3], v[174:175]
	v_fma_f64 v[174:175], v[2:3], v[172:173], -v[6:7]
	v_fmac_f64_e32 v[176:177], v[4:5], v[172:173]
	scratch_store_dwordx4 off, v[174:177], off offset:832
.LBB53_839:
	s_or_b64 exec, exec, s[6:7]
	scratch_load_dwordx4 v[2:5], v1, off
	v_cmp_ne_u32_e32 vcc, 53, v0
                                        ; implicit-def: $vgpr6_vgpr7
                                        ; implicit-def: $vgpr171
	s_waitcnt vmcnt(0)
	ds_write_b128 v9, v[2:5]
	s_waitcnt lgkmcnt(0)
	; wave barrier
	s_waitcnt lgkmcnt(0)
	s_and_saveexec_b64 s[6:7], vcc
	s_cbranch_execz .LBB53_847
; %bb.840:
	ds_read_b128 v[2:5], v9
	s_and_b64 vcc, exec, s[0:1]
	s_cbranch_vccnz .LBB53_842
; %bb.841:
	scratch_load_dwordx4 v[6:9], v8, off
	s_waitcnt vmcnt(0) lgkmcnt(0)
	v_mul_f64 v[12:13], v[4:5], v[8:9]
	v_mul_f64 v[8:9], v[2:3], v[8:9]
	v_fmac_f64_e32 v[8:9], v[4:5], v[6:7]
	v_fma_f64 v[2:3], v[2:3], v[6:7], -v[12:13]
	v_mov_b64_e32 v[4:5], v[8:9]
.LBB53_842:
	s_and_saveexec_b64 s[0:1], s[2:3]
	s_cbranch_execz .LBB53_846
; %bb.843:
	v_mov_b32_e32 v7, 0
	v_add_u32_e32 v6, 0x370, v120
	v_add3_u32 v7, v120, v7, 24
	s_mov_b64 s[2:3], 0
.LBB53_844:                             ; =>This Inner Loop Header: Depth=1
	v_add_u32_e32 v8, -8, v7
	scratch_load_dwordx4 v[172:175], v8, off
	ds_read_b128 v[176:179], v6
	v_add_u32_e32 v0, 1, v0
	v_cmp_lt_u32_e32 vcc, 51, v0
	v_add_u32_e32 v6, 16, v6
	v_add_u32_e32 v7, 16, v7
	s_or_b64 s[2:3], vcc, s[2:3]
	s_waitcnt vmcnt(0) lgkmcnt(0)
	v_mul_f64 v[8:9], v[178:179], v[174:175]
	v_mul_f64 v[12:13], v[176:177], v[174:175]
	v_fma_f64 v[8:9], v[176:177], v[172:173], -v[8:9]
	v_fmac_f64_e32 v[12:13], v[178:179], v[172:173]
	v_add_f64 v[2:3], v[2:3], v[8:9]
	v_add_f64 v[4:5], v[4:5], v[12:13]
	s_andn2_b64 exec, exec, s[2:3]
	s_cbranch_execnz .LBB53_844
; %bb.845:
	s_or_b64 exec, exec, s[2:3]
.LBB53_846:
	s_or_b64 exec, exec, s[0:1]
	v_mov_b32_e32 v0, 0
	ds_read_b128 v[172:175], v0 offset:848
	v_mov_b32_e32 v0, 0
	v_add_u32_e32 v171, 0x358, v0
	s_or_b64 s[4:5], s[4:5], exec
	s_waitcnt lgkmcnt(0)
	v_mul_f64 v[8:9], v[4:5], v[174:175]
	v_mul_f64 v[6:7], v[2:3], v[174:175]
	v_fma_f64 v[2:3], v[2:3], v[172:173], -v[8:9]
	v_fmac_f64_e32 v[6:7], v[4:5], v[172:173]
	scratch_store_dwordx2 off, v[2:3], off offset:848
.LBB53_847:
	s_or_b64 exec, exec, s[6:7]
.LBB53_848:
	v_mov_b32_e32 v15, v123
	v_mov_b32_e32 v14, v122
	v_accvgpr_write_b32 a7, v121
	v_accvgpr_write_b32 a6, v17
	v_mov_b32_e32 v0, v16
	s_and_saveexec_b64 s[0:1], s[4:5]
	s_cbranch_execz .LBB53_850
; %bb.849:
	scratch_store_dwordx2 v171, v[6:7], off
.LBB53_850:
	s_or_b64 exec, exec, s[0:1]
	scratch_load_dwordx4 v[2:5], off, off
	scratch_load_dwordx4 v[6:9], v170, off
	s_nop 0
	scratch_load_dwordx4 v[170:173], v169, off
	scratch_load_dwordx4 v[174:177], v168, off
	scratch_load_dwordx4 v[178:181], v167, off
	s_nop 0
	scratch_load_dwordx4 v[166:169], v166, off
	s_nop 0
	scratch_load_dwordx4 v[182:185], v165, off
	scratch_load_dwordx4 v[186:189], v164, off
	scratch_load_dwordx4 v[190:193], v163, off
	s_nop 0
	;; [unrolled: 6-line block ×7, first 2 shown]
	scratch_load_dwordx4 v[142:145], v142, off
	s_waitcnt vmcnt(29)
	global_store_dwordx4 v[48:49], v[2:5], off
	scratch_load_dwordx4 v[2:5], v141, off
	s_nop 0
	scratch_load_dwordx4 v[120:123], v140, off
	s_waitcnt vmcnt(31)
	global_store_dwordx4 v[42:43], v[6:9], off
	scratch_load_dwordx4 v[6:9], v139, off
	s_nop 0
	scratch_load_dwordx4 v[138:141], v138, off
	s_waitcnt vmcnt(33)
	global_store_dwordx4 v[30:31], v[170:173], off
	scratch_load_dwordx4 v[170:173], v137, off
	s_nop 0
	scratch_load_dwordx4 v[124:127], v136, off
	s_waitcnt vmcnt(35)
	global_store_dwordx4 v[36:37], v[174:177], off
	scratch_load_dwordx4 v[174:177], v135, off
	s_nop 0
	scratch_load_dwordx4 v[134:137], v134, off
	s_waitcnt vmcnt(37)
	global_store_dwordx4 v[32:33], v[178:181], off
	scratch_load_dwordx4 v[30:33], v133, off
	s_nop 0
	scratch_load_dwordx4 v[178:181], v132, off
	s_waitcnt vmcnt(39)
	global_store_dwordx4 v[34:35], v[166:169], off
	scratch_load_dwordx4 v[34:37], v131, off
	s_nop 0
	scratch_load_dwordx4 v[130:133], v130, off
	s_waitcnt vmcnt(41)
	global_store_dwordx4 v[24:25], v[182:185], off
	scratch_load_dwordx4 v[166:169], v129, off
	s_nop 0
	scratch_load_dwordx4 v[182:185], v128, off
	v_accvgpr_read_b32 v24, a6
	s_waitcnt vmcnt(43)
	global_store_dwordx4 v[28:29], v[186:189], off
	scratch_load_dwordx4 v[186:189], v10, off
	s_nop 0
	scratch_load_dwordx4 v[10:13], v11, off
	s_waitcnt vmcnt(45)
	global_store_dwordx4 v[18:19], v[190:193], off
	scratch_load_dwordx4 v[190:193], v15, off
	s_nop 0
	scratch_load_dwordx4 v[14:17], v14, off
	v_accvgpr_read_b32 v18, a7
	s_waitcnt vmcnt(47)
	global_store_dwordx4 v[20:21], v[162:165], off
	s_waitcnt vmcnt(47)
	global_store_dwordx4 v[22:23], v[194:197], off
	scratch_load_dwordx4 v[18:21], v18, off
	s_nop 0
	scratch_load_dwordx4 v[162:165], v24, off
	scratch_load_dwordx4 v[194:197], v27, off
	s_nop 0
	scratch_load_dwordx4 v[22:25], v26, off
	v_accvgpr_read_b32 v27, a3
	v_accvgpr_read_b32 v26, a2
	s_waitcnt vmcnt(51)
	global_store_dwordx4 v[26:27], v[198:201], off
	scratch_load_dwordx4 v[198:201], v0, off
	s_nop 0
	scratch_load_dwordx4 v[26:29], v1, off
	v_accvgpr_read_b32 v0, a0
	v_accvgpr_read_b32 v1, a1
	s_waitcnt vmcnt(53)
	global_store_dwordx4 v[0:1], v[202:205], off
	v_accvgpr_read_b32 v0, a4
	v_accvgpr_read_b32 v1, a5
	s_waitcnt vmcnt(53)
	global_store_dwordx4 v[0:1], v[158:161], off
	s_waitcnt vmcnt(53)
	global_store_dwordx4 v[254:255], v[206:209], off
	;; [unrolled: 2-line block ×41, first 2 shown]
.LBB53_851:
	s_endpgm
	.section	.rodata,"a",@progbits
	.p2align	6, 0x0
	.amdhsa_kernel _ZN9rocsolver6v33100L18trti2_kernel_smallILi54E19rocblas_complex_numIdEPS3_EEv13rocblas_fill_17rocblas_diagonal_T1_iil
		.amdhsa_group_segment_fixed_size 1728
		.amdhsa_private_segment_fixed_size 880
		.amdhsa_kernarg_size 32
		.amdhsa_user_sgpr_count 2
		.amdhsa_user_sgpr_dispatch_ptr 0
		.amdhsa_user_sgpr_queue_ptr 0
		.amdhsa_user_sgpr_kernarg_segment_ptr 1
		.amdhsa_user_sgpr_dispatch_id 0
		.amdhsa_user_sgpr_kernarg_preload_length 0
		.amdhsa_user_sgpr_kernarg_preload_offset 0
		.amdhsa_user_sgpr_private_segment_size 0
		.amdhsa_uses_dynamic_stack 0
		.amdhsa_enable_private_segment 1
		.amdhsa_system_sgpr_workgroup_id_x 1
		.amdhsa_system_sgpr_workgroup_id_y 0
		.amdhsa_system_sgpr_workgroup_id_z 0
		.amdhsa_system_sgpr_workgroup_info 0
		.amdhsa_system_vgpr_workitem_id 0
		.amdhsa_next_free_vgpr 264
		.amdhsa_next_free_sgpr 12
		.amdhsa_accum_offset 256
		.amdhsa_reserve_vcc 1
		.amdhsa_float_round_mode_32 0
		.amdhsa_float_round_mode_16_64 0
		.amdhsa_float_denorm_mode_32 3
		.amdhsa_float_denorm_mode_16_64 3
		.amdhsa_dx10_clamp 1
		.amdhsa_ieee_mode 1
		.amdhsa_fp16_overflow 0
		.amdhsa_tg_split 0
		.amdhsa_exception_fp_ieee_invalid_op 0
		.amdhsa_exception_fp_denorm_src 0
		.amdhsa_exception_fp_ieee_div_zero 0
		.amdhsa_exception_fp_ieee_overflow 0
		.amdhsa_exception_fp_ieee_underflow 0
		.amdhsa_exception_fp_ieee_inexact 0
		.amdhsa_exception_int_div_zero 0
	.end_amdhsa_kernel
	.section	.text._ZN9rocsolver6v33100L18trti2_kernel_smallILi54E19rocblas_complex_numIdEPS3_EEv13rocblas_fill_17rocblas_diagonal_T1_iil,"axG",@progbits,_ZN9rocsolver6v33100L18trti2_kernel_smallILi54E19rocblas_complex_numIdEPS3_EEv13rocblas_fill_17rocblas_diagonal_T1_iil,comdat
.Lfunc_end53:
	.size	_ZN9rocsolver6v33100L18trti2_kernel_smallILi54E19rocblas_complex_numIdEPS3_EEv13rocblas_fill_17rocblas_diagonal_T1_iil, .Lfunc_end53-_ZN9rocsolver6v33100L18trti2_kernel_smallILi54E19rocblas_complex_numIdEPS3_EEv13rocblas_fill_17rocblas_diagonal_T1_iil
                                        ; -- End function
	.section	.AMDGPU.csdata,"",@progbits
; Kernel info:
; codeLenInByte = 35800
; NumSgprs: 18
; NumVgprs: 256
; NumAgprs: 8
; TotalNumVgprs: 264
; ScratchSize: 880
; MemoryBound: 0
; FloatMode: 240
; IeeeMode: 1
; LDSByteSize: 1728 bytes/workgroup (compile time only)
; SGPRBlocks: 2
; VGPRBlocks: 32
; NumSGPRsForWavesPerEU: 18
; NumVGPRsForWavesPerEU: 264
; AccumOffset: 256
; Occupancy: 1
; WaveLimiterHint : 0
; COMPUTE_PGM_RSRC2:SCRATCH_EN: 1
; COMPUTE_PGM_RSRC2:USER_SGPR: 2
; COMPUTE_PGM_RSRC2:TRAP_HANDLER: 0
; COMPUTE_PGM_RSRC2:TGID_X_EN: 1
; COMPUTE_PGM_RSRC2:TGID_Y_EN: 0
; COMPUTE_PGM_RSRC2:TGID_Z_EN: 0
; COMPUTE_PGM_RSRC2:TIDIG_COMP_CNT: 0
; COMPUTE_PGM_RSRC3_GFX90A:ACCUM_OFFSET: 63
; COMPUTE_PGM_RSRC3_GFX90A:TG_SPLIT: 0
	.section	.text._ZN9rocsolver6v33100L18trti2_kernel_smallILi55E19rocblas_complex_numIdEPS3_EEv13rocblas_fill_17rocblas_diagonal_T1_iil,"axG",@progbits,_ZN9rocsolver6v33100L18trti2_kernel_smallILi55E19rocblas_complex_numIdEPS3_EEv13rocblas_fill_17rocblas_diagonal_T1_iil,comdat
	.globl	_ZN9rocsolver6v33100L18trti2_kernel_smallILi55E19rocblas_complex_numIdEPS3_EEv13rocblas_fill_17rocblas_diagonal_T1_iil ; -- Begin function _ZN9rocsolver6v33100L18trti2_kernel_smallILi55E19rocblas_complex_numIdEPS3_EEv13rocblas_fill_17rocblas_diagonal_T1_iil
	.p2align	8
	.type	_ZN9rocsolver6v33100L18trti2_kernel_smallILi55E19rocblas_complex_numIdEPS3_EEv13rocblas_fill_17rocblas_diagonal_T1_iil,@function
_ZN9rocsolver6v33100L18trti2_kernel_smallILi55E19rocblas_complex_numIdEPS3_EEv13rocblas_fill_17rocblas_diagonal_T1_iil: ; @_ZN9rocsolver6v33100L18trti2_kernel_smallILi55E19rocblas_complex_numIdEPS3_EEv13rocblas_fill_17rocblas_diagonal_T1_iil
; %bb.0:
	v_cmp_gt_u32_e32 vcc, 55, v0
	s_and_saveexec_b64 s[4:5], vcc
	s_cbranch_execz .LBB54_867
; %bb.1:
	s_load_dwordx8 s[4:11], s[0:1], 0x0
	s_ashr_i32 s3, s2, 31
	v_lshlrev_b32_e32 v66, 4, v0
	v_mov_b32_e32 v67, 0
	v_mov_b32_e32 v1, 0
	s_waitcnt lgkmcnt(0)
	s_ashr_i32 s1, s8, 31
	s_mov_b32 s0, s8
	s_mul_i32 s8, s2, s11
	s_mul_hi_u32 s11, s2, s10
	s_add_i32 s8, s11, s8
	s_mul_i32 s3, s3, s10
	s_add_i32 s3, s8, s3
	s_mul_i32 s2, s2, s10
	s_lshl_b64 s[2:3], s[2:3], 4
	s_add_u32 s2, s6, s2
	s_addc_u32 s3, s7, s3
	s_lshl_b64 s[0:1], s[0:1], 4
	s_add_u32 s0, s2, s0
	s_addc_u32 s1, s3, s1
	v_lshl_add_u64 v[12:13], s[0:1], 0, v[66:67]
	s_ashr_i32 s3, s9, 31
	s_mov_b32 s2, s9
	v_lshl_add_u64 v[14:15], s[2:3], 4, v[12:13]
	s_add_i32 s2, s9, s9
	v_add_u32_e32 v10, s2, v0
	v_ashrrev_i32_e32 v11, 31, v10
	v_lshl_add_u64 v[16:17], v[10:11], 4, s[0:1]
	v_add_u32_e32 v10, s9, v10
	v_ashrrev_i32_e32 v11, 31, v10
	v_lshl_add_u64 v[18:19], v[10:11], 4, s[0:1]
	;; [unrolled: 3-line block ×6, first 2 shown]
	v_add_u32_e32 v10, s9, v10
	v_ashrrev_i32_e32 v11, 31, v10
	v_add_u32_e32 v30, s9, v10
	v_lshl_add_u64 v[28:29], v[10:11], 4, s[0:1]
	v_add_u32_e32 v10, s9, v30
	v_ashrrev_i32_e32 v11, 31, v10
	v_add_u32_e32 v34, s9, v10
	v_lshl_add_u64 v[32:33], v[10:11], 4, s[0:1]
	;; [unrolled: 4-line block ×3, first 2 shown]
	v_ashrrev_i32_e32 v39, 31, v38
	v_add_u32_e32 v10, s9, v38
	v_ashrrev_i32_e32 v31, 31, v30
	v_ashrrev_i32_e32 v35, 31, v34
	v_lshl_add_u64 v[42:43], v[38:39], 4, s[0:1]
	v_ashrrev_i32_e32 v11, 31, v10
	v_add_u32_e32 v38, s9, v10
	v_lshl_add_u64 v[30:31], v[30:31], 4, s[0:1]
	v_lshl_add_u64 v[34:35], v[34:35], 4, s[0:1]
	;; [unrolled: 1-line block ×3, first 2 shown]
	v_ashrrev_i32_e32 v39, 31, v38
	v_add_u32_e32 v10, s9, v38
	v_accvgpr_write_b32 a0, v42
	global_load_dwordx4 v[2:5], v66, s[0:1]
	global_load_dwordx4 v[6:9], v[14:15], off
	global_load_dwordx4 v[54:57], v[16:17], off
	;; [unrolled: 1-line block ×12, first 2 shown]
	v_accvgpr_write_b32 a1, v43
	global_load_dwordx4 v[100:103], v[42:43], off
	global_load_dwordx4 v[104:107], v[40:41], off
	v_lshl_add_u64 v[42:43], v[38:39], 4, s[0:1]
	v_ashrrev_i32_e32 v11, 31, v10
	v_add_u32_e32 v38, s9, v10
	v_lshl_add_u64 v[44:45], v[10:11], 4, s[0:1]
	v_ashrrev_i32_e32 v39, 31, v38
	v_add_u32_e32 v10, s9, v38
	;; [unrolled: 3-line block ×4, first 2 shown]
	v_lshl_add_u64 v[50:51], v[38:39], 4, s[0:1]
	v_ashrrev_i32_e32 v11, 31, v10
	global_load_dwordx4 v[108:111], v[42:43], off
	global_load_dwordx4 v[112:115], v[44:45], off
	global_load_dwordx4 v[116:119], v[46:47], off
	global_load_dwordx4 v[120:123], v[48:49], off
	v_lshl_add_u64 v[52:53], v[10:11], 4, s[0:1]
	global_load_dwordx4 v[124:127], v[50:51], off
	global_load_dwordx4 v[128:131], v[52:53], off
	s_cmpk_lg_i32 s5, 0x84
	s_cselect_b64 s[6:7], -1, 0
	s_cmpk_eq_i32 s5, 0x84
	s_waitcnt vmcnt(20)
	scratch_store_dwordx4 off, v[2:5], off
	s_waitcnt vmcnt(20)
	scratch_store_dwordx4 off, v[6:9], off offset:16
	s_waitcnt vmcnt(20)
	scratch_store_dwordx4 off, v[54:57], off offset:32
	;; [unrolled: 2-line block ×20, first 2 shown]
	v_add_u32_e32 v2, s9, v10
	v_add_u32_e32 v10, s9, v2
	v_ashrrev_i32_e32 v11, 31, v10
	v_lshl_add_u64 v[56:57], v[10:11], 4, s[0:1]
	v_add_u32_e32 v10, s9, v10
	v_ashrrev_i32_e32 v11, 31, v10
	v_lshl_add_u64 v[58:59], v[10:11], 4, s[0:1]
	;; [unrolled: 3-line block ×31, first 2 shown]
	v_add_u32_e32 v10, s9, v10
	v_ashrrev_i32_e32 v11, 31, v10
	v_ashrrev_i32_e32 v3, 31, v2
	v_lshl_add_u64 v[120:121], v[10:11], 4, s[0:1]
	v_add_u32_e32 v10, s9, v10
	v_lshl_add_u64 v[54:55], v[2:3], 4, s[0:1]
	v_ashrrev_i32_e32 v11, 31, v10
	global_load_dwordx4 v[2:5], v[54:55], off
	global_load_dwordx4 v[6:9], v[56:57], off
	;; [unrolled: 1-line block ×32, first 2 shown]
	v_lshl_add_u64 v[122:123], v[10:11], 4, s[0:1]
	global_load_dwordx4 v[244:247], v[120:121], off
	global_load_dwordx4 v[248:251], v[122:123], off
	s_waitcnt vmcnt(33)
	scratch_store_dwordx4 off, v[2:5], off offset:336
	s_waitcnt vmcnt(33)
	scratch_store_dwordx4 off, v[6:9], off offset:352
	;; [unrolled: 2-line block ×34, first 2 shown]
	s_cbranch_scc1 .LBB54_7
; %bb.2:
	scratch_load_dwordx4 v[8:11], v66, off
                                        ; implicit-def: $vgpr6_vgpr7
	s_waitcnt vmcnt(0)
	v_xor_b32_e32 v3, 0x80000000, v9
	v_cmp_gt_f64_e32 vcc, 0, v[8:9]
	v_xor_b32_e32 v4, 0x80000000, v11
	v_mov_b32_e32 v2, v8
	v_cndmask_b32_e32 v3, v9, v3, vcc
	v_cmp_gt_f64_e32 vcc, 0, v[10:11]
	s_nop 1
	v_cndmask_b32_e32 v5, v11, v4, vcc
	v_mov_b32_e32 v4, v10
	v_cmp_ngt_f64_e32 vcc, v[2:3], v[4:5]
                                        ; implicit-def: $vgpr2_vgpr3
	s_and_saveexec_b64 s[0:1], vcc
	s_xor_b64 s[0:1], exec, s[0:1]
	s_cbranch_execz .LBB54_4
; %bb.3:
	v_div_scale_f64 v[2:3], s[2:3], v[10:11], v[10:11], v[8:9]
	v_rcp_f64_e32 v[4:5], v[2:3]
	v_div_scale_f64 v[6:7], vcc, v[8:9], v[10:11], v[8:9]
	v_fma_f64 v[38:39], -v[2:3], v[4:5], 1.0
	v_fmac_f64_e32 v[4:5], v[4:5], v[38:39]
	v_fma_f64 v[38:39], -v[2:3], v[4:5], 1.0
	v_fmac_f64_e32 v[4:5], v[4:5], v[38:39]
	v_mul_f64 v[38:39], v[6:7], v[4:5]
	v_fma_f64 v[2:3], -v[2:3], v[38:39], v[6:7]
	v_div_fmas_f64 v[2:3], v[2:3], v[4:5], v[38:39]
	v_div_fixup_f64 v[2:3], v[2:3], v[10:11], v[8:9]
	v_fmac_f64_e32 v[10:11], v[8:9], v[2:3]
	v_div_scale_f64 v[4:5], s[2:3], v[10:11], v[10:11], 1.0
	v_rcp_f64_e32 v[6:7], v[4:5]
	s_nop 0
	v_fma_f64 v[8:9], -v[4:5], v[6:7], 1.0
	v_fmac_f64_e32 v[6:7], v[6:7], v[8:9]
	v_fma_f64 v[8:9], -v[4:5], v[6:7], 1.0
	v_fmac_f64_e32 v[6:7], v[6:7], v[8:9]
	v_div_scale_f64 v[8:9], vcc, 1.0, v[10:11], 1.0
	v_mul_f64 v[38:39], v[8:9], v[6:7]
	v_fma_f64 v[4:5], -v[4:5], v[38:39], v[8:9]
                                        ; implicit-def: $vgpr8_vgpr9
	s_nop 1
	v_div_fmas_f64 v[4:5], v[4:5], v[6:7], v[38:39]
	v_div_fixup_f64 v[4:5], v[4:5], v[10:11], 1.0
	v_mul_f64 v[2:3], v[2:3], v[4:5]
	v_xor_b32_e32 v5, 0x80000000, v5
	v_xor_b32_e32 v7, 0x80000000, v3
	v_mov_b32_e32 v6, v2
.LBB54_4:
	s_or_saveexec_b64 s[0:1], s[0:1]
	v_add_u32_e32 v67, 0, v66
	s_xor_b64 exec, exec, s[0:1]
	s_cbranch_execz .LBB54_6
; %bb.5:
	v_div_scale_f64 v[2:3], s[2:3], v[8:9], v[8:9], v[10:11]
	v_rcp_f64_e32 v[4:5], v[2:3]
	v_div_scale_f64 v[6:7], vcc, v[10:11], v[8:9], v[10:11]
	v_fma_f64 v[38:39], -v[2:3], v[4:5], 1.0
	v_fmac_f64_e32 v[4:5], v[4:5], v[38:39]
	v_fma_f64 v[38:39], -v[2:3], v[4:5], 1.0
	v_fmac_f64_e32 v[4:5], v[4:5], v[38:39]
	v_mul_f64 v[38:39], v[6:7], v[4:5]
	v_fma_f64 v[2:3], -v[2:3], v[38:39], v[6:7]
	v_div_fmas_f64 v[2:3], v[2:3], v[4:5], v[38:39]
	v_div_fixup_f64 v[4:5], v[2:3], v[8:9], v[10:11]
	v_fmac_f64_e32 v[8:9], v[10:11], v[4:5]
	v_div_scale_f64 v[2:3], s[2:3], v[8:9], v[8:9], 1.0
	v_rcp_f64_e32 v[6:7], v[2:3]
	s_nop 0
	v_fma_f64 v[10:11], -v[2:3], v[6:7], 1.0
	v_fmac_f64_e32 v[6:7], v[6:7], v[10:11]
	v_fma_f64 v[10:11], -v[2:3], v[6:7], 1.0
	v_fmac_f64_e32 v[6:7], v[6:7], v[10:11]
	v_div_scale_f64 v[10:11], vcc, 1.0, v[8:9], 1.0
	v_mul_f64 v[38:39], v[10:11], v[6:7]
	v_fma_f64 v[2:3], -v[2:3], v[38:39], v[10:11]
	s_nop 1
	v_div_fmas_f64 v[2:3], v[2:3], v[6:7], v[38:39]
	v_div_fixup_f64 v[2:3], v[2:3], v[8:9], 1.0
	v_xor_b32_e32 v7, 0x80000000, v3
	v_mov_b32_e32 v6, v2
	v_mul_f64 v[4:5], v[4:5], -v[2:3]
.LBB54_6:
	s_or_b64 exec, exec, s[0:1]
	scratch_store_dwordx4 v67, v[2:5], off
	s_nop 1
	v_xor_b32_e32 v5, 0x80000000, v5
	s_branch .LBB54_8
.LBB54_7:
	v_mov_b64_e32 v[4:5], 0
	v_mov_b64_e32 v[6:7], -1.0
.LBB54_8:
	v_mov_b32_e32 v8, v4
	v_mov_b32_e32 v9, v5
	v_add_u32_e32 v173, 16, v1
	v_add_u32_e32 v172, 32, v1
	v_add_u32_e32 v171, 48, v1
	v_add_u32_e32 v170, 64, v1
	v_add_u32_e32 v169, 0x50, v1
	v_add_u32_e32 v168, 0x60, v1
	v_add_u32_e32 v167, 0x70, v1
	v_add_u32_e32 v166, 0x80, v1
	v_add_u32_e32 v165, 0x90, v1
	v_add_u32_e32 v164, 0xa0, v1
	v_add_u32_e32 v163, 0xb0, v1
	v_add_u32_e32 v162, 0xc0, v1
	v_add_u32_e32 v161, 0xd0, v1
	v_add_u32_e32 v160, 0xe0, v1
	v_add_u32_e32 v159, 0xf0, v1
	v_add_u32_e32 v158, 0x100, v1
	v_add_u32_e32 v157, 0x110, v1
	v_add_u32_e32 v156, 0x120, v1
	v_add_u32_e32 v155, 0x130, v1
	v_add_u32_e32 v154, 0x140, v1
	v_add_u32_e32 v153, 0x150, v1
	v_add_u32_e32 v152, 0x160, v1
	v_add_u32_e32 v151, 0x170, v1
	v_add_u32_e32 v150, 0x180, v1
	v_add_u32_e32 v149, 0x190, v1
	v_add_u32_e32 v148, 0x1a0, v1
	v_add_u32_e32 v147, 0x1b0, v1
	v_add_u32_e32 v146, 0x1c0, v1
	v_add_u32_e32 v145, 0x1d0, v1
	v_add_u32_e32 v144, 0x1e0, v1
	v_add_u32_e32 v143, 0x1f0, v1
	v_add_u32_e32 v142, 0x200, v1
	v_add_u32_e32 v141, 0x210, v1
	v_add_u32_e32 v140, 0x220, v1
	v_add_u32_e32 v139, 0x230, v1
	v_add_u32_e32 v138, 0x240, v1
	v_add_u32_e32 v137, 0x250, v1
	v_add_u32_e32 v136, 0x260, v1
	v_add_u32_e32 v135, 0x270, v1
	v_add_u32_e32 v134, 0x280, v1
	v_add_u32_e32 v133, 0x290, v1
	v_add_u32_e32 v132, 0x2a0, v1
	v_add_u32_e32 v131, 0x2b0, v1
	v_add_u32_e32 v130, 0x2c0, v1
	v_add_u32_e32 v129, 0x2d0, v1
	v_add_u32_e32 v128, 0x2e0, v1
	v_add_u32_e32 v127, 0x2f0, v1
	v_add_u32_e32 v126, 0x300, v1
	v_add_u32_e32 v125, 0x310, v1
	v_add_u32_e32 v124, 0x320, v1
	v_add_u32_e32 v67, 0x330, v1
	v_add_u32_e32 v11, 0x340, v1
	v_add_u32_e32 v10, 0x350, v1
	v_add_u32_e32 v1, 0x360, v1
	ds_write_b128 v66, v[6:9]
	s_cmpk_eq_i32 s4, 0x79
	v_add_u32_e32 v9, 0x370, v66
	v_add_u32_e32 v8, 0, v66
	s_cbranch_scc1 .LBB54_436
; %bb.9:
	scratch_load_dwordx4 v[2:5], v10, off
	v_cmp_eq_u32_e64 s[0:1], 54, v0
	s_waitcnt vmcnt(0)
	ds_write_b128 v9, v[2:5]
	s_waitcnt lgkmcnt(0)
	; wave barrier
	s_waitcnt lgkmcnt(0)
	s_and_saveexec_b64 s[2:3], s[0:1]
	s_cbranch_execz .LBB54_13
; %bb.10:
	ds_read_b128 v[2:5], v9
	s_andn2_b64 vcc, exec, s[6:7]
	s_cbranch_vccnz .LBB54_12
; %bb.11:
	scratch_load_dwordx4 v[174:177], v8, off
	s_waitcnt vmcnt(0) lgkmcnt(0)
	v_mul_f64 v[38:39], v[2:3], v[176:177]
	v_mul_f64 v[6:7], v[4:5], v[176:177]
	v_fmac_f64_e32 v[38:39], v[4:5], v[174:175]
	v_fma_f64 v[2:3], v[2:3], v[174:175], -v[6:7]
	v_mov_b64_e32 v[4:5], v[38:39]
.LBB54_12:
	v_mov_b32_e32 v6, 0
	ds_read_b128 v[174:177], v6 offset:848
	s_waitcnt lgkmcnt(0)
	v_mul_f64 v[6:7], v[4:5], v[176:177]
	v_mul_f64 v[178:179], v[2:3], v[176:177]
	v_fma_f64 v[176:177], v[2:3], v[174:175], -v[6:7]
	v_fmac_f64_e32 v[178:179], v[4:5], v[174:175]
	scratch_store_dwordx4 off, v[176:179], off offset:848
.LBB54_13:
	s_or_b64 exec, exec, s[2:3]
	scratch_load_dwordx4 v[2:5], v11, off
	v_cmp_lt_u32_e64 s[2:3], 52, v0
	s_waitcnt vmcnt(0)
	ds_write_b128 v9, v[2:5]
	s_waitcnt lgkmcnt(0)
	; wave barrier
	s_waitcnt lgkmcnt(0)
	s_and_saveexec_b64 s[4:5], s[2:3]
	s_cbranch_execz .LBB54_19
; %bb.14:
	ds_read_b128 v[2:5], v9
	s_andn2_b64 vcc, exec, s[6:7]
	s_cbranch_vccnz .LBB54_16
; %bb.15:
	scratch_load_dwordx4 v[174:177], v8, off
	s_waitcnt vmcnt(0) lgkmcnt(0)
	v_mul_f64 v[38:39], v[2:3], v[176:177]
	v_mul_f64 v[6:7], v[4:5], v[176:177]
	v_fmac_f64_e32 v[38:39], v[4:5], v[174:175]
	v_fma_f64 v[2:3], v[2:3], v[174:175], -v[6:7]
	v_mov_b64_e32 v[4:5], v[38:39]
.LBB54_16:
	s_and_saveexec_b64 s[8:9], s[0:1]
	s_cbranch_execz .LBB54_18
; %bb.17:
	scratch_load_dwordx4 v[174:177], off, off offset:848
	v_mov_b32_e32 v6, 0
	ds_read_b128 v[178:181], v6 offset:1728
	s_waitcnt vmcnt(0) lgkmcnt(0)
	v_mul_f64 v[6:7], v[178:179], v[176:177]
	v_mul_f64 v[38:39], v[180:181], v[176:177]
	v_fmac_f64_e32 v[6:7], v[180:181], v[174:175]
	v_fma_f64 v[38:39], v[178:179], v[174:175], -v[38:39]
	v_add_f64 v[4:5], v[4:5], v[6:7]
	v_add_f64 v[2:3], v[2:3], v[38:39]
.LBB54_18:
	s_or_b64 exec, exec, s[8:9]
	v_mov_b32_e32 v6, 0
	ds_read_b128 v[174:177], v6 offset:832
	s_waitcnt lgkmcnt(0)
	v_mul_f64 v[6:7], v[4:5], v[176:177]
	v_mul_f64 v[178:179], v[2:3], v[176:177]
	v_fma_f64 v[176:177], v[2:3], v[174:175], -v[6:7]
	v_fmac_f64_e32 v[178:179], v[4:5], v[174:175]
	scratch_store_dwordx4 off, v[176:179], off offset:832
.LBB54_19:
	s_or_b64 exec, exec, s[4:5]
	scratch_load_dwordx4 v[2:5], v67, off
	v_cmp_lt_u32_e64 s[0:1], 51, v0
	s_waitcnt vmcnt(0)
	ds_write_b128 v9, v[2:5]
	s_waitcnt lgkmcnt(0)
	; wave barrier
	s_waitcnt lgkmcnt(0)
	s_and_saveexec_b64 s[4:5], s[0:1]
	s_cbranch_execz .LBB54_27
; %bb.20:
	ds_read_b128 v[2:5], v9
	s_andn2_b64 vcc, exec, s[6:7]
	s_cbranch_vccnz .LBB54_22
; %bb.21:
	scratch_load_dwordx4 v[174:177], v8, off
	s_waitcnt vmcnt(0) lgkmcnt(0)
	v_mul_f64 v[38:39], v[2:3], v[176:177]
	v_mul_f64 v[6:7], v[4:5], v[176:177]
	v_fmac_f64_e32 v[38:39], v[4:5], v[174:175]
	v_fma_f64 v[2:3], v[2:3], v[174:175], -v[6:7]
	v_mov_b64_e32 v[4:5], v[38:39]
.LBB54_22:
	s_and_saveexec_b64 s[8:9], s[2:3]
	s_cbranch_execz .LBB54_26
; %bb.23:
	v_mov_b32_e32 v7, 0
	v_subrev_u32_e32 v6, 52, v0
	v_add_u32_e32 v7, 0x348, v7
	s_movk_i32 s10, 0x6b0
	s_mov_b64 s[2:3], 0
.LBB54_24:                              ; =>This Inner Loop Header: Depth=1
	v_add_u32_e32 v38, -8, v7
	scratch_load_dwordx4 v[174:177], v38, off
	v_mov_b32_e32 v38, s10
	ds_read_b128 v[178:181], v38
	v_add_u32_e32 v6, -1, v6
	s_add_i32 s10, s10, 16
	v_cmp_eq_u32_e32 vcc, 0, v6
	v_add_u32_e32 v7, 16, v7
	s_or_b64 s[2:3], vcc, s[2:3]
	s_waitcnt vmcnt(0) lgkmcnt(0)
	v_mul_f64 v[38:39], v[180:181], v[176:177]
	v_mul_f64 v[176:177], v[178:179], v[176:177]
	v_fma_f64 v[38:39], v[178:179], v[174:175], -v[38:39]
	v_fmac_f64_e32 v[176:177], v[180:181], v[174:175]
	v_add_f64 v[2:3], v[2:3], v[38:39]
	v_add_f64 v[4:5], v[4:5], v[176:177]
	s_andn2_b64 exec, exec, s[2:3]
	s_cbranch_execnz .LBB54_24
; %bb.25:
	s_or_b64 exec, exec, s[2:3]
.LBB54_26:
	s_or_b64 exec, exec, s[8:9]
	v_mov_b32_e32 v6, 0
	ds_read_b128 v[174:177], v6 offset:816
	s_waitcnt lgkmcnt(0)
	v_mul_f64 v[6:7], v[4:5], v[176:177]
	v_mul_f64 v[178:179], v[2:3], v[176:177]
	v_fma_f64 v[176:177], v[2:3], v[174:175], -v[6:7]
	v_fmac_f64_e32 v[178:179], v[4:5], v[174:175]
	scratch_store_dwordx4 off, v[176:179], off offset:816
.LBB54_27:
	s_or_b64 exec, exec, s[4:5]
	scratch_load_dwordx4 v[2:5], v124, off
	v_cmp_lt_u32_e64 s[2:3], 50, v0
	s_waitcnt vmcnt(0)
	ds_write_b128 v9, v[2:5]
	s_waitcnt lgkmcnt(0)
	; wave barrier
	s_waitcnt lgkmcnt(0)
	s_and_saveexec_b64 s[4:5], s[2:3]
	s_cbranch_execz .LBB54_35
; %bb.28:
	ds_read_b128 v[2:5], v9
	s_andn2_b64 vcc, exec, s[6:7]
	s_cbranch_vccnz .LBB54_30
; %bb.29:
	scratch_load_dwordx4 v[174:177], v8, off
	s_waitcnt vmcnt(0) lgkmcnt(0)
	v_mul_f64 v[38:39], v[2:3], v[176:177]
	v_mul_f64 v[6:7], v[4:5], v[176:177]
	v_fmac_f64_e32 v[38:39], v[4:5], v[174:175]
	v_fma_f64 v[2:3], v[2:3], v[174:175], -v[6:7]
	v_mov_b64_e32 v[4:5], v[38:39]
.LBB54_30:
	s_and_saveexec_b64 s[8:9], s[0:1]
	s_cbranch_execz .LBB54_34
; %bb.31:
	v_mov_b32_e32 v7, 0
	v_subrev_u32_e32 v6, 51, v0
	v_add_u32_e32 v7, 0x338, v7
	s_movk_i32 s10, 0x6a0
	s_mov_b64 s[0:1], 0
.LBB54_32:                              ; =>This Inner Loop Header: Depth=1
	v_add_u32_e32 v38, -8, v7
	scratch_load_dwordx4 v[174:177], v38, off
	v_mov_b32_e32 v38, s10
	ds_read_b128 v[178:181], v38
	v_add_u32_e32 v6, -1, v6
	s_add_i32 s10, s10, 16
	v_cmp_eq_u32_e32 vcc, 0, v6
	v_add_u32_e32 v7, 16, v7
	s_or_b64 s[0:1], vcc, s[0:1]
	s_waitcnt vmcnt(0) lgkmcnt(0)
	v_mul_f64 v[38:39], v[180:181], v[176:177]
	v_mul_f64 v[176:177], v[178:179], v[176:177]
	v_fma_f64 v[38:39], v[178:179], v[174:175], -v[38:39]
	v_fmac_f64_e32 v[176:177], v[180:181], v[174:175]
	v_add_f64 v[2:3], v[2:3], v[38:39]
	v_add_f64 v[4:5], v[4:5], v[176:177]
	s_andn2_b64 exec, exec, s[0:1]
	s_cbranch_execnz .LBB54_32
; %bb.33:
	s_or_b64 exec, exec, s[0:1]
.LBB54_34:
	s_or_b64 exec, exec, s[8:9]
	v_mov_b32_e32 v6, 0
	ds_read_b128 v[174:177], v6 offset:800
	s_waitcnt lgkmcnt(0)
	v_mul_f64 v[6:7], v[4:5], v[176:177]
	v_mul_f64 v[178:179], v[2:3], v[176:177]
	v_fma_f64 v[176:177], v[2:3], v[174:175], -v[6:7]
	v_fmac_f64_e32 v[178:179], v[4:5], v[174:175]
	scratch_store_dwordx4 off, v[176:179], off offset:800
.LBB54_35:
	;; [unrolled: 63-line block ×10, first 2 shown]
	s_or_b64 exec, exec, s[4:5]
	scratch_load_dwordx4 v[2:5], v133, off
	v_cmp_lt_u32_e64 s[0:1], 41, v0
	s_waitcnt vmcnt(0)
	ds_write_b128 v9, v[2:5]
	s_waitcnt lgkmcnt(0)
	; wave barrier
	s_waitcnt lgkmcnt(0)
	s_and_saveexec_b64 s[4:5], s[0:1]
	s_cbranch_execz .LBB54_107
; %bb.100:
	ds_read_b128 v[2:5], v9
	s_andn2_b64 vcc, exec, s[6:7]
	s_cbranch_vccnz .LBB54_102
; %bb.101:
	scratch_load_dwordx4 v[174:177], v8, off
	s_waitcnt vmcnt(0) lgkmcnt(0)
	v_mul_f64 v[38:39], v[2:3], v[176:177]
	v_mul_f64 v[6:7], v[4:5], v[176:177]
	v_fmac_f64_e32 v[38:39], v[4:5], v[174:175]
	v_fma_f64 v[2:3], v[2:3], v[174:175], -v[6:7]
	v_mov_b64_e32 v[4:5], v[38:39]
.LBB54_102:
	s_and_saveexec_b64 s[8:9], s[2:3]
	s_cbranch_execz .LBB54_106
; %bb.103:
	v_mov_b32_e32 v7, 0
	v_subrev_u32_e32 v6, 42, v0
	v_add_u32_e32 v7, 0x2a8, v7
	s_movk_i32 s10, 0x610
	s_mov_b64 s[2:3], 0
.LBB54_104:                             ; =>This Inner Loop Header: Depth=1
	v_add_u32_e32 v38, -8, v7
	scratch_load_dwordx4 v[174:177], v38, off
	v_mov_b32_e32 v38, s10
	ds_read_b128 v[178:181], v38
	v_add_u32_e32 v6, -1, v6
	s_add_i32 s10, s10, 16
	v_cmp_eq_u32_e32 vcc, 0, v6
	v_add_u32_e32 v7, 16, v7
	s_or_b64 s[2:3], vcc, s[2:3]
	s_waitcnt vmcnt(0) lgkmcnt(0)
	v_mul_f64 v[38:39], v[180:181], v[176:177]
	v_mul_f64 v[176:177], v[178:179], v[176:177]
	v_fma_f64 v[38:39], v[178:179], v[174:175], -v[38:39]
	v_fmac_f64_e32 v[176:177], v[180:181], v[174:175]
	v_add_f64 v[2:3], v[2:3], v[38:39]
	v_add_f64 v[4:5], v[4:5], v[176:177]
	s_andn2_b64 exec, exec, s[2:3]
	s_cbranch_execnz .LBB54_104
; %bb.105:
	s_or_b64 exec, exec, s[2:3]
.LBB54_106:
	s_or_b64 exec, exec, s[8:9]
	v_mov_b32_e32 v6, 0
	ds_read_b128 v[174:177], v6 offset:656
	s_waitcnt lgkmcnt(0)
	v_mul_f64 v[6:7], v[4:5], v[176:177]
	v_mul_f64 v[178:179], v[2:3], v[176:177]
	v_fma_f64 v[176:177], v[2:3], v[174:175], -v[6:7]
	v_fmac_f64_e32 v[178:179], v[4:5], v[174:175]
	scratch_store_dwordx4 off, v[176:179], off offset:656
.LBB54_107:
	s_or_b64 exec, exec, s[4:5]
	scratch_load_dwordx4 v[2:5], v134, off
	v_cmp_lt_u32_e64 s[2:3], 40, v0
	s_waitcnt vmcnt(0)
	ds_write_b128 v9, v[2:5]
	s_waitcnt lgkmcnt(0)
	; wave barrier
	s_waitcnt lgkmcnt(0)
	s_and_saveexec_b64 s[4:5], s[2:3]
	s_cbranch_execz .LBB54_115
; %bb.108:
	ds_read_b128 v[2:5], v9
	s_andn2_b64 vcc, exec, s[6:7]
	s_cbranch_vccnz .LBB54_110
; %bb.109:
	scratch_load_dwordx4 v[174:177], v8, off
	s_waitcnt vmcnt(0) lgkmcnt(0)
	v_mul_f64 v[38:39], v[2:3], v[176:177]
	v_mul_f64 v[6:7], v[4:5], v[176:177]
	v_fmac_f64_e32 v[38:39], v[4:5], v[174:175]
	v_fma_f64 v[2:3], v[2:3], v[174:175], -v[6:7]
	v_mov_b64_e32 v[4:5], v[38:39]
.LBB54_110:
	s_and_saveexec_b64 s[8:9], s[0:1]
	s_cbranch_execz .LBB54_114
; %bb.111:
	v_mov_b32_e32 v7, 0
	v_subrev_u32_e32 v6, 41, v0
	v_add_u32_e32 v7, 0x298, v7
	s_movk_i32 s10, 0x600
	s_mov_b64 s[0:1], 0
.LBB54_112:                             ; =>This Inner Loop Header: Depth=1
	v_add_u32_e32 v38, -8, v7
	scratch_load_dwordx4 v[174:177], v38, off
	v_mov_b32_e32 v38, s10
	ds_read_b128 v[178:181], v38
	v_add_u32_e32 v6, -1, v6
	s_add_i32 s10, s10, 16
	v_cmp_eq_u32_e32 vcc, 0, v6
	v_add_u32_e32 v7, 16, v7
	s_or_b64 s[0:1], vcc, s[0:1]
	s_waitcnt vmcnt(0) lgkmcnt(0)
	v_mul_f64 v[38:39], v[180:181], v[176:177]
	v_mul_f64 v[176:177], v[178:179], v[176:177]
	v_fma_f64 v[38:39], v[178:179], v[174:175], -v[38:39]
	v_fmac_f64_e32 v[176:177], v[180:181], v[174:175]
	v_add_f64 v[2:3], v[2:3], v[38:39]
	v_add_f64 v[4:5], v[4:5], v[176:177]
	s_andn2_b64 exec, exec, s[0:1]
	s_cbranch_execnz .LBB54_112
; %bb.113:
	s_or_b64 exec, exec, s[0:1]
.LBB54_114:
	s_or_b64 exec, exec, s[8:9]
	v_mov_b32_e32 v6, 0
	ds_read_b128 v[174:177], v6 offset:640
	s_waitcnt lgkmcnt(0)
	v_mul_f64 v[6:7], v[4:5], v[176:177]
	v_mul_f64 v[178:179], v[2:3], v[176:177]
	v_fma_f64 v[176:177], v[2:3], v[174:175], -v[6:7]
	v_fmac_f64_e32 v[178:179], v[4:5], v[174:175]
	scratch_store_dwordx4 off, v[176:179], off offset:640
.LBB54_115:
	;; [unrolled: 63-line block ×26, first 2 shown]
	s_or_b64 exec, exec, s[4:5]
	scratch_load_dwordx4 v[2:5], v159, off
	v_cmp_lt_u32_e64 s[0:1], 15, v0
	s_waitcnt vmcnt(0)
	ds_write_b128 v9, v[2:5]
	s_waitcnt lgkmcnt(0)
	; wave barrier
	s_waitcnt lgkmcnt(0)
	s_and_saveexec_b64 s[4:5], s[0:1]
	s_cbranch_execz .LBB54_315
; %bb.308:
	ds_read_b128 v[2:5], v9
	s_andn2_b64 vcc, exec, s[6:7]
	s_cbranch_vccnz .LBB54_310
; %bb.309:
	scratch_load_dwordx4 v[174:177], v8, off
	s_waitcnt vmcnt(0) lgkmcnt(0)
	v_mul_f64 v[38:39], v[2:3], v[176:177]
	v_mul_f64 v[6:7], v[4:5], v[176:177]
	v_fmac_f64_e32 v[38:39], v[4:5], v[174:175]
	v_fma_f64 v[2:3], v[2:3], v[174:175], -v[6:7]
	v_mov_b64_e32 v[4:5], v[38:39]
.LBB54_310:
	s_and_saveexec_b64 s[8:9], s[2:3]
	s_cbranch_execz .LBB54_314
; %bb.311:
	v_mov_b32_e32 v7, 0
	v_add_u32_e32 v6, -16, v0
	v_add_u32_e32 v7, 0x108, v7
	s_movk_i32 s10, 0x470
	s_mov_b64 s[2:3], 0
.LBB54_312:                             ; =>This Inner Loop Header: Depth=1
	v_add_u32_e32 v38, -8, v7
	scratch_load_dwordx4 v[174:177], v38, off
	v_mov_b32_e32 v38, s10
	ds_read_b128 v[178:181], v38
	v_add_u32_e32 v6, -1, v6
	s_add_i32 s10, s10, 16
	v_cmp_eq_u32_e32 vcc, 0, v6
	v_add_u32_e32 v7, 16, v7
	s_or_b64 s[2:3], vcc, s[2:3]
	s_waitcnt vmcnt(0) lgkmcnt(0)
	v_mul_f64 v[38:39], v[180:181], v[176:177]
	v_mul_f64 v[176:177], v[178:179], v[176:177]
	v_fma_f64 v[38:39], v[178:179], v[174:175], -v[38:39]
	v_fmac_f64_e32 v[176:177], v[180:181], v[174:175]
	v_add_f64 v[2:3], v[2:3], v[38:39]
	v_add_f64 v[4:5], v[4:5], v[176:177]
	s_andn2_b64 exec, exec, s[2:3]
	s_cbranch_execnz .LBB54_312
; %bb.313:
	s_or_b64 exec, exec, s[2:3]
.LBB54_314:
	s_or_b64 exec, exec, s[8:9]
	v_mov_b32_e32 v6, 0
	ds_read_b128 v[174:177], v6 offset:240
	s_waitcnt lgkmcnt(0)
	v_mul_f64 v[6:7], v[4:5], v[176:177]
	v_mul_f64 v[178:179], v[2:3], v[176:177]
	v_fma_f64 v[176:177], v[2:3], v[174:175], -v[6:7]
	v_fmac_f64_e32 v[178:179], v[4:5], v[174:175]
	scratch_store_dwordx4 off, v[176:179], off offset:240
.LBB54_315:
	s_or_b64 exec, exec, s[4:5]
	scratch_load_dwordx4 v[2:5], v160, off
	v_cmp_lt_u32_e64 s[2:3], 14, v0
	s_waitcnt vmcnt(0)
	ds_write_b128 v9, v[2:5]
	s_waitcnt lgkmcnt(0)
	; wave barrier
	s_waitcnt lgkmcnt(0)
	s_and_saveexec_b64 s[4:5], s[2:3]
	s_cbranch_execz .LBB54_323
; %bb.316:
	ds_read_b128 v[2:5], v9
	s_andn2_b64 vcc, exec, s[6:7]
	s_cbranch_vccnz .LBB54_318
; %bb.317:
	scratch_load_dwordx4 v[174:177], v8, off
	s_waitcnt vmcnt(0) lgkmcnt(0)
	v_mul_f64 v[38:39], v[2:3], v[176:177]
	v_mul_f64 v[6:7], v[4:5], v[176:177]
	v_fmac_f64_e32 v[38:39], v[4:5], v[174:175]
	v_fma_f64 v[2:3], v[2:3], v[174:175], -v[6:7]
	v_mov_b64_e32 v[4:5], v[38:39]
.LBB54_318:
	s_and_saveexec_b64 s[8:9], s[0:1]
	s_cbranch_execz .LBB54_322
; %bb.319:
	v_mov_b32_e32 v7, 0
	v_add_u32_e32 v6, -15, v0
	v_add_u32_e32 v7, 0xf8, v7
	s_movk_i32 s10, 0x460
	s_mov_b64 s[0:1], 0
.LBB54_320:                             ; =>This Inner Loop Header: Depth=1
	v_add_u32_e32 v38, -8, v7
	scratch_load_dwordx4 v[174:177], v38, off
	v_mov_b32_e32 v38, s10
	ds_read_b128 v[178:181], v38
	v_add_u32_e32 v6, -1, v6
	s_add_i32 s10, s10, 16
	v_cmp_eq_u32_e32 vcc, 0, v6
	v_add_u32_e32 v7, 16, v7
	s_or_b64 s[0:1], vcc, s[0:1]
	s_waitcnt vmcnt(0) lgkmcnt(0)
	v_mul_f64 v[38:39], v[180:181], v[176:177]
	v_mul_f64 v[176:177], v[178:179], v[176:177]
	v_fma_f64 v[38:39], v[178:179], v[174:175], -v[38:39]
	v_fmac_f64_e32 v[176:177], v[180:181], v[174:175]
	v_add_f64 v[2:3], v[2:3], v[38:39]
	v_add_f64 v[4:5], v[4:5], v[176:177]
	s_andn2_b64 exec, exec, s[0:1]
	s_cbranch_execnz .LBB54_320
; %bb.321:
	s_or_b64 exec, exec, s[0:1]
.LBB54_322:
	s_or_b64 exec, exec, s[8:9]
	v_mov_b32_e32 v6, 0
	ds_read_b128 v[174:177], v6 offset:224
	s_waitcnt lgkmcnt(0)
	v_mul_f64 v[6:7], v[4:5], v[176:177]
	v_mul_f64 v[178:179], v[2:3], v[176:177]
	v_fma_f64 v[176:177], v[2:3], v[174:175], -v[6:7]
	v_fmac_f64_e32 v[178:179], v[4:5], v[174:175]
	scratch_store_dwordx4 off, v[176:179], off offset:224
.LBB54_323:
	;; [unrolled: 63-line block ×15, first 2 shown]
	s_or_b64 exec, exec, s[4:5]
	scratch_load_dwordx4 v[2:5], off, off
	v_cmp_ne_u32_e32 vcc, 0, v0
	s_mov_b64 s[2:3], 0
	s_mov_b64 s[4:5], 0
                                        ; implicit-def: $vgpr6_vgpr7
                                        ; implicit-def: $vgpr174
	s_waitcnt vmcnt(0)
	ds_write_b128 v9, v[2:5]
	s_waitcnt lgkmcnt(0)
	; wave barrier
	s_waitcnt lgkmcnt(0)
	s_and_saveexec_b64 s[8:9], vcc
	s_cbranch_execz .LBB54_435
; %bb.428:
	ds_read_b128 v[2:5], v9
	s_andn2_b64 vcc, exec, s[6:7]
	s_cbranch_vccnz .LBB54_430
; %bb.429:
	scratch_load_dwordx4 v[174:177], v8, off
	s_waitcnt vmcnt(0) lgkmcnt(0)
	v_mul_f64 v[38:39], v[2:3], v[176:177]
	v_mul_f64 v[6:7], v[4:5], v[176:177]
	v_fmac_f64_e32 v[38:39], v[4:5], v[174:175]
	v_fma_f64 v[2:3], v[2:3], v[174:175], -v[6:7]
	v_mov_b64_e32 v[4:5], v[38:39]
.LBB54_430:
	s_and_saveexec_b64 s[4:5], s[0:1]
	s_cbranch_execz .LBB54_434
; %bb.431:
	v_mov_b32_e32 v7, 0
	v_add_u32_e32 v6, -1, v0
	v_add_u32_e32 v7, 24, v7
	s_movk_i32 s10, 0x380
	s_mov_b64 s[0:1], 0
.LBB54_432:                             ; =>This Inner Loop Header: Depth=1
	v_add_u32_e32 v38, -8, v7
	scratch_load_dwordx4 v[174:177], v38, off
	v_mov_b32_e32 v38, s10
	ds_read_b128 v[178:181], v38
	v_add_u32_e32 v6, -1, v6
	s_add_i32 s10, s10, 16
	v_cmp_eq_u32_e32 vcc, 0, v6
	v_add_u32_e32 v7, 16, v7
	s_or_b64 s[0:1], vcc, s[0:1]
	s_waitcnt vmcnt(0) lgkmcnt(0)
	v_mul_f64 v[38:39], v[180:181], v[176:177]
	v_mul_f64 v[176:177], v[178:179], v[176:177]
	v_fma_f64 v[38:39], v[178:179], v[174:175], -v[38:39]
	v_fmac_f64_e32 v[176:177], v[180:181], v[174:175]
	v_add_f64 v[2:3], v[2:3], v[38:39]
	v_add_f64 v[4:5], v[4:5], v[176:177]
	s_andn2_b64 exec, exec, s[0:1]
	s_cbranch_execnz .LBB54_432
; %bb.433:
	s_or_b64 exec, exec, s[0:1]
.LBB54_434:
	s_or_b64 exec, exec, s[4:5]
	v_mov_b32_e32 v6, 0
	ds_read_b128 v[176:179], v6
	v_mov_b32_e32 v6, 0
	v_or_b32_e32 v174, 8, v6
	s_mov_b64 s[4:5], exec
	s_waitcnt lgkmcnt(0)
	v_mul_f64 v[38:39], v[4:5], v[178:179]
	v_mul_f64 v[6:7], v[2:3], v[178:179]
	v_fma_f64 v[2:3], v[2:3], v[176:177], -v[38:39]
	v_fmac_f64_e32 v[6:7], v[4:5], v[176:177]
	scratch_store_dwordx2 off, v[2:3], off
.LBB54_435:
	s_or_b64 exec, exec, s[8:9]
	s_and_b64 vcc, exec, s[2:3]
	s_cbranch_vccnz .LBB54_437
	s_branch .LBB54_864
.LBB54_436:
	s_mov_b64 s[4:5], 0
                                        ; implicit-def: $vgpr6_vgpr7
                                        ; implicit-def: $vgpr174
	s_cbranch_execz .LBB54_864
.LBB54_437:
	scratch_load_dwordx4 v[2:5], v173, off
	v_cndmask_b32_e64 v6, 0, 1, s[6:7]
	v_cmp_eq_u32_e64 s[2:3], 0, v0
	v_cmp_ne_u32_e64 s[0:1], 1, v6
	s_waitcnt vmcnt(0)
	ds_write_b128 v9, v[2:5]
	s_waitcnt lgkmcnt(0)
	; wave barrier
	s_waitcnt lgkmcnt(0)
	s_and_saveexec_b64 s[6:7], s[2:3]
	s_cbranch_execz .LBB54_441
; %bb.438:
	ds_read_b128 v[2:5], v9
	s_and_b64 vcc, exec, s[0:1]
	s_cbranch_vccnz .LBB54_440
; %bb.439:
	scratch_load_dwordx4 v[174:177], v8, off
	s_waitcnt vmcnt(0) lgkmcnt(0)
	v_mul_f64 v[38:39], v[2:3], v[176:177]
	v_mul_f64 v[6:7], v[4:5], v[176:177]
	v_fmac_f64_e32 v[38:39], v[4:5], v[174:175]
	v_fma_f64 v[2:3], v[2:3], v[174:175], -v[6:7]
	v_mov_b64_e32 v[4:5], v[38:39]
.LBB54_440:
	v_mov_b32_e32 v6, 0
	ds_read_b128 v[174:177], v6 offset:16
	s_waitcnt lgkmcnt(0)
	v_mul_f64 v[6:7], v[4:5], v[176:177]
	v_mul_f64 v[178:179], v[2:3], v[176:177]
	v_fma_f64 v[176:177], v[2:3], v[174:175], -v[6:7]
	v_fmac_f64_e32 v[178:179], v[4:5], v[174:175]
	scratch_store_dwordx4 off, v[176:179], off offset:16
.LBB54_441:
	s_or_b64 exec, exec, s[6:7]
	scratch_load_dwordx4 v[2:5], v172, off
	v_cmp_gt_u32_e32 vcc, 2, v0
	s_waitcnt vmcnt(0)
	ds_write_b128 v9, v[2:5]
	s_waitcnt lgkmcnt(0)
	; wave barrier
	s_waitcnt lgkmcnt(0)
	s_and_saveexec_b64 s[6:7], vcc
	s_cbranch_execz .LBB54_447
; %bb.442:
	ds_read_b128 v[2:5], v9
	s_and_b64 vcc, exec, s[0:1]
	s_cbranch_vccnz .LBB54_444
; %bb.443:
	scratch_load_dwordx4 v[174:177], v8, off
	s_waitcnt vmcnt(0) lgkmcnt(0)
	v_mul_f64 v[38:39], v[2:3], v[176:177]
	v_mul_f64 v[6:7], v[4:5], v[176:177]
	v_fmac_f64_e32 v[38:39], v[4:5], v[174:175]
	v_fma_f64 v[2:3], v[2:3], v[174:175], -v[6:7]
	v_mov_b64_e32 v[4:5], v[38:39]
.LBB54_444:
	s_and_saveexec_b64 s[8:9], s[2:3]
	s_cbranch_execz .LBB54_446
; %bb.445:
	scratch_load_dwordx4 v[174:177], v8, off offset:16
	ds_read_b128 v[178:181], v9 offset:16
	s_waitcnt vmcnt(0) lgkmcnt(0)
	v_mul_f64 v[6:7], v[180:181], v[176:177]
	v_mul_f64 v[38:39], v[178:179], v[176:177]
	v_fma_f64 v[6:7], v[178:179], v[174:175], -v[6:7]
	v_fmac_f64_e32 v[38:39], v[180:181], v[174:175]
	v_add_f64 v[2:3], v[2:3], v[6:7]
	v_add_f64 v[4:5], v[4:5], v[38:39]
.LBB54_446:
	s_or_b64 exec, exec, s[8:9]
	v_mov_b32_e32 v6, 0
	ds_read_b128 v[174:177], v6 offset:32
	s_waitcnt lgkmcnt(0)
	v_mul_f64 v[6:7], v[4:5], v[176:177]
	v_mul_f64 v[178:179], v[2:3], v[176:177]
	v_fma_f64 v[176:177], v[2:3], v[174:175], -v[6:7]
	v_fmac_f64_e32 v[178:179], v[4:5], v[174:175]
	scratch_store_dwordx4 off, v[176:179], off offset:32
.LBB54_447:
	s_or_b64 exec, exec, s[6:7]
	scratch_load_dwordx4 v[2:5], v171, off
	v_cmp_gt_u32_e32 vcc, 3, v0
	s_waitcnt vmcnt(0)
	ds_write_b128 v9, v[2:5]
	s_waitcnt lgkmcnt(0)
	; wave barrier
	s_waitcnt lgkmcnt(0)
	s_and_saveexec_b64 s[6:7], vcc
	s_cbranch_execz .LBB54_455
; %bb.448:
	ds_read_b128 v[2:5], v9
	s_and_b64 vcc, exec, s[0:1]
	s_cbranch_vccnz .LBB54_450
; %bb.449:
	scratch_load_dwordx4 v[174:177], v8, off
	s_waitcnt vmcnt(0) lgkmcnt(0)
	v_mul_f64 v[38:39], v[2:3], v[176:177]
	v_mul_f64 v[6:7], v[4:5], v[176:177]
	v_fmac_f64_e32 v[38:39], v[4:5], v[174:175]
	v_fma_f64 v[2:3], v[2:3], v[174:175], -v[6:7]
	v_mov_b64_e32 v[4:5], v[38:39]
.LBB54_450:
	v_cmp_ne_u32_e32 vcc, 2, v0
	s_and_saveexec_b64 s[8:9], vcc
	s_cbranch_execz .LBB54_454
; %bb.451:
	scratch_load_dwordx4 v[174:177], v8, off offset:16
	ds_read_b128 v[178:181], v9 offset:16
	s_waitcnt vmcnt(0) lgkmcnt(0)
	v_mul_f64 v[6:7], v[180:181], v[176:177]
	v_mul_f64 v[38:39], v[178:179], v[176:177]
	v_fma_f64 v[6:7], v[178:179], v[174:175], -v[6:7]
	v_fmac_f64_e32 v[38:39], v[180:181], v[174:175]
	v_add_f64 v[2:3], v[2:3], v[6:7]
	v_add_f64 v[4:5], v[4:5], v[38:39]
	s_and_saveexec_b64 s[10:11], s[2:3]
	s_cbranch_execz .LBB54_453
; %bb.452:
	scratch_load_dwordx4 v[174:177], off, off offset:32
	v_mov_b32_e32 v6, 0
	ds_read_b128 v[178:181], v6 offset:912
	s_waitcnt vmcnt(0) lgkmcnt(0)
	v_mul_f64 v[6:7], v[178:179], v[176:177]
	v_mul_f64 v[38:39], v[180:181], v[176:177]
	v_fmac_f64_e32 v[6:7], v[180:181], v[174:175]
	v_fma_f64 v[38:39], v[178:179], v[174:175], -v[38:39]
	v_add_f64 v[4:5], v[4:5], v[6:7]
	v_add_f64 v[2:3], v[2:3], v[38:39]
.LBB54_453:
	s_or_b64 exec, exec, s[10:11]
.LBB54_454:
	s_or_b64 exec, exec, s[8:9]
	v_mov_b32_e32 v6, 0
	ds_read_b128 v[174:177], v6 offset:48
	s_waitcnt lgkmcnt(0)
	v_mul_f64 v[6:7], v[4:5], v[176:177]
	v_mul_f64 v[178:179], v[2:3], v[176:177]
	v_fma_f64 v[176:177], v[2:3], v[174:175], -v[6:7]
	v_fmac_f64_e32 v[178:179], v[4:5], v[174:175]
	scratch_store_dwordx4 off, v[176:179], off offset:48
.LBB54_455:
	s_or_b64 exec, exec, s[6:7]
	scratch_load_dwordx4 v[2:5], v170, off
	v_cmp_gt_u32_e32 vcc, 4, v0
	s_waitcnt vmcnt(0)
	ds_write_b128 v9, v[2:5]
	s_waitcnt lgkmcnt(0)
	; wave barrier
	s_waitcnt lgkmcnt(0)
	s_and_saveexec_b64 s[2:3], vcc
	s_cbranch_execz .LBB54_463
; %bb.456:
	ds_read_b128 v[2:5], v9
	s_and_b64 vcc, exec, s[0:1]
	s_cbranch_vccnz .LBB54_458
; %bb.457:
	scratch_load_dwordx4 v[174:177], v8, off
	s_waitcnt vmcnt(0) lgkmcnt(0)
	v_mul_f64 v[38:39], v[2:3], v[176:177]
	v_mul_f64 v[6:7], v[4:5], v[176:177]
	v_fmac_f64_e32 v[38:39], v[4:5], v[174:175]
	v_fma_f64 v[2:3], v[2:3], v[174:175], -v[6:7]
	v_mov_b64_e32 v[4:5], v[38:39]
.LBB54_458:
	v_cmp_ne_u32_e32 vcc, 3, v0
	s_and_saveexec_b64 s[6:7], vcc
	s_cbranch_execz .LBB54_462
; %bb.459:
	v_mov_b32_e32 v7, 0
	v_add_u32_e32 v6, 0x380, v66
	v_add3_u32 v7, v66, v7, 24
	s_mov_b64 s[8:9], 0
	v_mov_b32_e32 v174, v0
.LBB54_460:                             ; =>This Inner Loop Header: Depth=1
	v_add_u32_e32 v38, -8, v7
	scratch_load_dwordx4 v[176:179], v38, off
	ds_read_b128 v[180:183], v6
	v_add_u32_e32 v174, 1, v174
	v_cmp_lt_u32_e32 vcc, 2, v174
	v_add_u32_e32 v6, 16, v6
	v_add_u32_e32 v7, 16, v7
	s_or_b64 s[8:9], vcc, s[8:9]
	s_waitcnt vmcnt(0) lgkmcnt(0)
	v_mul_f64 v[38:39], v[182:183], v[178:179]
	v_mul_f64 v[178:179], v[180:181], v[178:179]
	v_fma_f64 v[38:39], v[180:181], v[176:177], -v[38:39]
	v_fmac_f64_e32 v[178:179], v[182:183], v[176:177]
	v_add_f64 v[2:3], v[2:3], v[38:39]
	v_add_f64 v[4:5], v[4:5], v[178:179]
	s_andn2_b64 exec, exec, s[8:9]
	s_cbranch_execnz .LBB54_460
; %bb.461:
	s_or_b64 exec, exec, s[8:9]
.LBB54_462:
	s_or_b64 exec, exec, s[6:7]
	v_mov_b32_e32 v6, 0
	ds_read_b128 v[174:177], v6 offset:64
	s_waitcnt lgkmcnt(0)
	v_mul_f64 v[6:7], v[4:5], v[176:177]
	v_mul_f64 v[178:179], v[2:3], v[176:177]
	v_fma_f64 v[176:177], v[2:3], v[174:175], -v[6:7]
	v_fmac_f64_e32 v[178:179], v[4:5], v[174:175]
	scratch_store_dwordx4 off, v[176:179], off offset:64
.LBB54_463:
	s_or_b64 exec, exec, s[2:3]
	scratch_load_dwordx4 v[2:5], v169, off
	v_cmp_gt_u32_e32 vcc, 5, v0
	s_waitcnt vmcnt(0)
	ds_write_b128 v9, v[2:5]
	s_waitcnt lgkmcnt(0)
	; wave barrier
	s_waitcnt lgkmcnt(0)
	s_and_saveexec_b64 s[2:3], vcc
	s_cbranch_execz .LBB54_471
; %bb.464:
	ds_read_b128 v[2:5], v9
	s_and_b64 vcc, exec, s[0:1]
	s_cbranch_vccnz .LBB54_466
; %bb.465:
	scratch_load_dwordx4 v[174:177], v8, off
	s_waitcnt vmcnt(0) lgkmcnt(0)
	v_mul_f64 v[38:39], v[2:3], v[176:177]
	v_mul_f64 v[6:7], v[4:5], v[176:177]
	v_fmac_f64_e32 v[38:39], v[4:5], v[174:175]
	v_fma_f64 v[2:3], v[2:3], v[174:175], -v[6:7]
	v_mov_b64_e32 v[4:5], v[38:39]
.LBB54_466:
	v_cmp_ne_u32_e32 vcc, 4, v0
	s_and_saveexec_b64 s[6:7], vcc
	s_cbranch_execz .LBB54_470
; %bb.467:
	v_mov_b32_e32 v7, 0
	v_add_u32_e32 v6, 0x380, v66
	v_add3_u32 v7, v66, v7, 24
	s_mov_b64 s[8:9], 0
	v_mov_b32_e32 v174, v0
.LBB54_468:                             ; =>This Inner Loop Header: Depth=1
	v_add_u32_e32 v38, -8, v7
	scratch_load_dwordx4 v[176:179], v38, off
	ds_read_b128 v[180:183], v6
	v_add_u32_e32 v174, 1, v174
	v_cmp_lt_u32_e32 vcc, 3, v174
	v_add_u32_e32 v6, 16, v6
	v_add_u32_e32 v7, 16, v7
	s_or_b64 s[8:9], vcc, s[8:9]
	s_waitcnt vmcnt(0) lgkmcnt(0)
	v_mul_f64 v[38:39], v[182:183], v[178:179]
	v_mul_f64 v[178:179], v[180:181], v[178:179]
	v_fma_f64 v[38:39], v[180:181], v[176:177], -v[38:39]
	v_fmac_f64_e32 v[178:179], v[182:183], v[176:177]
	v_add_f64 v[2:3], v[2:3], v[38:39]
	v_add_f64 v[4:5], v[4:5], v[178:179]
	s_andn2_b64 exec, exec, s[8:9]
	s_cbranch_execnz .LBB54_468
; %bb.469:
	s_or_b64 exec, exec, s[8:9]
.LBB54_470:
	s_or_b64 exec, exec, s[6:7]
	v_mov_b32_e32 v6, 0
	ds_read_b128 v[174:177], v6 offset:80
	s_waitcnt lgkmcnt(0)
	v_mul_f64 v[6:7], v[4:5], v[176:177]
	v_mul_f64 v[178:179], v[2:3], v[176:177]
	v_fma_f64 v[176:177], v[2:3], v[174:175], -v[6:7]
	v_fmac_f64_e32 v[178:179], v[4:5], v[174:175]
	scratch_store_dwordx4 off, v[176:179], off offset:80
.LBB54_471:
	s_or_b64 exec, exec, s[2:3]
	scratch_load_dwordx4 v[2:5], v168, off
	v_cmp_gt_u32_e32 vcc, 6, v0
	s_waitcnt vmcnt(0)
	ds_write_b128 v9, v[2:5]
	s_waitcnt lgkmcnt(0)
	; wave barrier
	s_waitcnt lgkmcnt(0)
	s_and_saveexec_b64 s[2:3], vcc
	s_cbranch_execz .LBB54_479
; %bb.472:
	ds_read_b128 v[2:5], v9
	s_and_b64 vcc, exec, s[0:1]
	s_cbranch_vccnz .LBB54_474
; %bb.473:
	scratch_load_dwordx4 v[174:177], v8, off
	s_waitcnt vmcnt(0) lgkmcnt(0)
	v_mul_f64 v[38:39], v[2:3], v[176:177]
	v_mul_f64 v[6:7], v[4:5], v[176:177]
	v_fmac_f64_e32 v[38:39], v[4:5], v[174:175]
	v_fma_f64 v[2:3], v[2:3], v[174:175], -v[6:7]
	v_mov_b64_e32 v[4:5], v[38:39]
.LBB54_474:
	v_cmp_ne_u32_e32 vcc, 5, v0
	s_and_saveexec_b64 s[6:7], vcc
	s_cbranch_execz .LBB54_478
; %bb.475:
	v_mov_b32_e32 v7, 0
	v_add_u32_e32 v6, 0x380, v66
	v_add3_u32 v7, v66, v7, 24
	s_mov_b64 s[8:9], 0
	v_mov_b32_e32 v174, v0
.LBB54_476:                             ; =>This Inner Loop Header: Depth=1
	v_add_u32_e32 v38, -8, v7
	scratch_load_dwordx4 v[176:179], v38, off
	ds_read_b128 v[180:183], v6
	v_add_u32_e32 v174, 1, v174
	v_cmp_lt_u32_e32 vcc, 4, v174
	v_add_u32_e32 v6, 16, v6
	v_add_u32_e32 v7, 16, v7
	s_or_b64 s[8:9], vcc, s[8:9]
	s_waitcnt vmcnt(0) lgkmcnt(0)
	v_mul_f64 v[38:39], v[182:183], v[178:179]
	v_mul_f64 v[178:179], v[180:181], v[178:179]
	v_fma_f64 v[38:39], v[180:181], v[176:177], -v[38:39]
	v_fmac_f64_e32 v[178:179], v[182:183], v[176:177]
	v_add_f64 v[2:3], v[2:3], v[38:39]
	v_add_f64 v[4:5], v[4:5], v[178:179]
	s_andn2_b64 exec, exec, s[8:9]
	s_cbranch_execnz .LBB54_476
; %bb.477:
	s_or_b64 exec, exec, s[8:9]
.LBB54_478:
	s_or_b64 exec, exec, s[6:7]
	v_mov_b32_e32 v6, 0
	ds_read_b128 v[174:177], v6 offset:96
	s_waitcnt lgkmcnt(0)
	v_mul_f64 v[6:7], v[4:5], v[176:177]
	v_mul_f64 v[178:179], v[2:3], v[176:177]
	v_fma_f64 v[176:177], v[2:3], v[174:175], -v[6:7]
	v_fmac_f64_e32 v[178:179], v[4:5], v[174:175]
	scratch_store_dwordx4 off, v[176:179], off offset:96
.LBB54_479:
	s_or_b64 exec, exec, s[2:3]
	scratch_load_dwordx4 v[2:5], v167, off
	v_cmp_gt_u32_e32 vcc, 7, v0
	s_waitcnt vmcnt(0)
	ds_write_b128 v9, v[2:5]
	s_waitcnt lgkmcnt(0)
	; wave barrier
	s_waitcnt lgkmcnt(0)
	s_and_saveexec_b64 s[2:3], vcc
	s_cbranch_execz .LBB54_487
; %bb.480:
	ds_read_b128 v[2:5], v9
	s_and_b64 vcc, exec, s[0:1]
	s_cbranch_vccnz .LBB54_482
; %bb.481:
	scratch_load_dwordx4 v[174:177], v8, off
	s_waitcnt vmcnt(0) lgkmcnt(0)
	v_mul_f64 v[38:39], v[2:3], v[176:177]
	v_mul_f64 v[6:7], v[4:5], v[176:177]
	v_fmac_f64_e32 v[38:39], v[4:5], v[174:175]
	v_fma_f64 v[2:3], v[2:3], v[174:175], -v[6:7]
	v_mov_b64_e32 v[4:5], v[38:39]
.LBB54_482:
	v_cmp_ne_u32_e32 vcc, 6, v0
	s_and_saveexec_b64 s[6:7], vcc
	s_cbranch_execz .LBB54_486
; %bb.483:
	v_mov_b32_e32 v7, 0
	v_add_u32_e32 v6, 0x380, v66
	v_add3_u32 v7, v66, v7, 24
	s_mov_b64 s[8:9], 0
	v_mov_b32_e32 v174, v0
.LBB54_484:                             ; =>This Inner Loop Header: Depth=1
	v_add_u32_e32 v38, -8, v7
	scratch_load_dwordx4 v[176:179], v38, off
	ds_read_b128 v[180:183], v6
	v_add_u32_e32 v174, 1, v174
	v_cmp_lt_u32_e32 vcc, 5, v174
	v_add_u32_e32 v6, 16, v6
	v_add_u32_e32 v7, 16, v7
	s_or_b64 s[8:9], vcc, s[8:9]
	s_waitcnt vmcnt(0) lgkmcnt(0)
	v_mul_f64 v[38:39], v[182:183], v[178:179]
	v_mul_f64 v[178:179], v[180:181], v[178:179]
	v_fma_f64 v[38:39], v[180:181], v[176:177], -v[38:39]
	v_fmac_f64_e32 v[178:179], v[182:183], v[176:177]
	v_add_f64 v[2:3], v[2:3], v[38:39]
	v_add_f64 v[4:5], v[4:5], v[178:179]
	s_andn2_b64 exec, exec, s[8:9]
	s_cbranch_execnz .LBB54_484
; %bb.485:
	s_or_b64 exec, exec, s[8:9]
.LBB54_486:
	s_or_b64 exec, exec, s[6:7]
	v_mov_b32_e32 v6, 0
	ds_read_b128 v[174:177], v6 offset:112
	s_waitcnt lgkmcnt(0)
	v_mul_f64 v[6:7], v[4:5], v[176:177]
	v_mul_f64 v[178:179], v[2:3], v[176:177]
	v_fma_f64 v[176:177], v[2:3], v[174:175], -v[6:7]
	v_fmac_f64_e32 v[178:179], v[4:5], v[174:175]
	scratch_store_dwordx4 off, v[176:179], off offset:112
.LBB54_487:
	s_or_b64 exec, exec, s[2:3]
	scratch_load_dwordx4 v[2:5], v166, off
	v_cmp_gt_u32_e32 vcc, 8, v0
	s_waitcnt vmcnt(0)
	ds_write_b128 v9, v[2:5]
	s_waitcnt lgkmcnt(0)
	; wave barrier
	s_waitcnt lgkmcnt(0)
	s_and_saveexec_b64 s[2:3], vcc
	s_cbranch_execz .LBB54_495
; %bb.488:
	ds_read_b128 v[2:5], v9
	s_and_b64 vcc, exec, s[0:1]
	s_cbranch_vccnz .LBB54_490
; %bb.489:
	scratch_load_dwordx4 v[174:177], v8, off
	s_waitcnt vmcnt(0) lgkmcnt(0)
	v_mul_f64 v[38:39], v[2:3], v[176:177]
	v_mul_f64 v[6:7], v[4:5], v[176:177]
	v_fmac_f64_e32 v[38:39], v[4:5], v[174:175]
	v_fma_f64 v[2:3], v[2:3], v[174:175], -v[6:7]
	v_mov_b64_e32 v[4:5], v[38:39]
.LBB54_490:
	v_cmp_ne_u32_e32 vcc, 7, v0
	s_and_saveexec_b64 s[6:7], vcc
	s_cbranch_execz .LBB54_494
; %bb.491:
	v_mov_b32_e32 v7, 0
	v_add_u32_e32 v6, 0x380, v66
	v_add3_u32 v7, v66, v7, 24
	s_mov_b64 s[8:9], 0
	v_mov_b32_e32 v174, v0
.LBB54_492:                             ; =>This Inner Loop Header: Depth=1
	v_add_u32_e32 v38, -8, v7
	scratch_load_dwordx4 v[176:179], v38, off
	ds_read_b128 v[180:183], v6
	v_add_u32_e32 v174, 1, v174
	v_cmp_lt_u32_e32 vcc, 6, v174
	v_add_u32_e32 v6, 16, v6
	v_add_u32_e32 v7, 16, v7
	s_or_b64 s[8:9], vcc, s[8:9]
	s_waitcnt vmcnt(0) lgkmcnt(0)
	v_mul_f64 v[38:39], v[182:183], v[178:179]
	v_mul_f64 v[178:179], v[180:181], v[178:179]
	v_fma_f64 v[38:39], v[180:181], v[176:177], -v[38:39]
	v_fmac_f64_e32 v[178:179], v[182:183], v[176:177]
	v_add_f64 v[2:3], v[2:3], v[38:39]
	v_add_f64 v[4:5], v[4:5], v[178:179]
	s_andn2_b64 exec, exec, s[8:9]
	s_cbranch_execnz .LBB54_492
; %bb.493:
	s_or_b64 exec, exec, s[8:9]
.LBB54_494:
	s_or_b64 exec, exec, s[6:7]
	v_mov_b32_e32 v6, 0
	ds_read_b128 v[174:177], v6 offset:128
	s_waitcnt lgkmcnt(0)
	v_mul_f64 v[6:7], v[4:5], v[176:177]
	v_mul_f64 v[178:179], v[2:3], v[176:177]
	v_fma_f64 v[176:177], v[2:3], v[174:175], -v[6:7]
	v_fmac_f64_e32 v[178:179], v[4:5], v[174:175]
	scratch_store_dwordx4 off, v[176:179], off offset:128
.LBB54_495:
	s_or_b64 exec, exec, s[2:3]
	scratch_load_dwordx4 v[2:5], v165, off
	v_cmp_gt_u32_e32 vcc, 9, v0
	s_waitcnt vmcnt(0)
	ds_write_b128 v9, v[2:5]
	s_waitcnt lgkmcnt(0)
	; wave barrier
	s_waitcnt lgkmcnt(0)
	s_and_saveexec_b64 s[2:3], vcc
	s_cbranch_execz .LBB54_503
; %bb.496:
	ds_read_b128 v[2:5], v9
	s_and_b64 vcc, exec, s[0:1]
	s_cbranch_vccnz .LBB54_498
; %bb.497:
	scratch_load_dwordx4 v[174:177], v8, off
	s_waitcnt vmcnt(0) lgkmcnt(0)
	v_mul_f64 v[38:39], v[2:3], v[176:177]
	v_mul_f64 v[6:7], v[4:5], v[176:177]
	v_fmac_f64_e32 v[38:39], v[4:5], v[174:175]
	v_fma_f64 v[2:3], v[2:3], v[174:175], -v[6:7]
	v_mov_b64_e32 v[4:5], v[38:39]
.LBB54_498:
	v_cmp_ne_u32_e32 vcc, 8, v0
	s_and_saveexec_b64 s[6:7], vcc
	s_cbranch_execz .LBB54_502
; %bb.499:
	v_mov_b32_e32 v7, 0
	v_add_u32_e32 v6, 0x380, v66
	v_add3_u32 v7, v66, v7, 24
	s_mov_b64 s[8:9], 0
	v_mov_b32_e32 v174, v0
.LBB54_500:                             ; =>This Inner Loop Header: Depth=1
	v_add_u32_e32 v38, -8, v7
	scratch_load_dwordx4 v[176:179], v38, off
	ds_read_b128 v[180:183], v6
	v_add_u32_e32 v174, 1, v174
	v_cmp_lt_u32_e32 vcc, 7, v174
	v_add_u32_e32 v6, 16, v6
	v_add_u32_e32 v7, 16, v7
	s_or_b64 s[8:9], vcc, s[8:9]
	s_waitcnt vmcnt(0) lgkmcnt(0)
	v_mul_f64 v[38:39], v[182:183], v[178:179]
	v_mul_f64 v[178:179], v[180:181], v[178:179]
	v_fma_f64 v[38:39], v[180:181], v[176:177], -v[38:39]
	v_fmac_f64_e32 v[178:179], v[182:183], v[176:177]
	v_add_f64 v[2:3], v[2:3], v[38:39]
	v_add_f64 v[4:5], v[4:5], v[178:179]
	s_andn2_b64 exec, exec, s[8:9]
	s_cbranch_execnz .LBB54_500
; %bb.501:
	s_or_b64 exec, exec, s[8:9]
.LBB54_502:
	s_or_b64 exec, exec, s[6:7]
	v_mov_b32_e32 v6, 0
	ds_read_b128 v[174:177], v6 offset:144
	s_waitcnt lgkmcnt(0)
	v_mul_f64 v[6:7], v[4:5], v[176:177]
	v_mul_f64 v[178:179], v[2:3], v[176:177]
	v_fma_f64 v[176:177], v[2:3], v[174:175], -v[6:7]
	v_fmac_f64_e32 v[178:179], v[4:5], v[174:175]
	scratch_store_dwordx4 off, v[176:179], off offset:144
.LBB54_503:
	s_or_b64 exec, exec, s[2:3]
	scratch_load_dwordx4 v[2:5], v164, off
	v_cmp_gt_u32_e32 vcc, 10, v0
	s_waitcnt vmcnt(0)
	ds_write_b128 v9, v[2:5]
	s_waitcnt lgkmcnt(0)
	; wave barrier
	s_waitcnt lgkmcnt(0)
	s_and_saveexec_b64 s[2:3], vcc
	s_cbranch_execz .LBB54_511
; %bb.504:
	ds_read_b128 v[2:5], v9
	s_and_b64 vcc, exec, s[0:1]
	s_cbranch_vccnz .LBB54_506
; %bb.505:
	scratch_load_dwordx4 v[174:177], v8, off
	s_waitcnt vmcnt(0) lgkmcnt(0)
	v_mul_f64 v[38:39], v[2:3], v[176:177]
	v_mul_f64 v[6:7], v[4:5], v[176:177]
	v_fmac_f64_e32 v[38:39], v[4:5], v[174:175]
	v_fma_f64 v[2:3], v[2:3], v[174:175], -v[6:7]
	v_mov_b64_e32 v[4:5], v[38:39]
.LBB54_506:
	v_cmp_ne_u32_e32 vcc, 9, v0
	s_and_saveexec_b64 s[6:7], vcc
	s_cbranch_execz .LBB54_510
; %bb.507:
	v_mov_b32_e32 v7, 0
	v_add_u32_e32 v6, 0x380, v66
	v_add3_u32 v7, v66, v7, 24
	s_mov_b64 s[8:9], 0
	v_mov_b32_e32 v174, v0
.LBB54_508:                             ; =>This Inner Loop Header: Depth=1
	v_add_u32_e32 v38, -8, v7
	scratch_load_dwordx4 v[176:179], v38, off
	ds_read_b128 v[180:183], v6
	v_add_u32_e32 v174, 1, v174
	v_cmp_lt_u32_e32 vcc, 8, v174
	v_add_u32_e32 v6, 16, v6
	v_add_u32_e32 v7, 16, v7
	s_or_b64 s[8:9], vcc, s[8:9]
	s_waitcnt vmcnt(0) lgkmcnt(0)
	v_mul_f64 v[38:39], v[182:183], v[178:179]
	v_mul_f64 v[178:179], v[180:181], v[178:179]
	v_fma_f64 v[38:39], v[180:181], v[176:177], -v[38:39]
	v_fmac_f64_e32 v[178:179], v[182:183], v[176:177]
	v_add_f64 v[2:3], v[2:3], v[38:39]
	v_add_f64 v[4:5], v[4:5], v[178:179]
	s_andn2_b64 exec, exec, s[8:9]
	s_cbranch_execnz .LBB54_508
; %bb.509:
	s_or_b64 exec, exec, s[8:9]
.LBB54_510:
	s_or_b64 exec, exec, s[6:7]
	v_mov_b32_e32 v6, 0
	ds_read_b128 v[174:177], v6 offset:160
	s_waitcnt lgkmcnt(0)
	v_mul_f64 v[6:7], v[4:5], v[176:177]
	v_mul_f64 v[178:179], v[2:3], v[176:177]
	v_fma_f64 v[176:177], v[2:3], v[174:175], -v[6:7]
	v_fmac_f64_e32 v[178:179], v[4:5], v[174:175]
	scratch_store_dwordx4 off, v[176:179], off offset:160
.LBB54_511:
	s_or_b64 exec, exec, s[2:3]
	scratch_load_dwordx4 v[2:5], v163, off
	v_cmp_gt_u32_e32 vcc, 11, v0
	s_waitcnt vmcnt(0)
	ds_write_b128 v9, v[2:5]
	s_waitcnt lgkmcnt(0)
	; wave barrier
	s_waitcnt lgkmcnt(0)
	s_and_saveexec_b64 s[2:3], vcc
	s_cbranch_execz .LBB54_519
; %bb.512:
	ds_read_b128 v[2:5], v9
	s_and_b64 vcc, exec, s[0:1]
	s_cbranch_vccnz .LBB54_514
; %bb.513:
	scratch_load_dwordx4 v[174:177], v8, off
	s_waitcnt vmcnt(0) lgkmcnt(0)
	v_mul_f64 v[38:39], v[2:3], v[176:177]
	v_mul_f64 v[6:7], v[4:5], v[176:177]
	v_fmac_f64_e32 v[38:39], v[4:5], v[174:175]
	v_fma_f64 v[2:3], v[2:3], v[174:175], -v[6:7]
	v_mov_b64_e32 v[4:5], v[38:39]
.LBB54_514:
	v_cmp_ne_u32_e32 vcc, 10, v0
	s_and_saveexec_b64 s[6:7], vcc
	s_cbranch_execz .LBB54_518
; %bb.515:
	v_mov_b32_e32 v7, 0
	v_add_u32_e32 v6, 0x380, v66
	v_add3_u32 v7, v66, v7, 24
	s_mov_b64 s[8:9], 0
	v_mov_b32_e32 v174, v0
.LBB54_516:                             ; =>This Inner Loop Header: Depth=1
	v_add_u32_e32 v38, -8, v7
	scratch_load_dwordx4 v[176:179], v38, off
	ds_read_b128 v[180:183], v6
	v_add_u32_e32 v174, 1, v174
	v_cmp_lt_u32_e32 vcc, 9, v174
	v_add_u32_e32 v6, 16, v6
	v_add_u32_e32 v7, 16, v7
	s_or_b64 s[8:9], vcc, s[8:9]
	s_waitcnt vmcnt(0) lgkmcnt(0)
	v_mul_f64 v[38:39], v[182:183], v[178:179]
	v_mul_f64 v[178:179], v[180:181], v[178:179]
	v_fma_f64 v[38:39], v[180:181], v[176:177], -v[38:39]
	v_fmac_f64_e32 v[178:179], v[182:183], v[176:177]
	v_add_f64 v[2:3], v[2:3], v[38:39]
	v_add_f64 v[4:5], v[4:5], v[178:179]
	s_andn2_b64 exec, exec, s[8:9]
	s_cbranch_execnz .LBB54_516
; %bb.517:
	s_or_b64 exec, exec, s[8:9]
.LBB54_518:
	s_or_b64 exec, exec, s[6:7]
	v_mov_b32_e32 v6, 0
	ds_read_b128 v[174:177], v6 offset:176
	s_waitcnt lgkmcnt(0)
	v_mul_f64 v[6:7], v[4:5], v[176:177]
	v_mul_f64 v[178:179], v[2:3], v[176:177]
	v_fma_f64 v[176:177], v[2:3], v[174:175], -v[6:7]
	v_fmac_f64_e32 v[178:179], v[4:5], v[174:175]
	scratch_store_dwordx4 off, v[176:179], off offset:176
.LBB54_519:
	s_or_b64 exec, exec, s[2:3]
	scratch_load_dwordx4 v[2:5], v162, off
	v_cmp_gt_u32_e32 vcc, 12, v0
	s_waitcnt vmcnt(0)
	ds_write_b128 v9, v[2:5]
	s_waitcnt lgkmcnt(0)
	; wave barrier
	s_waitcnt lgkmcnt(0)
	s_and_saveexec_b64 s[2:3], vcc
	s_cbranch_execz .LBB54_527
; %bb.520:
	ds_read_b128 v[2:5], v9
	s_and_b64 vcc, exec, s[0:1]
	s_cbranch_vccnz .LBB54_522
; %bb.521:
	scratch_load_dwordx4 v[174:177], v8, off
	s_waitcnt vmcnt(0) lgkmcnt(0)
	v_mul_f64 v[38:39], v[2:3], v[176:177]
	v_mul_f64 v[6:7], v[4:5], v[176:177]
	v_fmac_f64_e32 v[38:39], v[4:5], v[174:175]
	v_fma_f64 v[2:3], v[2:3], v[174:175], -v[6:7]
	v_mov_b64_e32 v[4:5], v[38:39]
.LBB54_522:
	v_cmp_ne_u32_e32 vcc, 11, v0
	s_and_saveexec_b64 s[6:7], vcc
	s_cbranch_execz .LBB54_526
; %bb.523:
	v_mov_b32_e32 v7, 0
	v_add_u32_e32 v6, 0x380, v66
	v_add3_u32 v7, v66, v7, 24
	s_mov_b64 s[8:9], 0
	v_mov_b32_e32 v174, v0
.LBB54_524:                             ; =>This Inner Loop Header: Depth=1
	v_add_u32_e32 v38, -8, v7
	scratch_load_dwordx4 v[176:179], v38, off
	ds_read_b128 v[180:183], v6
	v_add_u32_e32 v174, 1, v174
	v_cmp_lt_u32_e32 vcc, 10, v174
	v_add_u32_e32 v6, 16, v6
	v_add_u32_e32 v7, 16, v7
	s_or_b64 s[8:9], vcc, s[8:9]
	s_waitcnt vmcnt(0) lgkmcnt(0)
	v_mul_f64 v[38:39], v[182:183], v[178:179]
	v_mul_f64 v[178:179], v[180:181], v[178:179]
	v_fma_f64 v[38:39], v[180:181], v[176:177], -v[38:39]
	v_fmac_f64_e32 v[178:179], v[182:183], v[176:177]
	v_add_f64 v[2:3], v[2:3], v[38:39]
	v_add_f64 v[4:5], v[4:5], v[178:179]
	s_andn2_b64 exec, exec, s[8:9]
	s_cbranch_execnz .LBB54_524
; %bb.525:
	s_or_b64 exec, exec, s[8:9]
.LBB54_526:
	s_or_b64 exec, exec, s[6:7]
	v_mov_b32_e32 v6, 0
	ds_read_b128 v[174:177], v6 offset:192
	s_waitcnt lgkmcnt(0)
	v_mul_f64 v[6:7], v[4:5], v[176:177]
	v_mul_f64 v[178:179], v[2:3], v[176:177]
	v_fma_f64 v[176:177], v[2:3], v[174:175], -v[6:7]
	v_fmac_f64_e32 v[178:179], v[4:5], v[174:175]
	scratch_store_dwordx4 off, v[176:179], off offset:192
.LBB54_527:
	s_or_b64 exec, exec, s[2:3]
	scratch_load_dwordx4 v[2:5], v161, off
	v_cmp_gt_u32_e32 vcc, 13, v0
	s_waitcnt vmcnt(0)
	ds_write_b128 v9, v[2:5]
	s_waitcnt lgkmcnt(0)
	; wave barrier
	s_waitcnt lgkmcnt(0)
	s_and_saveexec_b64 s[2:3], vcc
	s_cbranch_execz .LBB54_535
; %bb.528:
	ds_read_b128 v[2:5], v9
	s_and_b64 vcc, exec, s[0:1]
	s_cbranch_vccnz .LBB54_530
; %bb.529:
	scratch_load_dwordx4 v[174:177], v8, off
	s_waitcnt vmcnt(0) lgkmcnt(0)
	v_mul_f64 v[38:39], v[2:3], v[176:177]
	v_mul_f64 v[6:7], v[4:5], v[176:177]
	v_fmac_f64_e32 v[38:39], v[4:5], v[174:175]
	v_fma_f64 v[2:3], v[2:3], v[174:175], -v[6:7]
	v_mov_b64_e32 v[4:5], v[38:39]
.LBB54_530:
	v_cmp_ne_u32_e32 vcc, 12, v0
	s_and_saveexec_b64 s[6:7], vcc
	s_cbranch_execz .LBB54_534
; %bb.531:
	v_mov_b32_e32 v7, 0
	v_add_u32_e32 v6, 0x380, v66
	v_add3_u32 v7, v66, v7, 24
	s_mov_b64 s[8:9], 0
	v_mov_b32_e32 v174, v0
.LBB54_532:                             ; =>This Inner Loop Header: Depth=1
	v_add_u32_e32 v38, -8, v7
	scratch_load_dwordx4 v[176:179], v38, off
	ds_read_b128 v[180:183], v6
	v_add_u32_e32 v174, 1, v174
	v_cmp_lt_u32_e32 vcc, 11, v174
	v_add_u32_e32 v6, 16, v6
	v_add_u32_e32 v7, 16, v7
	s_or_b64 s[8:9], vcc, s[8:9]
	s_waitcnt vmcnt(0) lgkmcnt(0)
	v_mul_f64 v[38:39], v[182:183], v[178:179]
	v_mul_f64 v[178:179], v[180:181], v[178:179]
	v_fma_f64 v[38:39], v[180:181], v[176:177], -v[38:39]
	v_fmac_f64_e32 v[178:179], v[182:183], v[176:177]
	v_add_f64 v[2:3], v[2:3], v[38:39]
	v_add_f64 v[4:5], v[4:5], v[178:179]
	s_andn2_b64 exec, exec, s[8:9]
	s_cbranch_execnz .LBB54_532
; %bb.533:
	s_or_b64 exec, exec, s[8:9]
.LBB54_534:
	s_or_b64 exec, exec, s[6:7]
	v_mov_b32_e32 v6, 0
	ds_read_b128 v[174:177], v6 offset:208
	s_waitcnt lgkmcnt(0)
	v_mul_f64 v[6:7], v[4:5], v[176:177]
	v_mul_f64 v[178:179], v[2:3], v[176:177]
	v_fma_f64 v[176:177], v[2:3], v[174:175], -v[6:7]
	v_fmac_f64_e32 v[178:179], v[4:5], v[174:175]
	scratch_store_dwordx4 off, v[176:179], off offset:208
.LBB54_535:
	s_or_b64 exec, exec, s[2:3]
	scratch_load_dwordx4 v[2:5], v160, off
	v_cmp_gt_u32_e32 vcc, 14, v0
	s_waitcnt vmcnt(0)
	ds_write_b128 v9, v[2:5]
	s_waitcnt lgkmcnt(0)
	; wave barrier
	s_waitcnt lgkmcnt(0)
	s_and_saveexec_b64 s[2:3], vcc
	s_cbranch_execz .LBB54_543
; %bb.536:
	ds_read_b128 v[2:5], v9
	s_and_b64 vcc, exec, s[0:1]
	s_cbranch_vccnz .LBB54_538
; %bb.537:
	scratch_load_dwordx4 v[174:177], v8, off
	s_waitcnt vmcnt(0) lgkmcnt(0)
	v_mul_f64 v[38:39], v[2:3], v[176:177]
	v_mul_f64 v[6:7], v[4:5], v[176:177]
	v_fmac_f64_e32 v[38:39], v[4:5], v[174:175]
	v_fma_f64 v[2:3], v[2:3], v[174:175], -v[6:7]
	v_mov_b64_e32 v[4:5], v[38:39]
.LBB54_538:
	v_cmp_ne_u32_e32 vcc, 13, v0
	s_and_saveexec_b64 s[6:7], vcc
	s_cbranch_execz .LBB54_542
; %bb.539:
	v_mov_b32_e32 v7, 0
	v_add_u32_e32 v6, 0x380, v66
	v_add3_u32 v7, v66, v7, 24
	s_mov_b64 s[8:9], 0
	v_mov_b32_e32 v174, v0
.LBB54_540:                             ; =>This Inner Loop Header: Depth=1
	v_add_u32_e32 v38, -8, v7
	scratch_load_dwordx4 v[176:179], v38, off
	ds_read_b128 v[180:183], v6
	v_add_u32_e32 v174, 1, v174
	v_cmp_lt_u32_e32 vcc, 12, v174
	v_add_u32_e32 v6, 16, v6
	v_add_u32_e32 v7, 16, v7
	s_or_b64 s[8:9], vcc, s[8:9]
	s_waitcnt vmcnt(0) lgkmcnt(0)
	v_mul_f64 v[38:39], v[182:183], v[178:179]
	v_mul_f64 v[178:179], v[180:181], v[178:179]
	v_fma_f64 v[38:39], v[180:181], v[176:177], -v[38:39]
	v_fmac_f64_e32 v[178:179], v[182:183], v[176:177]
	v_add_f64 v[2:3], v[2:3], v[38:39]
	v_add_f64 v[4:5], v[4:5], v[178:179]
	s_andn2_b64 exec, exec, s[8:9]
	s_cbranch_execnz .LBB54_540
; %bb.541:
	s_or_b64 exec, exec, s[8:9]
.LBB54_542:
	s_or_b64 exec, exec, s[6:7]
	v_mov_b32_e32 v6, 0
	ds_read_b128 v[174:177], v6 offset:224
	s_waitcnt lgkmcnt(0)
	v_mul_f64 v[6:7], v[4:5], v[176:177]
	v_mul_f64 v[178:179], v[2:3], v[176:177]
	v_fma_f64 v[176:177], v[2:3], v[174:175], -v[6:7]
	v_fmac_f64_e32 v[178:179], v[4:5], v[174:175]
	scratch_store_dwordx4 off, v[176:179], off offset:224
.LBB54_543:
	s_or_b64 exec, exec, s[2:3]
	scratch_load_dwordx4 v[2:5], v159, off
	v_cmp_gt_u32_e32 vcc, 15, v0
	s_waitcnt vmcnt(0)
	ds_write_b128 v9, v[2:5]
	s_waitcnt lgkmcnt(0)
	; wave barrier
	s_waitcnt lgkmcnt(0)
	s_and_saveexec_b64 s[2:3], vcc
	s_cbranch_execz .LBB54_551
; %bb.544:
	ds_read_b128 v[2:5], v9
	s_and_b64 vcc, exec, s[0:1]
	s_cbranch_vccnz .LBB54_546
; %bb.545:
	scratch_load_dwordx4 v[174:177], v8, off
	s_waitcnt vmcnt(0) lgkmcnt(0)
	v_mul_f64 v[38:39], v[2:3], v[176:177]
	v_mul_f64 v[6:7], v[4:5], v[176:177]
	v_fmac_f64_e32 v[38:39], v[4:5], v[174:175]
	v_fma_f64 v[2:3], v[2:3], v[174:175], -v[6:7]
	v_mov_b64_e32 v[4:5], v[38:39]
.LBB54_546:
	v_cmp_ne_u32_e32 vcc, 14, v0
	s_and_saveexec_b64 s[6:7], vcc
	s_cbranch_execz .LBB54_550
; %bb.547:
	v_mov_b32_e32 v7, 0
	v_add_u32_e32 v6, 0x380, v66
	v_add3_u32 v7, v66, v7, 24
	s_mov_b64 s[8:9], 0
	v_mov_b32_e32 v174, v0
.LBB54_548:                             ; =>This Inner Loop Header: Depth=1
	v_add_u32_e32 v38, -8, v7
	scratch_load_dwordx4 v[176:179], v38, off
	ds_read_b128 v[180:183], v6
	v_add_u32_e32 v174, 1, v174
	v_cmp_lt_u32_e32 vcc, 13, v174
	v_add_u32_e32 v6, 16, v6
	v_add_u32_e32 v7, 16, v7
	s_or_b64 s[8:9], vcc, s[8:9]
	s_waitcnt vmcnt(0) lgkmcnt(0)
	v_mul_f64 v[38:39], v[182:183], v[178:179]
	v_mul_f64 v[178:179], v[180:181], v[178:179]
	v_fma_f64 v[38:39], v[180:181], v[176:177], -v[38:39]
	v_fmac_f64_e32 v[178:179], v[182:183], v[176:177]
	v_add_f64 v[2:3], v[2:3], v[38:39]
	v_add_f64 v[4:5], v[4:5], v[178:179]
	s_andn2_b64 exec, exec, s[8:9]
	s_cbranch_execnz .LBB54_548
; %bb.549:
	s_or_b64 exec, exec, s[8:9]
.LBB54_550:
	s_or_b64 exec, exec, s[6:7]
	v_mov_b32_e32 v6, 0
	ds_read_b128 v[174:177], v6 offset:240
	s_waitcnt lgkmcnt(0)
	v_mul_f64 v[6:7], v[4:5], v[176:177]
	v_mul_f64 v[178:179], v[2:3], v[176:177]
	v_fma_f64 v[176:177], v[2:3], v[174:175], -v[6:7]
	v_fmac_f64_e32 v[178:179], v[4:5], v[174:175]
	scratch_store_dwordx4 off, v[176:179], off offset:240
.LBB54_551:
	s_or_b64 exec, exec, s[2:3]
	scratch_load_dwordx4 v[2:5], v158, off
	v_cmp_gt_u32_e32 vcc, 16, v0
	s_waitcnt vmcnt(0)
	ds_write_b128 v9, v[2:5]
	s_waitcnt lgkmcnt(0)
	; wave barrier
	s_waitcnt lgkmcnt(0)
	s_and_saveexec_b64 s[2:3], vcc
	s_cbranch_execz .LBB54_559
; %bb.552:
	ds_read_b128 v[2:5], v9
	s_and_b64 vcc, exec, s[0:1]
	s_cbranch_vccnz .LBB54_554
; %bb.553:
	scratch_load_dwordx4 v[174:177], v8, off
	s_waitcnt vmcnt(0) lgkmcnt(0)
	v_mul_f64 v[38:39], v[2:3], v[176:177]
	v_mul_f64 v[6:7], v[4:5], v[176:177]
	v_fmac_f64_e32 v[38:39], v[4:5], v[174:175]
	v_fma_f64 v[2:3], v[2:3], v[174:175], -v[6:7]
	v_mov_b64_e32 v[4:5], v[38:39]
.LBB54_554:
	v_cmp_ne_u32_e32 vcc, 15, v0
	s_and_saveexec_b64 s[6:7], vcc
	s_cbranch_execz .LBB54_558
; %bb.555:
	v_mov_b32_e32 v7, 0
	v_add_u32_e32 v6, 0x380, v66
	v_add3_u32 v7, v66, v7, 24
	s_mov_b64 s[8:9], 0
	v_mov_b32_e32 v174, v0
.LBB54_556:                             ; =>This Inner Loop Header: Depth=1
	v_add_u32_e32 v38, -8, v7
	scratch_load_dwordx4 v[176:179], v38, off
	ds_read_b128 v[180:183], v6
	v_add_u32_e32 v174, 1, v174
	v_cmp_lt_u32_e32 vcc, 14, v174
	v_add_u32_e32 v6, 16, v6
	v_add_u32_e32 v7, 16, v7
	s_or_b64 s[8:9], vcc, s[8:9]
	s_waitcnt vmcnt(0) lgkmcnt(0)
	v_mul_f64 v[38:39], v[182:183], v[178:179]
	v_mul_f64 v[178:179], v[180:181], v[178:179]
	v_fma_f64 v[38:39], v[180:181], v[176:177], -v[38:39]
	v_fmac_f64_e32 v[178:179], v[182:183], v[176:177]
	v_add_f64 v[2:3], v[2:3], v[38:39]
	v_add_f64 v[4:5], v[4:5], v[178:179]
	s_andn2_b64 exec, exec, s[8:9]
	s_cbranch_execnz .LBB54_556
; %bb.557:
	s_or_b64 exec, exec, s[8:9]
.LBB54_558:
	s_or_b64 exec, exec, s[6:7]
	v_mov_b32_e32 v6, 0
	ds_read_b128 v[174:177], v6 offset:256
	s_waitcnt lgkmcnt(0)
	v_mul_f64 v[6:7], v[4:5], v[176:177]
	v_mul_f64 v[178:179], v[2:3], v[176:177]
	v_fma_f64 v[176:177], v[2:3], v[174:175], -v[6:7]
	v_fmac_f64_e32 v[178:179], v[4:5], v[174:175]
	scratch_store_dwordx4 off, v[176:179], off offset:256
.LBB54_559:
	s_or_b64 exec, exec, s[2:3]
	scratch_load_dwordx4 v[2:5], v157, off
	v_cmp_gt_u32_e32 vcc, 17, v0
	s_waitcnt vmcnt(0)
	ds_write_b128 v9, v[2:5]
	s_waitcnt lgkmcnt(0)
	; wave barrier
	s_waitcnt lgkmcnt(0)
	s_and_saveexec_b64 s[2:3], vcc
	s_cbranch_execz .LBB54_567
; %bb.560:
	ds_read_b128 v[2:5], v9
	s_and_b64 vcc, exec, s[0:1]
	s_cbranch_vccnz .LBB54_562
; %bb.561:
	scratch_load_dwordx4 v[174:177], v8, off
	s_waitcnt vmcnt(0) lgkmcnt(0)
	v_mul_f64 v[38:39], v[2:3], v[176:177]
	v_mul_f64 v[6:7], v[4:5], v[176:177]
	v_fmac_f64_e32 v[38:39], v[4:5], v[174:175]
	v_fma_f64 v[2:3], v[2:3], v[174:175], -v[6:7]
	v_mov_b64_e32 v[4:5], v[38:39]
.LBB54_562:
	v_cmp_ne_u32_e32 vcc, 16, v0
	s_and_saveexec_b64 s[6:7], vcc
	s_cbranch_execz .LBB54_566
; %bb.563:
	v_mov_b32_e32 v7, 0
	v_add_u32_e32 v6, 0x380, v66
	v_add3_u32 v7, v66, v7, 24
	s_mov_b64 s[8:9], 0
	v_mov_b32_e32 v174, v0
.LBB54_564:                             ; =>This Inner Loop Header: Depth=1
	v_add_u32_e32 v38, -8, v7
	scratch_load_dwordx4 v[176:179], v38, off
	ds_read_b128 v[180:183], v6
	v_add_u32_e32 v174, 1, v174
	v_cmp_lt_u32_e32 vcc, 15, v174
	v_add_u32_e32 v6, 16, v6
	v_add_u32_e32 v7, 16, v7
	s_or_b64 s[8:9], vcc, s[8:9]
	s_waitcnt vmcnt(0) lgkmcnt(0)
	v_mul_f64 v[38:39], v[182:183], v[178:179]
	v_mul_f64 v[178:179], v[180:181], v[178:179]
	v_fma_f64 v[38:39], v[180:181], v[176:177], -v[38:39]
	v_fmac_f64_e32 v[178:179], v[182:183], v[176:177]
	v_add_f64 v[2:3], v[2:3], v[38:39]
	v_add_f64 v[4:5], v[4:5], v[178:179]
	s_andn2_b64 exec, exec, s[8:9]
	s_cbranch_execnz .LBB54_564
; %bb.565:
	s_or_b64 exec, exec, s[8:9]
.LBB54_566:
	s_or_b64 exec, exec, s[6:7]
	v_mov_b32_e32 v6, 0
	ds_read_b128 v[174:177], v6 offset:272
	s_waitcnt lgkmcnt(0)
	v_mul_f64 v[6:7], v[4:5], v[176:177]
	v_mul_f64 v[178:179], v[2:3], v[176:177]
	v_fma_f64 v[176:177], v[2:3], v[174:175], -v[6:7]
	v_fmac_f64_e32 v[178:179], v[4:5], v[174:175]
	scratch_store_dwordx4 off, v[176:179], off offset:272
.LBB54_567:
	s_or_b64 exec, exec, s[2:3]
	scratch_load_dwordx4 v[2:5], v156, off
	v_cmp_gt_u32_e32 vcc, 18, v0
	s_waitcnt vmcnt(0)
	ds_write_b128 v9, v[2:5]
	s_waitcnt lgkmcnt(0)
	; wave barrier
	s_waitcnt lgkmcnt(0)
	s_and_saveexec_b64 s[2:3], vcc
	s_cbranch_execz .LBB54_575
; %bb.568:
	ds_read_b128 v[2:5], v9
	s_and_b64 vcc, exec, s[0:1]
	s_cbranch_vccnz .LBB54_570
; %bb.569:
	scratch_load_dwordx4 v[174:177], v8, off
	s_waitcnt vmcnt(0) lgkmcnt(0)
	v_mul_f64 v[38:39], v[2:3], v[176:177]
	v_mul_f64 v[6:7], v[4:5], v[176:177]
	v_fmac_f64_e32 v[38:39], v[4:5], v[174:175]
	v_fma_f64 v[2:3], v[2:3], v[174:175], -v[6:7]
	v_mov_b64_e32 v[4:5], v[38:39]
.LBB54_570:
	v_cmp_ne_u32_e32 vcc, 17, v0
	s_and_saveexec_b64 s[6:7], vcc
	s_cbranch_execz .LBB54_574
; %bb.571:
	v_mov_b32_e32 v7, 0
	v_add_u32_e32 v6, 0x380, v66
	v_add3_u32 v7, v66, v7, 24
	s_mov_b64 s[8:9], 0
	v_mov_b32_e32 v174, v0
.LBB54_572:                             ; =>This Inner Loop Header: Depth=1
	v_add_u32_e32 v38, -8, v7
	scratch_load_dwordx4 v[176:179], v38, off
	ds_read_b128 v[180:183], v6
	v_add_u32_e32 v174, 1, v174
	v_cmp_lt_u32_e32 vcc, 16, v174
	v_add_u32_e32 v6, 16, v6
	v_add_u32_e32 v7, 16, v7
	s_or_b64 s[8:9], vcc, s[8:9]
	s_waitcnt vmcnt(0) lgkmcnt(0)
	v_mul_f64 v[38:39], v[182:183], v[178:179]
	v_mul_f64 v[178:179], v[180:181], v[178:179]
	v_fma_f64 v[38:39], v[180:181], v[176:177], -v[38:39]
	v_fmac_f64_e32 v[178:179], v[182:183], v[176:177]
	v_add_f64 v[2:3], v[2:3], v[38:39]
	v_add_f64 v[4:5], v[4:5], v[178:179]
	s_andn2_b64 exec, exec, s[8:9]
	s_cbranch_execnz .LBB54_572
; %bb.573:
	s_or_b64 exec, exec, s[8:9]
.LBB54_574:
	s_or_b64 exec, exec, s[6:7]
	v_mov_b32_e32 v6, 0
	ds_read_b128 v[174:177], v6 offset:288
	s_waitcnt lgkmcnt(0)
	v_mul_f64 v[6:7], v[4:5], v[176:177]
	v_mul_f64 v[178:179], v[2:3], v[176:177]
	v_fma_f64 v[176:177], v[2:3], v[174:175], -v[6:7]
	v_fmac_f64_e32 v[178:179], v[4:5], v[174:175]
	scratch_store_dwordx4 off, v[176:179], off offset:288
.LBB54_575:
	s_or_b64 exec, exec, s[2:3]
	scratch_load_dwordx4 v[2:5], v155, off
	v_cmp_gt_u32_e32 vcc, 19, v0
	s_waitcnt vmcnt(0)
	ds_write_b128 v9, v[2:5]
	s_waitcnt lgkmcnt(0)
	; wave barrier
	s_waitcnt lgkmcnt(0)
	s_and_saveexec_b64 s[2:3], vcc
	s_cbranch_execz .LBB54_583
; %bb.576:
	ds_read_b128 v[2:5], v9
	s_and_b64 vcc, exec, s[0:1]
	s_cbranch_vccnz .LBB54_578
; %bb.577:
	scratch_load_dwordx4 v[174:177], v8, off
	s_waitcnt vmcnt(0) lgkmcnt(0)
	v_mul_f64 v[38:39], v[2:3], v[176:177]
	v_mul_f64 v[6:7], v[4:5], v[176:177]
	v_fmac_f64_e32 v[38:39], v[4:5], v[174:175]
	v_fma_f64 v[2:3], v[2:3], v[174:175], -v[6:7]
	v_mov_b64_e32 v[4:5], v[38:39]
.LBB54_578:
	v_cmp_ne_u32_e32 vcc, 18, v0
	s_and_saveexec_b64 s[6:7], vcc
	s_cbranch_execz .LBB54_582
; %bb.579:
	v_mov_b32_e32 v7, 0
	v_add_u32_e32 v6, 0x380, v66
	v_add3_u32 v7, v66, v7, 24
	s_mov_b64 s[8:9], 0
	v_mov_b32_e32 v174, v0
.LBB54_580:                             ; =>This Inner Loop Header: Depth=1
	v_add_u32_e32 v38, -8, v7
	scratch_load_dwordx4 v[176:179], v38, off
	ds_read_b128 v[180:183], v6
	v_add_u32_e32 v174, 1, v174
	v_cmp_lt_u32_e32 vcc, 17, v174
	v_add_u32_e32 v6, 16, v6
	v_add_u32_e32 v7, 16, v7
	s_or_b64 s[8:9], vcc, s[8:9]
	s_waitcnt vmcnt(0) lgkmcnt(0)
	v_mul_f64 v[38:39], v[182:183], v[178:179]
	v_mul_f64 v[178:179], v[180:181], v[178:179]
	v_fma_f64 v[38:39], v[180:181], v[176:177], -v[38:39]
	v_fmac_f64_e32 v[178:179], v[182:183], v[176:177]
	v_add_f64 v[2:3], v[2:3], v[38:39]
	v_add_f64 v[4:5], v[4:5], v[178:179]
	s_andn2_b64 exec, exec, s[8:9]
	s_cbranch_execnz .LBB54_580
; %bb.581:
	s_or_b64 exec, exec, s[8:9]
.LBB54_582:
	s_or_b64 exec, exec, s[6:7]
	v_mov_b32_e32 v6, 0
	ds_read_b128 v[174:177], v6 offset:304
	s_waitcnt lgkmcnt(0)
	v_mul_f64 v[6:7], v[4:5], v[176:177]
	v_mul_f64 v[178:179], v[2:3], v[176:177]
	v_fma_f64 v[176:177], v[2:3], v[174:175], -v[6:7]
	v_fmac_f64_e32 v[178:179], v[4:5], v[174:175]
	scratch_store_dwordx4 off, v[176:179], off offset:304
.LBB54_583:
	s_or_b64 exec, exec, s[2:3]
	scratch_load_dwordx4 v[2:5], v154, off
	v_cmp_gt_u32_e32 vcc, 20, v0
	s_waitcnt vmcnt(0)
	ds_write_b128 v9, v[2:5]
	s_waitcnt lgkmcnt(0)
	; wave barrier
	s_waitcnt lgkmcnt(0)
	s_and_saveexec_b64 s[2:3], vcc
	s_cbranch_execz .LBB54_591
; %bb.584:
	ds_read_b128 v[2:5], v9
	s_and_b64 vcc, exec, s[0:1]
	s_cbranch_vccnz .LBB54_586
; %bb.585:
	scratch_load_dwordx4 v[174:177], v8, off
	s_waitcnt vmcnt(0) lgkmcnt(0)
	v_mul_f64 v[38:39], v[2:3], v[176:177]
	v_mul_f64 v[6:7], v[4:5], v[176:177]
	v_fmac_f64_e32 v[38:39], v[4:5], v[174:175]
	v_fma_f64 v[2:3], v[2:3], v[174:175], -v[6:7]
	v_mov_b64_e32 v[4:5], v[38:39]
.LBB54_586:
	v_cmp_ne_u32_e32 vcc, 19, v0
	s_and_saveexec_b64 s[6:7], vcc
	s_cbranch_execz .LBB54_590
; %bb.587:
	v_mov_b32_e32 v7, 0
	v_add_u32_e32 v6, 0x380, v66
	v_add3_u32 v7, v66, v7, 24
	s_mov_b64 s[8:9], 0
	v_mov_b32_e32 v174, v0
.LBB54_588:                             ; =>This Inner Loop Header: Depth=1
	v_add_u32_e32 v38, -8, v7
	scratch_load_dwordx4 v[176:179], v38, off
	ds_read_b128 v[180:183], v6
	v_add_u32_e32 v174, 1, v174
	v_cmp_lt_u32_e32 vcc, 18, v174
	v_add_u32_e32 v6, 16, v6
	v_add_u32_e32 v7, 16, v7
	s_or_b64 s[8:9], vcc, s[8:9]
	s_waitcnt vmcnt(0) lgkmcnt(0)
	v_mul_f64 v[38:39], v[182:183], v[178:179]
	v_mul_f64 v[178:179], v[180:181], v[178:179]
	v_fma_f64 v[38:39], v[180:181], v[176:177], -v[38:39]
	v_fmac_f64_e32 v[178:179], v[182:183], v[176:177]
	v_add_f64 v[2:3], v[2:3], v[38:39]
	v_add_f64 v[4:5], v[4:5], v[178:179]
	s_andn2_b64 exec, exec, s[8:9]
	s_cbranch_execnz .LBB54_588
; %bb.589:
	s_or_b64 exec, exec, s[8:9]
.LBB54_590:
	s_or_b64 exec, exec, s[6:7]
	v_mov_b32_e32 v6, 0
	ds_read_b128 v[174:177], v6 offset:320
	s_waitcnt lgkmcnt(0)
	v_mul_f64 v[6:7], v[4:5], v[176:177]
	v_mul_f64 v[178:179], v[2:3], v[176:177]
	v_fma_f64 v[176:177], v[2:3], v[174:175], -v[6:7]
	v_fmac_f64_e32 v[178:179], v[4:5], v[174:175]
	scratch_store_dwordx4 off, v[176:179], off offset:320
.LBB54_591:
	s_or_b64 exec, exec, s[2:3]
	scratch_load_dwordx4 v[2:5], v153, off
	v_cmp_gt_u32_e32 vcc, 21, v0
	s_waitcnt vmcnt(0)
	ds_write_b128 v9, v[2:5]
	s_waitcnt lgkmcnt(0)
	; wave barrier
	s_waitcnt lgkmcnt(0)
	s_and_saveexec_b64 s[2:3], vcc
	s_cbranch_execz .LBB54_599
; %bb.592:
	ds_read_b128 v[2:5], v9
	s_and_b64 vcc, exec, s[0:1]
	s_cbranch_vccnz .LBB54_594
; %bb.593:
	scratch_load_dwordx4 v[174:177], v8, off
	s_waitcnt vmcnt(0) lgkmcnt(0)
	v_mul_f64 v[38:39], v[2:3], v[176:177]
	v_mul_f64 v[6:7], v[4:5], v[176:177]
	v_fmac_f64_e32 v[38:39], v[4:5], v[174:175]
	v_fma_f64 v[2:3], v[2:3], v[174:175], -v[6:7]
	v_mov_b64_e32 v[4:5], v[38:39]
.LBB54_594:
	v_cmp_ne_u32_e32 vcc, 20, v0
	s_and_saveexec_b64 s[6:7], vcc
	s_cbranch_execz .LBB54_598
; %bb.595:
	v_mov_b32_e32 v7, 0
	v_add_u32_e32 v6, 0x380, v66
	v_add3_u32 v7, v66, v7, 24
	s_mov_b64 s[8:9], 0
	v_mov_b32_e32 v174, v0
.LBB54_596:                             ; =>This Inner Loop Header: Depth=1
	v_add_u32_e32 v38, -8, v7
	scratch_load_dwordx4 v[176:179], v38, off
	ds_read_b128 v[180:183], v6
	v_add_u32_e32 v174, 1, v174
	v_cmp_lt_u32_e32 vcc, 19, v174
	v_add_u32_e32 v6, 16, v6
	v_add_u32_e32 v7, 16, v7
	s_or_b64 s[8:9], vcc, s[8:9]
	s_waitcnt vmcnt(0) lgkmcnt(0)
	v_mul_f64 v[38:39], v[182:183], v[178:179]
	v_mul_f64 v[178:179], v[180:181], v[178:179]
	v_fma_f64 v[38:39], v[180:181], v[176:177], -v[38:39]
	v_fmac_f64_e32 v[178:179], v[182:183], v[176:177]
	v_add_f64 v[2:3], v[2:3], v[38:39]
	v_add_f64 v[4:5], v[4:5], v[178:179]
	s_andn2_b64 exec, exec, s[8:9]
	s_cbranch_execnz .LBB54_596
; %bb.597:
	s_or_b64 exec, exec, s[8:9]
.LBB54_598:
	s_or_b64 exec, exec, s[6:7]
	v_mov_b32_e32 v6, 0
	ds_read_b128 v[174:177], v6 offset:336
	s_waitcnt lgkmcnt(0)
	v_mul_f64 v[6:7], v[4:5], v[176:177]
	v_mul_f64 v[178:179], v[2:3], v[176:177]
	v_fma_f64 v[176:177], v[2:3], v[174:175], -v[6:7]
	v_fmac_f64_e32 v[178:179], v[4:5], v[174:175]
	scratch_store_dwordx4 off, v[176:179], off offset:336
.LBB54_599:
	s_or_b64 exec, exec, s[2:3]
	scratch_load_dwordx4 v[2:5], v152, off
	v_cmp_gt_u32_e32 vcc, 22, v0
	s_waitcnt vmcnt(0)
	ds_write_b128 v9, v[2:5]
	s_waitcnt lgkmcnt(0)
	; wave barrier
	s_waitcnt lgkmcnt(0)
	s_and_saveexec_b64 s[2:3], vcc
	s_cbranch_execz .LBB54_607
; %bb.600:
	ds_read_b128 v[2:5], v9
	s_and_b64 vcc, exec, s[0:1]
	s_cbranch_vccnz .LBB54_602
; %bb.601:
	scratch_load_dwordx4 v[174:177], v8, off
	s_waitcnt vmcnt(0) lgkmcnt(0)
	v_mul_f64 v[38:39], v[2:3], v[176:177]
	v_mul_f64 v[6:7], v[4:5], v[176:177]
	v_fmac_f64_e32 v[38:39], v[4:5], v[174:175]
	v_fma_f64 v[2:3], v[2:3], v[174:175], -v[6:7]
	v_mov_b64_e32 v[4:5], v[38:39]
.LBB54_602:
	v_cmp_ne_u32_e32 vcc, 21, v0
	s_and_saveexec_b64 s[6:7], vcc
	s_cbranch_execz .LBB54_606
; %bb.603:
	v_mov_b32_e32 v7, 0
	v_add_u32_e32 v6, 0x380, v66
	v_add3_u32 v7, v66, v7, 24
	s_mov_b64 s[8:9], 0
	v_mov_b32_e32 v174, v0
.LBB54_604:                             ; =>This Inner Loop Header: Depth=1
	v_add_u32_e32 v38, -8, v7
	scratch_load_dwordx4 v[176:179], v38, off
	ds_read_b128 v[180:183], v6
	v_add_u32_e32 v174, 1, v174
	v_cmp_lt_u32_e32 vcc, 20, v174
	v_add_u32_e32 v6, 16, v6
	v_add_u32_e32 v7, 16, v7
	s_or_b64 s[8:9], vcc, s[8:9]
	s_waitcnt vmcnt(0) lgkmcnt(0)
	v_mul_f64 v[38:39], v[182:183], v[178:179]
	v_mul_f64 v[178:179], v[180:181], v[178:179]
	v_fma_f64 v[38:39], v[180:181], v[176:177], -v[38:39]
	v_fmac_f64_e32 v[178:179], v[182:183], v[176:177]
	v_add_f64 v[2:3], v[2:3], v[38:39]
	v_add_f64 v[4:5], v[4:5], v[178:179]
	s_andn2_b64 exec, exec, s[8:9]
	s_cbranch_execnz .LBB54_604
; %bb.605:
	s_or_b64 exec, exec, s[8:9]
.LBB54_606:
	s_or_b64 exec, exec, s[6:7]
	v_mov_b32_e32 v6, 0
	ds_read_b128 v[174:177], v6 offset:352
	s_waitcnt lgkmcnt(0)
	v_mul_f64 v[6:7], v[4:5], v[176:177]
	v_mul_f64 v[178:179], v[2:3], v[176:177]
	v_fma_f64 v[176:177], v[2:3], v[174:175], -v[6:7]
	v_fmac_f64_e32 v[178:179], v[4:5], v[174:175]
	scratch_store_dwordx4 off, v[176:179], off offset:352
.LBB54_607:
	s_or_b64 exec, exec, s[2:3]
	scratch_load_dwordx4 v[2:5], v151, off
	v_cmp_gt_u32_e32 vcc, 23, v0
	s_waitcnt vmcnt(0)
	ds_write_b128 v9, v[2:5]
	s_waitcnt lgkmcnt(0)
	; wave barrier
	s_waitcnt lgkmcnt(0)
	s_and_saveexec_b64 s[2:3], vcc
	s_cbranch_execz .LBB54_615
; %bb.608:
	ds_read_b128 v[2:5], v9
	s_and_b64 vcc, exec, s[0:1]
	s_cbranch_vccnz .LBB54_610
; %bb.609:
	scratch_load_dwordx4 v[174:177], v8, off
	s_waitcnt vmcnt(0) lgkmcnt(0)
	v_mul_f64 v[38:39], v[2:3], v[176:177]
	v_mul_f64 v[6:7], v[4:5], v[176:177]
	v_fmac_f64_e32 v[38:39], v[4:5], v[174:175]
	v_fma_f64 v[2:3], v[2:3], v[174:175], -v[6:7]
	v_mov_b64_e32 v[4:5], v[38:39]
.LBB54_610:
	v_cmp_ne_u32_e32 vcc, 22, v0
	s_and_saveexec_b64 s[6:7], vcc
	s_cbranch_execz .LBB54_614
; %bb.611:
	v_mov_b32_e32 v7, 0
	v_add_u32_e32 v6, 0x380, v66
	v_add3_u32 v7, v66, v7, 24
	s_mov_b64 s[8:9], 0
	v_mov_b32_e32 v174, v0
.LBB54_612:                             ; =>This Inner Loop Header: Depth=1
	v_add_u32_e32 v38, -8, v7
	scratch_load_dwordx4 v[176:179], v38, off
	ds_read_b128 v[180:183], v6
	v_add_u32_e32 v174, 1, v174
	v_cmp_lt_u32_e32 vcc, 21, v174
	v_add_u32_e32 v6, 16, v6
	v_add_u32_e32 v7, 16, v7
	s_or_b64 s[8:9], vcc, s[8:9]
	s_waitcnt vmcnt(0) lgkmcnt(0)
	v_mul_f64 v[38:39], v[182:183], v[178:179]
	v_mul_f64 v[178:179], v[180:181], v[178:179]
	v_fma_f64 v[38:39], v[180:181], v[176:177], -v[38:39]
	v_fmac_f64_e32 v[178:179], v[182:183], v[176:177]
	v_add_f64 v[2:3], v[2:3], v[38:39]
	v_add_f64 v[4:5], v[4:5], v[178:179]
	s_andn2_b64 exec, exec, s[8:9]
	s_cbranch_execnz .LBB54_612
; %bb.613:
	s_or_b64 exec, exec, s[8:9]
.LBB54_614:
	s_or_b64 exec, exec, s[6:7]
	v_mov_b32_e32 v6, 0
	ds_read_b128 v[174:177], v6 offset:368
	s_waitcnt lgkmcnt(0)
	v_mul_f64 v[6:7], v[4:5], v[176:177]
	v_mul_f64 v[178:179], v[2:3], v[176:177]
	v_fma_f64 v[176:177], v[2:3], v[174:175], -v[6:7]
	v_fmac_f64_e32 v[178:179], v[4:5], v[174:175]
	scratch_store_dwordx4 off, v[176:179], off offset:368
.LBB54_615:
	s_or_b64 exec, exec, s[2:3]
	scratch_load_dwordx4 v[2:5], v150, off
	v_cmp_gt_u32_e32 vcc, 24, v0
	s_waitcnt vmcnt(0)
	ds_write_b128 v9, v[2:5]
	s_waitcnt lgkmcnt(0)
	; wave barrier
	s_waitcnt lgkmcnt(0)
	s_and_saveexec_b64 s[2:3], vcc
	s_cbranch_execz .LBB54_623
; %bb.616:
	ds_read_b128 v[2:5], v9
	s_and_b64 vcc, exec, s[0:1]
	s_cbranch_vccnz .LBB54_618
; %bb.617:
	scratch_load_dwordx4 v[174:177], v8, off
	s_waitcnt vmcnt(0) lgkmcnt(0)
	v_mul_f64 v[38:39], v[2:3], v[176:177]
	v_mul_f64 v[6:7], v[4:5], v[176:177]
	v_fmac_f64_e32 v[38:39], v[4:5], v[174:175]
	v_fma_f64 v[2:3], v[2:3], v[174:175], -v[6:7]
	v_mov_b64_e32 v[4:5], v[38:39]
.LBB54_618:
	v_cmp_ne_u32_e32 vcc, 23, v0
	s_and_saveexec_b64 s[6:7], vcc
	s_cbranch_execz .LBB54_622
; %bb.619:
	v_mov_b32_e32 v7, 0
	v_add_u32_e32 v6, 0x380, v66
	v_add3_u32 v7, v66, v7, 24
	s_mov_b64 s[8:9], 0
	v_mov_b32_e32 v174, v0
.LBB54_620:                             ; =>This Inner Loop Header: Depth=1
	v_add_u32_e32 v38, -8, v7
	scratch_load_dwordx4 v[176:179], v38, off
	ds_read_b128 v[180:183], v6
	v_add_u32_e32 v174, 1, v174
	v_cmp_lt_u32_e32 vcc, 22, v174
	v_add_u32_e32 v6, 16, v6
	v_add_u32_e32 v7, 16, v7
	s_or_b64 s[8:9], vcc, s[8:9]
	s_waitcnt vmcnt(0) lgkmcnt(0)
	v_mul_f64 v[38:39], v[182:183], v[178:179]
	v_mul_f64 v[178:179], v[180:181], v[178:179]
	v_fma_f64 v[38:39], v[180:181], v[176:177], -v[38:39]
	v_fmac_f64_e32 v[178:179], v[182:183], v[176:177]
	v_add_f64 v[2:3], v[2:3], v[38:39]
	v_add_f64 v[4:5], v[4:5], v[178:179]
	s_andn2_b64 exec, exec, s[8:9]
	s_cbranch_execnz .LBB54_620
; %bb.621:
	s_or_b64 exec, exec, s[8:9]
.LBB54_622:
	s_or_b64 exec, exec, s[6:7]
	v_mov_b32_e32 v6, 0
	ds_read_b128 v[174:177], v6 offset:384
	s_waitcnt lgkmcnt(0)
	v_mul_f64 v[6:7], v[4:5], v[176:177]
	v_mul_f64 v[178:179], v[2:3], v[176:177]
	v_fma_f64 v[176:177], v[2:3], v[174:175], -v[6:7]
	v_fmac_f64_e32 v[178:179], v[4:5], v[174:175]
	scratch_store_dwordx4 off, v[176:179], off offset:384
.LBB54_623:
	s_or_b64 exec, exec, s[2:3]
	scratch_load_dwordx4 v[2:5], v149, off
	v_cmp_gt_u32_e32 vcc, 25, v0
	s_waitcnt vmcnt(0)
	ds_write_b128 v9, v[2:5]
	s_waitcnt lgkmcnt(0)
	; wave barrier
	s_waitcnt lgkmcnt(0)
	s_and_saveexec_b64 s[2:3], vcc
	s_cbranch_execz .LBB54_631
; %bb.624:
	ds_read_b128 v[2:5], v9
	s_and_b64 vcc, exec, s[0:1]
	s_cbranch_vccnz .LBB54_626
; %bb.625:
	scratch_load_dwordx4 v[174:177], v8, off
	s_waitcnt vmcnt(0) lgkmcnt(0)
	v_mul_f64 v[38:39], v[2:3], v[176:177]
	v_mul_f64 v[6:7], v[4:5], v[176:177]
	v_fmac_f64_e32 v[38:39], v[4:5], v[174:175]
	v_fma_f64 v[2:3], v[2:3], v[174:175], -v[6:7]
	v_mov_b64_e32 v[4:5], v[38:39]
.LBB54_626:
	v_cmp_ne_u32_e32 vcc, 24, v0
	s_and_saveexec_b64 s[6:7], vcc
	s_cbranch_execz .LBB54_630
; %bb.627:
	v_mov_b32_e32 v7, 0
	v_add_u32_e32 v6, 0x380, v66
	v_add3_u32 v7, v66, v7, 24
	s_mov_b64 s[8:9], 0
	v_mov_b32_e32 v174, v0
.LBB54_628:                             ; =>This Inner Loop Header: Depth=1
	v_add_u32_e32 v38, -8, v7
	scratch_load_dwordx4 v[176:179], v38, off
	ds_read_b128 v[180:183], v6
	v_add_u32_e32 v174, 1, v174
	v_cmp_lt_u32_e32 vcc, 23, v174
	v_add_u32_e32 v6, 16, v6
	v_add_u32_e32 v7, 16, v7
	s_or_b64 s[8:9], vcc, s[8:9]
	s_waitcnt vmcnt(0) lgkmcnt(0)
	v_mul_f64 v[38:39], v[182:183], v[178:179]
	v_mul_f64 v[178:179], v[180:181], v[178:179]
	v_fma_f64 v[38:39], v[180:181], v[176:177], -v[38:39]
	v_fmac_f64_e32 v[178:179], v[182:183], v[176:177]
	v_add_f64 v[2:3], v[2:3], v[38:39]
	v_add_f64 v[4:5], v[4:5], v[178:179]
	s_andn2_b64 exec, exec, s[8:9]
	s_cbranch_execnz .LBB54_628
; %bb.629:
	s_or_b64 exec, exec, s[8:9]
.LBB54_630:
	s_or_b64 exec, exec, s[6:7]
	v_mov_b32_e32 v6, 0
	ds_read_b128 v[174:177], v6 offset:400
	s_waitcnt lgkmcnt(0)
	v_mul_f64 v[6:7], v[4:5], v[176:177]
	v_mul_f64 v[178:179], v[2:3], v[176:177]
	v_fma_f64 v[176:177], v[2:3], v[174:175], -v[6:7]
	v_fmac_f64_e32 v[178:179], v[4:5], v[174:175]
	scratch_store_dwordx4 off, v[176:179], off offset:400
.LBB54_631:
	s_or_b64 exec, exec, s[2:3]
	scratch_load_dwordx4 v[2:5], v148, off
	v_cmp_gt_u32_e32 vcc, 26, v0
	s_waitcnt vmcnt(0)
	ds_write_b128 v9, v[2:5]
	s_waitcnt lgkmcnt(0)
	; wave barrier
	s_waitcnt lgkmcnt(0)
	s_and_saveexec_b64 s[2:3], vcc
	s_cbranch_execz .LBB54_639
; %bb.632:
	ds_read_b128 v[2:5], v9
	s_and_b64 vcc, exec, s[0:1]
	s_cbranch_vccnz .LBB54_634
; %bb.633:
	scratch_load_dwordx4 v[174:177], v8, off
	s_waitcnt vmcnt(0) lgkmcnt(0)
	v_mul_f64 v[38:39], v[2:3], v[176:177]
	v_mul_f64 v[6:7], v[4:5], v[176:177]
	v_fmac_f64_e32 v[38:39], v[4:5], v[174:175]
	v_fma_f64 v[2:3], v[2:3], v[174:175], -v[6:7]
	v_mov_b64_e32 v[4:5], v[38:39]
.LBB54_634:
	v_cmp_ne_u32_e32 vcc, 25, v0
	s_and_saveexec_b64 s[6:7], vcc
	s_cbranch_execz .LBB54_638
; %bb.635:
	v_mov_b32_e32 v7, 0
	v_add_u32_e32 v6, 0x380, v66
	v_add3_u32 v7, v66, v7, 24
	s_mov_b64 s[8:9], 0
	v_mov_b32_e32 v174, v0
.LBB54_636:                             ; =>This Inner Loop Header: Depth=1
	v_add_u32_e32 v38, -8, v7
	scratch_load_dwordx4 v[176:179], v38, off
	ds_read_b128 v[180:183], v6
	v_add_u32_e32 v174, 1, v174
	v_cmp_lt_u32_e32 vcc, 24, v174
	v_add_u32_e32 v6, 16, v6
	v_add_u32_e32 v7, 16, v7
	s_or_b64 s[8:9], vcc, s[8:9]
	s_waitcnt vmcnt(0) lgkmcnt(0)
	v_mul_f64 v[38:39], v[182:183], v[178:179]
	v_mul_f64 v[178:179], v[180:181], v[178:179]
	v_fma_f64 v[38:39], v[180:181], v[176:177], -v[38:39]
	v_fmac_f64_e32 v[178:179], v[182:183], v[176:177]
	v_add_f64 v[2:3], v[2:3], v[38:39]
	v_add_f64 v[4:5], v[4:5], v[178:179]
	s_andn2_b64 exec, exec, s[8:9]
	s_cbranch_execnz .LBB54_636
; %bb.637:
	s_or_b64 exec, exec, s[8:9]
.LBB54_638:
	s_or_b64 exec, exec, s[6:7]
	v_mov_b32_e32 v6, 0
	ds_read_b128 v[174:177], v6 offset:416
	s_waitcnt lgkmcnt(0)
	v_mul_f64 v[6:7], v[4:5], v[176:177]
	v_mul_f64 v[178:179], v[2:3], v[176:177]
	v_fma_f64 v[176:177], v[2:3], v[174:175], -v[6:7]
	v_fmac_f64_e32 v[178:179], v[4:5], v[174:175]
	scratch_store_dwordx4 off, v[176:179], off offset:416
.LBB54_639:
	s_or_b64 exec, exec, s[2:3]
	scratch_load_dwordx4 v[2:5], v147, off
	v_cmp_gt_u32_e32 vcc, 27, v0
	s_waitcnt vmcnt(0)
	ds_write_b128 v9, v[2:5]
	s_waitcnt lgkmcnt(0)
	; wave barrier
	s_waitcnt lgkmcnt(0)
	s_and_saveexec_b64 s[2:3], vcc
	s_cbranch_execz .LBB54_647
; %bb.640:
	ds_read_b128 v[2:5], v9
	s_and_b64 vcc, exec, s[0:1]
	s_cbranch_vccnz .LBB54_642
; %bb.641:
	scratch_load_dwordx4 v[174:177], v8, off
	s_waitcnt vmcnt(0) lgkmcnt(0)
	v_mul_f64 v[38:39], v[2:3], v[176:177]
	v_mul_f64 v[6:7], v[4:5], v[176:177]
	v_fmac_f64_e32 v[38:39], v[4:5], v[174:175]
	v_fma_f64 v[2:3], v[2:3], v[174:175], -v[6:7]
	v_mov_b64_e32 v[4:5], v[38:39]
.LBB54_642:
	v_cmp_ne_u32_e32 vcc, 26, v0
	s_and_saveexec_b64 s[6:7], vcc
	s_cbranch_execz .LBB54_646
; %bb.643:
	v_mov_b32_e32 v7, 0
	v_add_u32_e32 v6, 0x380, v66
	v_add3_u32 v7, v66, v7, 24
	s_mov_b64 s[8:9], 0
	v_mov_b32_e32 v174, v0
.LBB54_644:                             ; =>This Inner Loop Header: Depth=1
	v_add_u32_e32 v38, -8, v7
	scratch_load_dwordx4 v[176:179], v38, off
	ds_read_b128 v[180:183], v6
	v_add_u32_e32 v174, 1, v174
	v_cmp_lt_u32_e32 vcc, 25, v174
	v_add_u32_e32 v6, 16, v6
	v_add_u32_e32 v7, 16, v7
	s_or_b64 s[8:9], vcc, s[8:9]
	s_waitcnt vmcnt(0) lgkmcnt(0)
	v_mul_f64 v[38:39], v[182:183], v[178:179]
	v_mul_f64 v[178:179], v[180:181], v[178:179]
	v_fma_f64 v[38:39], v[180:181], v[176:177], -v[38:39]
	v_fmac_f64_e32 v[178:179], v[182:183], v[176:177]
	v_add_f64 v[2:3], v[2:3], v[38:39]
	v_add_f64 v[4:5], v[4:5], v[178:179]
	s_andn2_b64 exec, exec, s[8:9]
	s_cbranch_execnz .LBB54_644
; %bb.645:
	s_or_b64 exec, exec, s[8:9]
.LBB54_646:
	s_or_b64 exec, exec, s[6:7]
	v_mov_b32_e32 v6, 0
	ds_read_b128 v[174:177], v6 offset:432
	s_waitcnt lgkmcnt(0)
	v_mul_f64 v[6:7], v[4:5], v[176:177]
	v_mul_f64 v[178:179], v[2:3], v[176:177]
	v_fma_f64 v[176:177], v[2:3], v[174:175], -v[6:7]
	v_fmac_f64_e32 v[178:179], v[4:5], v[174:175]
	scratch_store_dwordx4 off, v[176:179], off offset:432
.LBB54_647:
	s_or_b64 exec, exec, s[2:3]
	scratch_load_dwordx4 v[2:5], v146, off
	v_cmp_gt_u32_e32 vcc, 28, v0
	s_waitcnt vmcnt(0)
	ds_write_b128 v9, v[2:5]
	s_waitcnt lgkmcnt(0)
	; wave barrier
	s_waitcnt lgkmcnt(0)
	s_and_saveexec_b64 s[2:3], vcc
	s_cbranch_execz .LBB54_655
; %bb.648:
	ds_read_b128 v[2:5], v9
	s_and_b64 vcc, exec, s[0:1]
	s_cbranch_vccnz .LBB54_650
; %bb.649:
	scratch_load_dwordx4 v[174:177], v8, off
	s_waitcnt vmcnt(0) lgkmcnt(0)
	v_mul_f64 v[38:39], v[2:3], v[176:177]
	v_mul_f64 v[6:7], v[4:5], v[176:177]
	v_fmac_f64_e32 v[38:39], v[4:5], v[174:175]
	v_fma_f64 v[2:3], v[2:3], v[174:175], -v[6:7]
	v_mov_b64_e32 v[4:5], v[38:39]
.LBB54_650:
	v_cmp_ne_u32_e32 vcc, 27, v0
	s_and_saveexec_b64 s[6:7], vcc
	s_cbranch_execz .LBB54_654
; %bb.651:
	v_mov_b32_e32 v7, 0
	v_add_u32_e32 v6, 0x380, v66
	v_add3_u32 v7, v66, v7, 24
	s_mov_b64 s[8:9], 0
	v_mov_b32_e32 v174, v0
.LBB54_652:                             ; =>This Inner Loop Header: Depth=1
	v_add_u32_e32 v38, -8, v7
	scratch_load_dwordx4 v[176:179], v38, off
	ds_read_b128 v[180:183], v6
	v_add_u32_e32 v174, 1, v174
	v_cmp_lt_u32_e32 vcc, 26, v174
	v_add_u32_e32 v6, 16, v6
	v_add_u32_e32 v7, 16, v7
	s_or_b64 s[8:9], vcc, s[8:9]
	s_waitcnt vmcnt(0) lgkmcnt(0)
	v_mul_f64 v[38:39], v[182:183], v[178:179]
	v_mul_f64 v[178:179], v[180:181], v[178:179]
	v_fma_f64 v[38:39], v[180:181], v[176:177], -v[38:39]
	v_fmac_f64_e32 v[178:179], v[182:183], v[176:177]
	v_add_f64 v[2:3], v[2:3], v[38:39]
	v_add_f64 v[4:5], v[4:5], v[178:179]
	s_andn2_b64 exec, exec, s[8:9]
	s_cbranch_execnz .LBB54_652
; %bb.653:
	s_or_b64 exec, exec, s[8:9]
.LBB54_654:
	s_or_b64 exec, exec, s[6:7]
	v_mov_b32_e32 v6, 0
	ds_read_b128 v[174:177], v6 offset:448
	s_waitcnt lgkmcnt(0)
	v_mul_f64 v[6:7], v[4:5], v[176:177]
	v_mul_f64 v[178:179], v[2:3], v[176:177]
	v_fma_f64 v[176:177], v[2:3], v[174:175], -v[6:7]
	v_fmac_f64_e32 v[178:179], v[4:5], v[174:175]
	scratch_store_dwordx4 off, v[176:179], off offset:448
.LBB54_655:
	s_or_b64 exec, exec, s[2:3]
	scratch_load_dwordx4 v[2:5], v145, off
	v_cmp_gt_u32_e32 vcc, 29, v0
	s_waitcnt vmcnt(0)
	ds_write_b128 v9, v[2:5]
	s_waitcnt lgkmcnt(0)
	; wave barrier
	s_waitcnt lgkmcnt(0)
	s_and_saveexec_b64 s[2:3], vcc
	s_cbranch_execz .LBB54_663
; %bb.656:
	ds_read_b128 v[2:5], v9
	s_and_b64 vcc, exec, s[0:1]
	s_cbranch_vccnz .LBB54_658
; %bb.657:
	scratch_load_dwordx4 v[174:177], v8, off
	s_waitcnt vmcnt(0) lgkmcnt(0)
	v_mul_f64 v[38:39], v[2:3], v[176:177]
	v_mul_f64 v[6:7], v[4:5], v[176:177]
	v_fmac_f64_e32 v[38:39], v[4:5], v[174:175]
	v_fma_f64 v[2:3], v[2:3], v[174:175], -v[6:7]
	v_mov_b64_e32 v[4:5], v[38:39]
.LBB54_658:
	v_cmp_ne_u32_e32 vcc, 28, v0
	s_and_saveexec_b64 s[6:7], vcc
	s_cbranch_execz .LBB54_662
; %bb.659:
	v_mov_b32_e32 v7, 0
	v_add_u32_e32 v6, 0x380, v66
	v_add3_u32 v7, v66, v7, 24
	s_mov_b64 s[8:9], 0
	v_mov_b32_e32 v174, v0
.LBB54_660:                             ; =>This Inner Loop Header: Depth=1
	v_add_u32_e32 v38, -8, v7
	scratch_load_dwordx4 v[176:179], v38, off
	ds_read_b128 v[180:183], v6
	v_add_u32_e32 v174, 1, v174
	v_cmp_lt_u32_e32 vcc, 27, v174
	v_add_u32_e32 v6, 16, v6
	v_add_u32_e32 v7, 16, v7
	s_or_b64 s[8:9], vcc, s[8:9]
	s_waitcnt vmcnt(0) lgkmcnt(0)
	v_mul_f64 v[38:39], v[182:183], v[178:179]
	v_mul_f64 v[178:179], v[180:181], v[178:179]
	v_fma_f64 v[38:39], v[180:181], v[176:177], -v[38:39]
	v_fmac_f64_e32 v[178:179], v[182:183], v[176:177]
	v_add_f64 v[2:3], v[2:3], v[38:39]
	v_add_f64 v[4:5], v[4:5], v[178:179]
	s_andn2_b64 exec, exec, s[8:9]
	s_cbranch_execnz .LBB54_660
; %bb.661:
	s_or_b64 exec, exec, s[8:9]
.LBB54_662:
	s_or_b64 exec, exec, s[6:7]
	v_mov_b32_e32 v6, 0
	ds_read_b128 v[174:177], v6 offset:464
	s_waitcnt lgkmcnt(0)
	v_mul_f64 v[6:7], v[4:5], v[176:177]
	v_mul_f64 v[178:179], v[2:3], v[176:177]
	v_fma_f64 v[176:177], v[2:3], v[174:175], -v[6:7]
	v_fmac_f64_e32 v[178:179], v[4:5], v[174:175]
	scratch_store_dwordx4 off, v[176:179], off offset:464
.LBB54_663:
	s_or_b64 exec, exec, s[2:3]
	scratch_load_dwordx4 v[2:5], v144, off
	v_cmp_gt_u32_e32 vcc, 30, v0
	s_waitcnt vmcnt(0)
	ds_write_b128 v9, v[2:5]
	s_waitcnt lgkmcnt(0)
	; wave barrier
	s_waitcnt lgkmcnt(0)
	s_and_saveexec_b64 s[2:3], vcc
	s_cbranch_execz .LBB54_671
; %bb.664:
	ds_read_b128 v[2:5], v9
	s_and_b64 vcc, exec, s[0:1]
	s_cbranch_vccnz .LBB54_666
; %bb.665:
	scratch_load_dwordx4 v[174:177], v8, off
	s_waitcnt vmcnt(0) lgkmcnt(0)
	v_mul_f64 v[38:39], v[2:3], v[176:177]
	v_mul_f64 v[6:7], v[4:5], v[176:177]
	v_fmac_f64_e32 v[38:39], v[4:5], v[174:175]
	v_fma_f64 v[2:3], v[2:3], v[174:175], -v[6:7]
	v_mov_b64_e32 v[4:5], v[38:39]
.LBB54_666:
	v_cmp_ne_u32_e32 vcc, 29, v0
	s_and_saveexec_b64 s[6:7], vcc
	s_cbranch_execz .LBB54_670
; %bb.667:
	v_mov_b32_e32 v7, 0
	v_add_u32_e32 v6, 0x380, v66
	v_add3_u32 v7, v66, v7, 24
	s_mov_b64 s[8:9], 0
	v_mov_b32_e32 v174, v0
.LBB54_668:                             ; =>This Inner Loop Header: Depth=1
	v_add_u32_e32 v38, -8, v7
	scratch_load_dwordx4 v[176:179], v38, off
	ds_read_b128 v[180:183], v6
	v_add_u32_e32 v174, 1, v174
	v_cmp_lt_u32_e32 vcc, 28, v174
	v_add_u32_e32 v6, 16, v6
	v_add_u32_e32 v7, 16, v7
	s_or_b64 s[8:9], vcc, s[8:9]
	s_waitcnt vmcnt(0) lgkmcnt(0)
	v_mul_f64 v[38:39], v[182:183], v[178:179]
	v_mul_f64 v[178:179], v[180:181], v[178:179]
	v_fma_f64 v[38:39], v[180:181], v[176:177], -v[38:39]
	v_fmac_f64_e32 v[178:179], v[182:183], v[176:177]
	v_add_f64 v[2:3], v[2:3], v[38:39]
	v_add_f64 v[4:5], v[4:5], v[178:179]
	s_andn2_b64 exec, exec, s[8:9]
	s_cbranch_execnz .LBB54_668
; %bb.669:
	s_or_b64 exec, exec, s[8:9]
.LBB54_670:
	s_or_b64 exec, exec, s[6:7]
	v_mov_b32_e32 v6, 0
	ds_read_b128 v[174:177], v6 offset:480
	s_waitcnt lgkmcnt(0)
	v_mul_f64 v[6:7], v[4:5], v[176:177]
	v_mul_f64 v[178:179], v[2:3], v[176:177]
	v_fma_f64 v[176:177], v[2:3], v[174:175], -v[6:7]
	v_fmac_f64_e32 v[178:179], v[4:5], v[174:175]
	scratch_store_dwordx4 off, v[176:179], off offset:480
.LBB54_671:
	s_or_b64 exec, exec, s[2:3]
	scratch_load_dwordx4 v[2:5], v143, off
	v_cmp_gt_u32_e32 vcc, 31, v0
	s_waitcnt vmcnt(0)
	ds_write_b128 v9, v[2:5]
	s_waitcnt lgkmcnt(0)
	; wave barrier
	s_waitcnt lgkmcnt(0)
	s_and_saveexec_b64 s[2:3], vcc
	s_cbranch_execz .LBB54_679
; %bb.672:
	ds_read_b128 v[2:5], v9
	s_and_b64 vcc, exec, s[0:1]
	s_cbranch_vccnz .LBB54_674
; %bb.673:
	scratch_load_dwordx4 v[174:177], v8, off
	s_waitcnt vmcnt(0) lgkmcnt(0)
	v_mul_f64 v[38:39], v[2:3], v[176:177]
	v_mul_f64 v[6:7], v[4:5], v[176:177]
	v_fmac_f64_e32 v[38:39], v[4:5], v[174:175]
	v_fma_f64 v[2:3], v[2:3], v[174:175], -v[6:7]
	v_mov_b64_e32 v[4:5], v[38:39]
.LBB54_674:
	v_cmp_ne_u32_e32 vcc, 30, v0
	s_and_saveexec_b64 s[6:7], vcc
	s_cbranch_execz .LBB54_678
; %bb.675:
	v_mov_b32_e32 v7, 0
	v_add_u32_e32 v6, 0x380, v66
	v_add3_u32 v7, v66, v7, 24
	s_mov_b64 s[8:9], 0
	v_mov_b32_e32 v174, v0
.LBB54_676:                             ; =>This Inner Loop Header: Depth=1
	v_add_u32_e32 v38, -8, v7
	scratch_load_dwordx4 v[176:179], v38, off
	ds_read_b128 v[180:183], v6
	v_add_u32_e32 v174, 1, v174
	v_cmp_lt_u32_e32 vcc, 29, v174
	v_add_u32_e32 v6, 16, v6
	v_add_u32_e32 v7, 16, v7
	s_or_b64 s[8:9], vcc, s[8:9]
	s_waitcnt vmcnt(0) lgkmcnt(0)
	v_mul_f64 v[38:39], v[182:183], v[178:179]
	v_mul_f64 v[178:179], v[180:181], v[178:179]
	v_fma_f64 v[38:39], v[180:181], v[176:177], -v[38:39]
	v_fmac_f64_e32 v[178:179], v[182:183], v[176:177]
	v_add_f64 v[2:3], v[2:3], v[38:39]
	v_add_f64 v[4:5], v[4:5], v[178:179]
	s_andn2_b64 exec, exec, s[8:9]
	s_cbranch_execnz .LBB54_676
; %bb.677:
	s_or_b64 exec, exec, s[8:9]
.LBB54_678:
	s_or_b64 exec, exec, s[6:7]
	v_mov_b32_e32 v6, 0
	ds_read_b128 v[174:177], v6 offset:496
	s_waitcnt lgkmcnt(0)
	v_mul_f64 v[6:7], v[4:5], v[176:177]
	v_mul_f64 v[178:179], v[2:3], v[176:177]
	v_fma_f64 v[176:177], v[2:3], v[174:175], -v[6:7]
	v_fmac_f64_e32 v[178:179], v[4:5], v[174:175]
	scratch_store_dwordx4 off, v[176:179], off offset:496
.LBB54_679:
	s_or_b64 exec, exec, s[2:3]
	scratch_load_dwordx4 v[2:5], v142, off
	v_cmp_gt_u32_e32 vcc, 32, v0
	s_waitcnt vmcnt(0)
	ds_write_b128 v9, v[2:5]
	s_waitcnt lgkmcnt(0)
	; wave barrier
	s_waitcnt lgkmcnt(0)
	s_and_saveexec_b64 s[2:3], vcc
	s_cbranch_execz .LBB54_687
; %bb.680:
	ds_read_b128 v[2:5], v9
	s_and_b64 vcc, exec, s[0:1]
	s_cbranch_vccnz .LBB54_682
; %bb.681:
	scratch_load_dwordx4 v[174:177], v8, off
	s_waitcnt vmcnt(0) lgkmcnt(0)
	v_mul_f64 v[38:39], v[2:3], v[176:177]
	v_mul_f64 v[6:7], v[4:5], v[176:177]
	v_fmac_f64_e32 v[38:39], v[4:5], v[174:175]
	v_fma_f64 v[2:3], v[2:3], v[174:175], -v[6:7]
	v_mov_b64_e32 v[4:5], v[38:39]
.LBB54_682:
	v_cmp_ne_u32_e32 vcc, 31, v0
	s_and_saveexec_b64 s[6:7], vcc
	s_cbranch_execz .LBB54_686
; %bb.683:
	v_mov_b32_e32 v7, 0
	v_add_u32_e32 v6, 0x380, v66
	v_add3_u32 v7, v66, v7, 24
	s_mov_b64 s[8:9], 0
	v_mov_b32_e32 v174, v0
.LBB54_684:                             ; =>This Inner Loop Header: Depth=1
	v_add_u32_e32 v38, -8, v7
	scratch_load_dwordx4 v[176:179], v38, off
	ds_read_b128 v[180:183], v6
	v_add_u32_e32 v174, 1, v174
	v_cmp_lt_u32_e32 vcc, 30, v174
	v_add_u32_e32 v6, 16, v6
	v_add_u32_e32 v7, 16, v7
	s_or_b64 s[8:9], vcc, s[8:9]
	s_waitcnt vmcnt(0) lgkmcnt(0)
	v_mul_f64 v[38:39], v[182:183], v[178:179]
	v_mul_f64 v[178:179], v[180:181], v[178:179]
	v_fma_f64 v[38:39], v[180:181], v[176:177], -v[38:39]
	v_fmac_f64_e32 v[178:179], v[182:183], v[176:177]
	v_add_f64 v[2:3], v[2:3], v[38:39]
	v_add_f64 v[4:5], v[4:5], v[178:179]
	s_andn2_b64 exec, exec, s[8:9]
	s_cbranch_execnz .LBB54_684
; %bb.685:
	s_or_b64 exec, exec, s[8:9]
.LBB54_686:
	s_or_b64 exec, exec, s[6:7]
	v_mov_b32_e32 v6, 0
	ds_read_b128 v[174:177], v6 offset:512
	s_waitcnt lgkmcnt(0)
	v_mul_f64 v[6:7], v[4:5], v[176:177]
	v_mul_f64 v[178:179], v[2:3], v[176:177]
	v_fma_f64 v[176:177], v[2:3], v[174:175], -v[6:7]
	v_fmac_f64_e32 v[178:179], v[4:5], v[174:175]
	scratch_store_dwordx4 off, v[176:179], off offset:512
.LBB54_687:
	s_or_b64 exec, exec, s[2:3]
	scratch_load_dwordx4 v[2:5], v141, off
	v_cmp_gt_u32_e32 vcc, 33, v0
	s_waitcnt vmcnt(0)
	ds_write_b128 v9, v[2:5]
	s_waitcnt lgkmcnt(0)
	; wave barrier
	s_waitcnt lgkmcnt(0)
	s_and_saveexec_b64 s[2:3], vcc
	s_cbranch_execz .LBB54_695
; %bb.688:
	ds_read_b128 v[2:5], v9
	s_and_b64 vcc, exec, s[0:1]
	s_cbranch_vccnz .LBB54_690
; %bb.689:
	scratch_load_dwordx4 v[174:177], v8, off
	s_waitcnt vmcnt(0) lgkmcnt(0)
	v_mul_f64 v[38:39], v[2:3], v[176:177]
	v_mul_f64 v[6:7], v[4:5], v[176:177]
	v_fmac_f64_e32 v[38:39], v[4:5], v[174:175]
	v_fma_f64 v[2:3], v[2:3], v[174:175], -v[6:7]
	v_mov_b64_e32 v[4:5], v[38:39]
.LBB54_690:
	v_cmp_ne_u32_e32 vcc, 32, v0
	s_and_saveexec_b64 s[6:7], vcc
	s_cbranch_execz .LBB54_694
; %bb.691:
	v_mov_b32_e32 v7, 0
	v_add_u32_e32 v6, 0x380, v66
	v_add3_u32 v7, v66, v7, 24
	s_mov_b64 s[8:9], 0
	v_mov_b32_e32 v174, v0
.LBB54_692:                             ; =>This Inner Loop Header: Depth=1
	v_add_u32_e32 v38, -8, v7
	scratch_load_dwordx4 v[176:179], v38, off
	ds_read_b128 v[180:183], v6
	v_add_u32_e32 v174, 1, v174
	v_cmp_lt_u32_e32 vcc, 31, v174
	v_add_u32_e32 v6, 16, v6
	v_add_u32_e32 v7, 16, v7
	s_or_b64 s[8:9], vcc, s[8:9]
	s_waitcnt vmcnt(0) lgkmcnt(0)
	v_mul_f64 v[38:39], v[182:183], v[178:179]
	v_mul_f64 v[178:179], v[180:181], v[178:179]
	v_fma_f64 v[38:39], v[180:181], v[176:177], -v[38:39]
	v_fmac_f64_e32 v[178:179], v[182:183], v[176:177]
	v_add_f64 v[2:3], v[2:3], v[38:39]
	v_add_f64 v[4:5], v[4:5], v[178:179]
	s_andn2_b64 exec, exec, s[8:9]
	s_cbranch_execnz .LBB54_692
; %bb.693:
	s_or_b64 exec, exec, s[8:9]
.LBB54_694:
	s_or_b64 exec, exec, s[6:7]
	v_mov_b32_e32 v6, 0
	ds_read_b128 v[174:177], v6 offset:528
	s_waitcnt lgkmcnt(0)
	v_mul_f64 v[6:7], v[4:5], v[176:177]
	v_mul_f64 v[178:179], v[2:3], v[176:177]
	v_fma_f64 v[176:177], v[2:3], v[174:175], -v[6:7]
	v_fmac_f64_e32 v[178:179], v[4:5], v[174:175]
	scratch_store_dwordx4 off, v[176:179], off offset:528
.LBB54_695:
	s_or_b64 exec, exec, s[2:3]
	scratch_load_dwordx4 v[2:5], v140, off
	v_cmp_gt_u32_e32 vcc, 34, v0
	s_waitcnt vmcnt(0)
	ds_write_b128 v9, v[2:5]
	s_waitcnt lgkmcnt(0)
	; wave barrier
	s_waitcnt lgkmcnt(0)
	s_and_saveexec_b64 s[2:3], vcc
	s_cbranch_execz .LBB54_703
; %bb.696:
	ds_read_b128 v[2:5], v9
	s_and_b64 vcc, exec, s[0:1]
	s_cbranch_vccnz .LBB54_698
; %bb.697:
	scratch_load_dwordx4 v[174:177], v8, off
	s_waitcnt vmcnt(0) lgkmcnt(0)
	v_mul_f64 v[38:39], v[2:3], v[176:177]
	v_mul_f64 v[6:7], v[4:5], v[176:177]
	v_fmac_f64_e32 v[38:39], v[4:5], v[174:175]
	v_fma_f64 v[2:3], v[2:3], v[174:175], -v[6:7]
	v_mov_b64_e32 v[4:5], v[38:39]
.LBB54_698:
	v_cmp_ne_u32_e32 vcc, 33, v0
	s_and_saveexec_b64 s[6:7], vcc
	s_cbranch_execz .LBB54_702
; %bb.699:
	v_mov_b32_e32 v7, 0
	v_add_u32_e32 v6, 0x380, v66
	v_add3_u32 v7, v66, v7, 24
	s_mov_b64 s[8:9], 0
	v_mov_b32_e32 v174, v0
.LBB54_700:                             ; =>This Inner Loop Header: Depth=1
	v_add_u32_e32 v38, -8, v7
	scratch_load_dwordx4 v[176:179], v38, off
	ds_read_b128 v[180:183], v6
	v_add_u32_e32 v174, 1, v174
	v_cmp_lt_u32_e32 vcc, 32, v174
	v_add_u32_e32 v6, 16, v6
	v_add_u32_e32 v7, 16, v7
	s_or_b64 s[8:9], vcc, s[8:9]
	s_waitcnt vmcnt(0) lgkmcnt(0)
	v_mul_f64 v[38:39], v[182:183], v[178:179]
	v_mul_f64 v[178:179], v[180:181], v[178:179]
	v_fma_f64 v[38:39], v[180:181], v[176:177], -v[38:39]
	v_fmac_f64_e32 v[178:179], v[182:183], v[176:177]
	v_add_f64 v[2:3], v[2:3], v[38:39]
	v_add_f64 v[4:5], v[4:5], v[178:179]
	s_andn2_b64 exec, exec, s[8:9]
	s_cbranch_execnz .LBB54_700
; %bb.701:
	s_or_b64 exec, exec, s[8:9]
.LBB54_702:
	s_or_b64 exec, exec, s[6:7]
	v_mov_b32_e32 v6, 0
	ds_read_b128 v[174:177], v6 offset:544
	s_waitcnt lgkmcnt(0)
	v_mul_f64 v[6:7], v[4:5], v[176:177]
	v_mul_f64 v[178:179], v[2:3], v[176:177]
	v_fma_f64 v[176:177], v[2:3], v[174:175], -v[6:7]
	v_fmac_f64_e32 v[178:179], v[4:5], v[174:175]
	scratch_store_dwordx4 off, v[176:179], off offset:544
.LBB54_703:
	s_or_b64 exec, exec, s[2:3]
	scratch_load_dwordx4 v[2:5], v139, off
	v_cmp_gt_u32_e32 vcc, 35, v0
	s_waitcnt vmcnt(0)
	ds_write_b128 v9, v[2:5]
	s_waitcnt lgkmcnt(0)
	; wave barrier
	s_waitcnt lgkmcnt(0)
	s_and_saveexec_b64 s[2:3], vcc
	s_cbranch_execz .LBB54_711
; %bb.704:
	ds_read_b128 v[2:5], v9
	s_and_b64 vcc, exec, s[0:1]
	s_cbranch_vccnz .LBB54_706
; %bb.705:
	scratch_load_dwordx4 v[174:177], v8, off
	s_waitcnt vmcnt(0) lgkmcnt(0)
	v_mul_f64 v[38:39], v[2:3], v[176:177]
	v_mul_f64 v[6:7], v[4:5], v[176:177]
	v_fmac_f64_e32 v[38:39], v[4:5], v[174:175]
	v_fma_f64 v[2:3], v[2:3], v[174:175], -v[6:7]
	v_mov_b64_e32 v[4:5], v[38:39]
.LBB54_706:
	v_cmp_ne_u32_e32 vcc, 34, v0
	s_and_saveexec_b64 s[6:7], vcc
	s_cbranch_execz .LBB54_710
; %bb.707:
	v_mov_b32_e32 v7, 0
	v_add_u32_e32 v6, 0x380, v66
	v_add3_u32 v7, v66, v7, 24
	s_mov_b64 s[8:9], 0
	v_mov_b32_e32 v174, v0
.LBB54_708:                             ; =>This Inner Loop Header: Depth=1
	v_add_u32_e32 v38, -8, v7
	scratch_load_dwordx4 v[176:179], v38, off
	ds_read_b128 v[180:183], v6
	v_add_u32_e32 v174, 1, v174
	v_cmp_lt_u32_e32 vcc, 33, v174
	v_add_u32_e32 v6, 16, v6
	v_add_u32_e32 v7, 16, v7
	s_or_b64 s[8:9], vcc, s[8:9]
	s_waitcnt vmcnt(0) lgkmcnt(0)
	v_mul_f64 v[38:39], v[182:183], v[178:179]
	v_mul_f64 v[178:179], v[180:181], v[178:179]
	v_fma_f64 v[38:39], v[180:181], v[176:177], -v[38:39]
	v_fmac_f64_e32 v[178:179], v[182:183], v[176:177]
	v_add_f64 v[2:3], v[2:3], v[38:39]
	v_add_f64 v[4:5], v[4:5], v[178:179]
	s_andn2_b64 exec, exec, s[8:9]
	s_cbranch_execnz .LBB54_708
; %bb.709:
	s_or_b64 exec, exec, s[8:9]
.LBB54_710:
	s_or_b64 exec, exec, s[6:7]
	v_mov_b32_e32 v6, 0
	ds_read_b128 v[174:177], v6 offset:560
	s_waitcnt lgkmcnt(0)
	v_mul_f64 v[6:7], v[4:5], v[176:177]
	v_mul_f64 v[178:179], v[2:3], v[176:177]
	v_fma_f64 v[176:177], v[2:3], v[174:175], -v[6:7]
	v_fmac_f64_e32 v[178:179], v[4:5], v[174:175]
	scratch_store_dwordx4 off, v[176:179], off offset:560
.LBB54_711:
	s_or_b64 exec, exec, s[2:3]
	scratch_load_dwordx4 v[2:5], v138, off
	v_cmp_gt_u32_e32 vcc, 36, v0
	s_waitcnt vmcnt(0)
	ds_write_b128 v9, v[2:5]
	s_waitcnt lgkmcnt(0)
	; wave barrier
	s_waitcnt lgkmcnt(0)
	s_and_saveexec_b64 s[2:3], vcc
	s_cbranch_execz .LBB54_719
; %bb.712:
	ds_read_b128 v[2:5], v9
	s_and_b64 vcc, exec, s[0:1]
	s_cbranch_vccnz .LBB54_714
; %bb.713:
	scratch_load_dwordx4 v[174:177], v8, off
	s_waitcnt vmcnt(0) lgkmcnt(0)
	v_mul_f64 v[38:39], v[2:3], v[176:177]
	v_mul_f64 v[6:7], v[4:5], v[176:177]
	v_fmac_f64_e32 v[38:39], v[4:5], v[174:175]
	v_fma_f64 v[2:3], v[2:3], v[174:175], -v[6:7]
	v_mov_b64_e32 v[4:5], v[38:39]
.LBB54_714:
	v_cmp_ne_u32_e32 vcc, 35, v0
	s_and_saveexec_b64 s[6:7], vcc
	s_cbranch_execz .LBB54_718
; %bb.715:
	v_mov_b32_e32 v7, 0
	v_add_u32_e32 v6, 0x380, v66
	v_add3_u32 v7, v66, v7, 24
	s_mov_b64 s[8:9], 0
	v_mov_b32_e32 v174, v0
.LBB54_716:                             ; =>This Inner Loop Header: Depth=1
	v_add_u32_e32 v38, -8, v7
	scratch_load_dwordx4 v[176:179], v38, off
	ds_read_b128 v[180:183], v6
	v_add_u32_e32 v174, 1, v174
	v_cmp_lt_u32_e32 vcc, 34, v174
	v_add_u32_e32 v6, 16, v6
	v_add_u32_e32 v7, 16, v7
	s_or_b64 s[8:9], vcc, s[8:9]
	s_waitcnt vmcnt(0) lgkmcnt(0)
	v_mul_f64 v[38:39], v[182:183], v[178:179]
	v_mul_f64 v[178:179], v[180:181], v[178:179]
	v_fma_f64 v[38:39], v[180:181], v[176:177], -v[38:39]
	v_fmac_f64_e32 v[178:179], v[182:183], v[176:177]
	v_add_f64 v[2:3], v[2:3], v[38:39]
	v_add_f64 v[4:5], v[4:5], v[178:179]
	s_andn2_b64 exec, exec, s[8:9]
	s_cbranch_execnz .LBB54_716
; %bb.717:
	s_or_b64 exec, exec, s[8:9]
.LBB54_718:
	s_or_b64 exec, exec, s[6:7]
	v_mov_b32_e32 v6, 0
	ds_read_b128 v[174:177], v6 offset:576
	s_waitcnt lgkmcnt(0)
	v_mul_f64 v[6:7], v[4:5], v[176:177]
	v_mul_f64 v[178:179], v[2:3], v[176:177]
	v_fma_f64 v[176:177], v[2:3], v[174:175], -v[6:7]
	v_fmac_f64_e32 v[178:179], v[4:5], v[174:175]
	scratch_store_dwordx4 off, v[176:179], off offset:576
.LBB54_719:
	s_or_b64 exec, exec, s[2:3]
	scratch_load_dwordx4 v[2:5], v137, off
	v_cmp_gt_u32_e32 vcc, 37, v0
	s_waitcnt vmcnt(0)
	ds_write_b128 v9, v[2:5]
	s_waitcnt lgkmcnt(0)
	; wave barrier
	s_waitcnt lgkmcnt(0)
	s_and_saveexec_b64 s[2:3], vcc
	s_cbranch_execz .LBB54_727
; %bb.720:
	ds_read_b128 v[2:5], v9
	s_and_b64 vcc, exec, s[0:1]
	s_cbranch_vccnz .LBB54_722
; %bb.721:
	scratch_load_dwordx4 v[174:177], v8, off
	s_waitcnt vmcnt(0) lgkmcnt(0)
	v_mul_f64 v[38:39], v[2:3], v[176:177]
	v_mul_f64 v[6:7], v[4:5], v[176:177]
	v_fmac_f64_e32 v[38:39], v[4:5], v[174:175]
	v_fma_f64 v[2:3], v[2:3], v[174:175], -v[6:7]
	v_mov_b64_e32 v[4:5], v[38:39]
.LBB54_722:
	v_cmp_ne_u32_e32 vcc, 36, v0
	s_and_saveexec_b64 s[6:7], vcc
	s_cbranch_execz .LBB54_726
; %bb.723:
	v_mov_b32_e32 v7, 0
	v_add_u32_e32 v6, 0x380, v66
	v_add3_u32 v7, v66, v7, 24
	s_mov_b64 s[8:9], 0
	v_mov_b32_e32 v174, v0
.LBB54_724:                             ; =>This Inner Loop Header: Depth=1
	v_add_u32_e32 v38, -8, v7
	scratch_load_dwordx4 v[176:179], v38, off
	ds_read_b128 v[180:183], v6
	v_add_u32_e32 v174, 1, v174
	v_cmp_lt_u32_e32 vcc, 35, v174
	v_add_u32_e32 v6, 16, v6
	v_add_u32_e32 v7, 16, v7
	s_or_b64 s[8:9], vcc, s[8:9]
	s_waitcnt vmcnt(0) lgkmcnt(0)
	v_mul_f64 v[38:39], v[182:183], v[178:179]
	v_mul_f64 v[178:179], v[180:181], v[178:179]
	v_fma_f64 v[38:39], v[180:181], v[176:177], -v[38:39]
	v_fmac_f64_e32 v[178:179], v[182:183], v[176:177]
	v_add_f64 v[2:3], v[2:3], v[38:39]
	v_add_f64 v[4:5], v[4:5], v[178:179]
	s_andn2_b64 exec, exec, s[8:9]
	s_cbranch_execnz .LBB54_724
; %bb.725:
	s_or_b64 exec, exec, s[8:9]
.LBB54_726:
	s_or_b64 exec, exec, s[6:7]
	v_mov_b32_e32 v6, 0
	ds_read_b128 v[174:177], v6 offset:592
	s_waitcnt lgkmcnt(0)
	v_mul_f64 v[6:7], v[4:5], v[176:177]
	v_mul_f64 v[178:179], v[2:3], v[176:177]
	v_fma_f64 v[176:177], v[2:3], v[174:175], -v[6:7]
	v_fmac_f64_e32 v[178:179], v[4:5], v[174:175]
	scratch_store_dwordx4 off, v[176:179], off offset:592
.LBB54_727:
	s_or_b64 exec, exec, s[2:3]
	scratch_load_dwordx4 v[2:5], v136, off
	v_cmp_gt_u32_e32 vcc, 38, v0
	s_waitcnt vmcnt(0)
	ds_write_b128 v9, v[2:5]
	s_waitcnt lgkmcnt(0)
	; wave barrier
	s_waitcnt lgkmcnt(0)
	s_and_saveexec_b64 s[2:3], vcc
	s_cbranch_execz .LBB54_735
; %bb.728:
	ds_read_b128 v[2:5], v9
	s_and_b64 vcc, exec, s[0:1]
	s_cbranch_vccnz .LBB54_730
; %bb.729:
	scratch_load_dwordx4 v[174:177], v8, off
	s_waitcnt vmcnt(0) lgkmcnt(0)
	v_mul_f64 v[38:39], v[2:3], v[176:177]
	v_mul_f64 v[6:7], v[4:5], v[176:177]
	v_fmac_f64_e32 v[38:39], v[4:5], v[174:175]
	v_fma_f64 v[2:3], v[2:3], v[174:175], -v[6:7]
	v_mov_b64_e32 v[4:5], v[38:39]
.LBB54_730:
	v_cmp_ne_u32_e32 vcc, 37, v0
	s_and_saveexec_b64 s[6:7], vcc
	s_cbranch_execz .LBB54_734
; %bb.731:
	v_mov_b32_e32 v7, 0
	v_add_u32_e32 v6, 0x380, v66
	v_add3_u32 v7, v66, v7, 24
	s_mov_b64 s[8:9], 0
	v_mov_b32_e32 v174, v0
.LBB54_732:                             ; =>This Inner Loop Header: Depth=1
	v_add_u32_e32 v38, -8, v7
	scratch_load_dwordx4 v[176:179], v38, off
	ds_read_b128 v[180:183], v6
	v_add_u32_e32 v174, 1, v174
	v_cmp_lt_u32_e32 vcc, 36, v174
	v_add_u32_e32 v6, 16, v6
	v_add_u32_e32 v7, 16, v7
	s_or_b64 s[8:9], vcc, s[8:9]
	s_waitcnt vmcnt(0) lgkmcnt(0)
	v_mul_f64 v[38:39], v[182:183], v[178:179]
	v_mul_f64 v[178:179], v[180:181], v[178:179]
	v_fma_f64 v[38:39], v[180:181], v[176:177], -v[38:39]
	v_fmac_f64_e32 v[178:179], v[182:183], v[176:177]
	v_add_f64 v[2:3], v[2:3], v[38:39]
	v_add_f64 v[4:5], v[4:5], v[178:179]
	s_andn2_b64 exec, exec, s[8:9]
	s_cbranch_execnz .LBB54_732
; %bb.733:
	s_or_b64 exec, exec, s[8:9]
.LBB54_734:
	s_or_b64 exec, exec, s[6:7]
	v_mov_b32_e32 v6, 0
	ds_read_b128 v[174:177], v6 offset:608
	s_waitcnt lgkmcnt(0)
	v_mul_f64 v[6:7], v[4:5], v[176:177]
	v_mul_f64 v[178:179], v[2:3], v[176:177]
	v_fma_f64 v[176:177], v[2:3], v[174:175], -v[6:7]
	v_fmac_f64_e32 v[178:179], v[4:5], v[174:175]
	scratch_store_dwordx4 off, v[176:179], off offset:608
.LBB54_735:
	s_or_b64 exec, exec, s[2:3]
	scratch_load_dwordx4 v[2:5], v135, off
	v_cmp_gt_u32_e32 vcc, 39, v0
	s_waitcnt vmcnt(0)
	ds_write_b128 v9, v[2:5]
	s_waitcnt lgkmcnt(0)
	; wave barrier
	s_waitcnt lgkmcnt(0)
	s_and_saveexec_b64 s[2:3], vcc
	s_cbranch_execz .LBB54_743
; %bb.736:
	ds_read_b128 v[2:5], v9
	s_and_b64 vcc, exec, s[0:1]
	s_cbranch_vccnz .LBB54_738
; %bb.737:
	scratch_load_dwordx4 v[174:177], v8, off
	s_waitcnt vmcnt(0) lgkmcnt(0)
	v_mul_f64 v[38:39], v[2:3], v[176:177]
	v_mul_f64 v[6:7], v[4:5], v[176:177]
	v_fmac_f64_e32 v[38:39], v[4:5], v[174:175]
	v_fma_f64 v[2:3], v[2:3], v[174:175], -v[6:7]
	v_mov_b64_e32 v[4:5], v[38:39]
.LBB54_738:
	v_cmp_ne_u32_e32 vcc, 38, v0
	s_and_saveexec_b64 s[6:7], vcc
	s_cbranch_execz .LBB54_742
; %bb.739:
	v_mov_b32_e32 v7, 0
	v_add_u32_e32 v6, 0x380, v66
	v_add3_u32 v7, v66, v7, 24
	s_mov_b64 s[8:9], 0
	v_mov_b32_e32 v174, v0
.LBB54_740:                             ; =>This Inner Loop Header: Depth=1
	v_add_u32_e32 v38, -8, v7
	scratch_load_dwordx4 v[176:179], v38, off
	ds_read_b128 v[180:183], v6
	v_add_u32_e32 v174, 1, v174
	v_cmp_lt_u32_e32 vcc, 37, v174
	v_add_u32_e32 v6, 16, v6
	v_add_u32_e32 v7, 16, v7
	s_or_b64 s[8:9], vcc, s[8:9]
	s_waitcnt vmcnt(0) lgkmcnt(0)
	v_mul_f64 v[38:39], v[182:183], v[178:179]
	v_mul_f64 v[178:179], v[180:181], v[178:179]
	v_fma_f64 v[38:39], v[180:181], v[176:177], -v[38:39]
	v_fmac_f64_e32 v[178:179], v[182:183], v[176:177]
	v_add_f64 v[2:3], v[2:3], v[38:39]
	v_add_f64 v[4:5], v[4:5], v[178:179]
	s_andn2_b64 exec, exec, s[8:9]
	s_cbranch_execnz .LBB54_740
; %bb.741:
	s_or_b64 exec, exec, s[8:9]
.LBB54_742:
	s_or_b64 exec, exec, s[6:7]
	v_mov_b32_e32 v6, 0
	ds_read_b128 v[174:177], v6 offset:624
	s_waitcnt lgkmcnt(0)
	v_mul_f64 v[6:7], v[4:5], v[176:177]
	v_mul_f64 v[178:179], v[2:3], v[176:177]
	v_fma_f64 v[176:177], v[2:3], v[174:175], -v[6:7]
	v_fmac_f64_e32 v[178:179], v[4:5], v[174:175]
	scratch_store_dwordx4 off, v[176:179], off offset:624
.LBB54_743:
	s_or_b64 exec, exec, s[2:3]
	scratch_load_dwordx4 v[2:5], v134, off
	v_cmp_gt_u32_e32 vcc, 40, v0
	s_waitcnt vmcnt(0)
	ds_write_b128 v9, v[2:5]
	s_waitcnt lgkmcnt(0)
	; wave barrier
	s_waitcnt lgkmcnt(0)
	s_and_saveexec_b64 s[2:3], vcc
	s_cbranch_execz .LBB54_751
; %bb.744:
	ds_read_b128 v[2:5], v9
	s_and_b64 vcc, exec, s[0:1]
	s_cbranch_vccnz .LBB54_746
; %bb.745:
	scratch_load_dwordx4 v[174:177], v8, off
	s_waitcnt vmcnt(0) lgkmcnt(0)
	v_mul_f64 v[38:39], v[2:3], v[176:177]
	v_mul_f64 v[6:7], v[4:5], v[176:177]
	v_fmac_f64_e32 v[38:39], v[4:5], v[174:175]
	v_fma_f64 v[2:3], v[2:3], v[174:175], -v[6:7]
	v_mov_b64_e32 v[4:5], v[38:39]
.LBB54_746:
	v_cmp_ne_u32_e32 vcc, 39, v0
	s_and_saveexec_b64 s[6:7], vcc
	s_cbranch_execz .LBB54_750
; %bb.747:
	v_mov_b32_e32 v7, 0
	v_add_u32_e32 v6, 0x380, v66
	v_add3_u32 v7, v66, v7, 24
	s_mov_b64 s[8:9], 0
	v_mov_b32_e32 v174, v0
.LBB54_748:                             ; =>This Inner Loop Header: Depth=1
	v_add_u32_e32 v38, -8, v7
	scratch_load_dwordx4 v[176:179], v38, off
	ds_read_b128 v[180:183], v6
	v_add_u32_e32 v174, 1, v174
	v_cmp_lt_u32_e32 vcc, 38, v174
	v_add_u32_e32 v6, 16, v6
	v_add_u32_e32 v7, 16, v7
	s_or_b64 s[8:9], vcc, s[8:9]
	s_waitcnt vmcnt(0) lgkmcnt(0)
	v_mul_f64 v[38:39], v[182:183], v[178:179]
	v_mul_f64 v[178:179], v[180:181], v[178:179]
	v_fma_f64 v[38:39], v[180:181], v[176:177], -v[38:39]
	v_fmac_f64_e32 v[178:179], v[182:183], v[176:177]
	v_add_f64 v[2:3], v[2:3], v[38:39]
	v_add_f64 v[4:5], v[4:5], v[178:179]
	s_andn2_b64 exec, exec, s[8:9]
	s_cbranch_execnz .LBB54_748
; %bb.749:
	s_or_b64 exec, exec, s[8:9]
.LBB54_750:
	s_or_b64 exec, exec, s[6:7]
	v_mov_b32_e32 v6, 0
	ds_read_b128 v[174:177], v6 offset:640
	s_waitcnt lgkmcnt(0)
	v_mul_f64 v[6:7], v[4:5], v[176:177]
	v_mul_f64 v[178:179], v[2:3], v[176:177]
	v_fma_f64 v[176:177], v[2:3], v[174:175], -v[6:7]
	v_fmac_f64_e32 v[178:179], v[4:5], v[174:175]
	scratch_store_dwordx4 off, v[176:179], off offset:640
.LBB54_751:
	s_or_b64 exec, exec, s[2:3]
	scratch_load_dwordx4 v[2:5], v133, off
	v_cmp_gt_u32_e32 vcc, 41, v0
	s_waitcnt vmcnt(0)
	ds_write_b128 v9, v[2:5]
	s_waitcnt lgkmcnt(0)
	; wave barrier
	s_waitcnt lgkmcnt(0)
	s_and_saveexec_b64 s[2:3], vcc
	s_cbranch_execz .LBB54_759
; %bb.752:
	ds_read_b128 v[2:5], v9
	s_and_b64 vcc, exec, s[0:1]
	s_cbranch_vccnz .LBB54_754
; %bb.753:
	scratch_load_dwordx4 v[174:177], v8, off
	s_waitcnt vmcnt(0) lgkmcnt(0)
	v_mul_f64 v[38:39], v[2:3], v[176:177]
	v_mul_f64 v[6:7], v[4:5], v[176:177]
	v_fmac_f64_e32 v[38:39], v[4:5], v[174:175]
	v_fma_f64 v[2:3], v[2:3], v[174:175], -v[6:7]
	v_mov_b64_e32 v[4:5], v[38:39]
.LBB54_754:
	v_cmp_ne_u32_e32 vcc, 40, v0
	s_and_saveexec_b64 s[6:7], vcc
	s_cbranch_execz .LBB54_758
; %bb.755:
	v_mov_b32_e32 v7, 0
	v_add_u32_e32 v6, 0x380, v66
	v_add3_u32 v7, v66, v7, 24
	s_mov_b64 s[8:9], 0
	v_mov_b32_e32 v174, v0
.LBB54_756:                             ; =>This Inner Loop Header: Depth=1
	v_add_u32_e32 v38, -8, v7
	scratch_load_dwordx4 v[176:179], v38, off
	ds_read_b128 v[180:183], v6
	v_add_u32_e32 v174, 1, v174
	v_cmp_lt_u32_e32 vcc, 39, v174
	v_add_u32_e32 v6, 16, v6
	v_add_u32_e32 v7, 16, v7
	s_or_b64 s[8:9], vcc, s[8:9]
	s_waitcnt vmcnt(0) lgkmcnt(0)
	v_mul_f64 v[38:39], v[182:183], v[178:179]
	v_mul_f64 v[178:179], v[180:181], v[178:179]
	v_fma_f64 v[38:39], v[180:181], v[176:177], -v[38:39]
	v_fmac_f64_e32 v[178:179], v[182:183], v[176:177]
	v_add_f64 v[2:3], v[2:3], v[38:39]
	v_add_f64 v[4:5], v[4:5], v[178:179]
	s_andn2_b64 exec, exec, s[8:9]
	s_cbranch_execnz .LBB54_756
; %bb.757:
	s_or_b64 exec, exec, s[8:9]
.LBB54_758:
	s_or_b64 exec, exec, s[6:7]
	v_mov_b32_e32 v6, 0
	ds_read_b128 v[174:177], v6 offset:656
	s_waitcnt lgkmcnt(0)
	v_mul_f64 v[6:7], v[4:5], v[176:177]
	v_mul_f64 v[178:179], v[2:3], v[176:177]
	v_fma_f64 v[176:177], v[2:3], v[174:175], -v[6:7]
	v_fmac_f64_e32 v[178:179], v[4:5], v[174:175]
	scratch_store_dwordx4 off, v[176:179], off offset:656
.LBB54_759:
	s_or_b64 exec, exec, s[2:3]
	scratch_load_dwordx4 v[2:5], v132, off
	v_cmp_gt_u32_e32 vcc, 42, v0
	s_waitcnt vmcnt(0)
	ds_write_b128 v9, v[2:5]
	s_waitcnt lgkmcnt(0)
	; wave barrier
	s_waitcnt lgkmcnt(0)
	s_and_saveexec_b64 s[2:3], vcc
	s_cbranch_execz .LBB54_767
; %bb.760:
	ds_read_b128 v[2:5], v9
	s_and_b64 vcc, exec, s[0:1]
	s_cbranch_vccnz .LBB54_762
; %bb.761:
	scratch_load_dwordx4 v[174:177], v8, off
	s_waitcnt vmcnt(0) lgkmcnt(0)
	v_mul_f64 v[38:39], v[2:3], v[176:177]
	v_mul_f64 v[6:7], v[4:5], v[176:177]
	v_fmac_f64_e32 v[38:39], v[4:5], v[174:175]
	v_fma_f64 v[2:3], v[2:3], v[174:175], -v[6:7]
	v_mov_b64_e32 v[4:5], v[38:39]
.LBB54_762:
	v_cmp_ne_u32_e32 vcc, 41, v0
	s_and_saveexec_b64 s[6:7], vcc
	s_cbranch_execz .LBB54_766
; %bb.763:
	v_mov_b32_e32 v7, 0
	v_add_u32_e32 v6, 0x380, v66
	v_add3_u32 v7, v66, v7, 24
	s_mov_b64 s[8:9], 0
	v_mov_b32_e32 v174, v0
.LBB54_764:                             ; =>This Inner Loop Header: Depth=1
	v_add_u32_e32 v38, -8, v7
	scratch_load_dwordx4 v[176:179], v38, off
	ds_read_b128 v[180:183], v6
	v_add_u32_e32 v174, 1, v174
	v_cmp_lt_u32_e32 vcc, 40, v174
	v_add_u32_e32 v6, 16, v6
	v_add_u32_e32 v7, 16, v7
	s_or_b64 s[8:9], vcc, s[8:9]
	s_waitcnt vmcnt(0) lgkmcnt(0)
	v_mul_f64 v[38:39], v[182:183], v[178:179]
	v_mul_f64 v[178:179], v[180:181], v[178:179]
	v_fma_f64 v[38:39], v[180:181], v[176:177], -v[38:39]
	v_fmac_f64_e32 v[178:179], v[182:183], v[176:177]
	v_add_f64 v[2:3], v[2:3], v[38:39]
	v_add_f64 v[4:5], v[4:5], v[178:179]
	s_andn2_b64 exec, exec, s[8:9]
	s_cbranch_execnz .LBB54_764
; %bb.765:
	s_or_b64 exec, exec, s[8:9]
.LBB54_766:
	s_or_b64 exec, exec, s[6:7]
	v_mov_b32_e32 v6, 0
	ds_read_b128 v[174:177], v6 offset:672
	s_waitcnt lgkmcnt(0)
	v_mul_f64 v[6:7], v[4:5], v[176:177]
	v_mul_f64 v[178:179], v[2:3], v[176:177]
	v_fma_f64 v[176:177], v[2:3], v[174:175], -v[6:7]
	v_fmac_f64_e32 v[178:179], v[4:5], v[174:175]
	scratch_store_dwordx4 off, v[176:179], off offset:672
.LBB54_767:
	s_or_b64 exec, exec, s[2:3]
	scratch_load_dwordx4 v[2:5], v131, off
	v_cmp_gt_u32_e32 vcc, 43, v0
	s_waitcnt vmcnt(0)
	ds_write_b128 v9, v[2:5]
	s_waitcnt lgkmcnt(0)
	; wave barrier
	s_waitcnt lgkmcnt(0)
	s_and_saveexec_b64 s[2:3], vcc
	s_cbranch_execz .LBB54_775
; %bb.768:
	ds_read_b128 v[2:5], v9
	s_and_b64 vcc, exec, s[0:1]
	s_cbranch_vccnz .LBB54_770
; %bb.769:
	scratch_load_dwordx4 v[174:177], v8, off
	s_waitcnt vmcnt(0) lgkmcnt(0)
	v_mul_f64 v[38:39], v[2:3], v[176:177]
	v_mul_f64 v[6:7], v[4:5], v[176:177]
	v_fmac_f64_e32 v[38:39], v[4:5], v[174:175]
	v_fma_f64 v[2:3], v[2:3], v[174:175], -v[6:7]
	v_mov_b64_e32 v[4:5], v[38:39]
.LBB54_770:
	v_cmp_ne_u32_e32 vcc, 42, v0
	s_and_saveexec_b64 s[6:7], vcc
	s_cbranch_execz .LBB54_774
; %bb.771:
	v_mov_b32_e32 v7, 0
	v_add_u32_e32 v6, 0x380, v66
	v_add3_u32 v7, v66, v7, 24
	s_mov_b64 s[8:9], 0
	v_mov_b32_e32 v174, v0
.LBB54_772:                             ; =>This Inner Loop Header: Depth=1
	v_add_u32_e32 v38, -8, v7
	scratch_load_dwordx4 v[176:179], v38, off
	ds_read_b128 v[180:183], v6
	v_add_u32_e32 v174, 1, v174
	v_cmp_lt_u32_e32 vcc, 41, v174
	v_add_u32_e32 v6, 16, v6
	v_add_u32_e32 v7, 16, v7
	s_or_b64 s[8:9], vcc, s[8:9]
	s_waitcnt vmcnt(0) lgkmcnt(0)
	v_mul_f64 v[38:39], v[182:183], v[178:179]
	v_mul_f64 v[178:179], v[180:181], v[178:179]
	v_fma_f64 v[38:39], v[180:181], v[176:177], -v[38:39]
	v_fmac_f64_e32 v[178:179], v[182:183], v[176:177]
	v_add_f64 v[2:3], v[2:3], v[38:39]
	v_add_f64 v[4:5], v[4:5], v[178:179]
	s_andn2_b64 exec, exec, s[8:9]
	s_cbranch_execnz .LBB54_772
; %bb.773:
	s_or_b64 exec, exec, s[8:9]
.LBB54_774:
	s_or_b64 exec, exec, s[6:7]
	v_mov_b32_e32 v6, 0
	ds_read_b128 v[174:177], v6 offset:688
	s_waitcnt lgkmcnt(0)
	v_mul_f64 v[6:7], v[4:5], v[176:177]
	v_mul_f64 v[178:179], v[2:3], v[176:177]
	v_fma_f64 v[176:177], v[2:3], v[174:175], -v[6:7]
	v_fmac_f64_e32 v[178:179], v[4:5], v[174:175]
	scratch_store_dwordx4 off, v[176:179], off offset:688
.LBB54_775:
	s_or_b64 exec, exec, s[2:3]
	scratch_load_dwordx4 v[2:5], v130, off
	v_cmp_gt_u32_e32 vcc, 44, v0
	s_waitcnt vmcnt(0)
	ds_write_b128 v9, v[2:5]
	s_waitcnt lgkmcnt(0)
	; wave barrier
	s_waitcnt lgkmcnt(0)
	s_and_saveexec_b64 s[2:3], vcc
	s_cbranch_execz .LBB54_783
; %bb.776:
	ds_read_b128 v[2:5], v9
	s_and_b64 vcc, exec, s[0:1]
	s_cbranch_vccnz .LBB54_778
; %bb.777:
	scratch_load_dwordx4 v[174:177], v8, off
	s_waitcnt vmcnt(0) lgkmcnt(0)
	v_mul_f64 v[38:39], v[2:3], v[176:177]
	v_mul_f64 v[6:7], v[4:5], v[176:177]
	v_fmac_f64_e32 v[38:39], v[4:5], v[174:175]
	v_fma_f64 v[2:3], v[2:3], v[174:175], -v[6:7]
	v_mov_b64_e32 v[4:5], v[38:39]
.LBB54_778:
	v_cmp_ne_u32_e32 vcc, 43, v0
	s_and_saveexec_b64 s[6:7], vcc
	s_cbranch_execz .LBB54_782
; %bb.779:
	v_mov_b32_e32 v7, 0
	v_add_u32_e32 v6, 0x380, v66
	v_add3_u32 v7, v66, v7, 24
	s_mov_b64 s[8:9], 0
	v_mov_b32_e32 v174, v0
.LBB54_780:                             ; =>This Inner Loop Header: Depth=1
	v_add_u32_e32 v38, -8, v7
	scratch_load_dwordx4 v[176:179], v38, off
	ds_read_b128 v[180:183], v6
	v_add_u32_e32 v174, 1, v174
	v_cmp_lt_u32_e32 vcc, 42, v174
	v_add_u32_e32 v6, 16, v6
	v_add_u32_e32 v7, 16, v7
	s_or_b64 s[8:9], vcc, s[8:9]
	s_waitcnt vmcnt(0) lgkmcnt(0)
	v_mul_f64 v[38:39], v[182:183], v[178:179]
	v_mul_f64 v[178:179], v[180:181], v[178:179]
	v_fma_f64 v[38:39], v[180:181], v[176:177], -v[38:39]
	v_fmac_f64_e32 v[178:179], v[182:183], v[176:177]
	v_add_f64 v[2:3], v[2:3], v[38:39]
	v_add_f64 v[4:5], v[4:5], v[178:179]
	s_andn2_b64 exec, exec, s[8:9]
	s_cbranch_execnz .LBB54_780
; %bb.781:
	s_or_b64 exec, exec, s[8:9]
.LBB54_782:
	s_or_b64 exec, exec, s[6:7]
	v_mov_b32_e32 v6, 0
	ds_read_b128 v[174:177], v6 offset:704
	s_waitcnt lgkmcnt(0)
	v_mul_f64 v[6:7], v[4:5], v[176:177]
	v_mul_f64 v[178:179], v[2:3], v[176:177]
	v_fma_f64 v[176:177], v[2:3], v[174:175], -v[6:7]
	v_fmac_f64_e32 v[178:179], v[4:5], v[174:175]
	scratch_store_dwordx4 off, v[176:179], off offset:704
.LBB54_783:
	s_or_b64 exec, exec, s[2:3]
	scratch_load_dwordx4 v[2:5], v129, off
	v_cmp_gt_u32_e32 vcc, 45, v0
	s_waitcnt vmcnt(0)
	ds_write_b128 v9, v[2:5]
	s_waitcnt lgkmcnt(0)
	; wave barrier
	s_waitcnt lgkmcnt(0)
	s_and_saveexec_b64 s[2:3], vcc
	s_cbranch_execz .LBB54_791
; %bb.784:
	ds_read_b128 v[2:5], v9
	s_and_b64 vcc, exec, s[0:1]
	s_cbranch_vccnz .LBB54_786
; %bb.785:
	scratch_load_dwordx4 v[174:177], v8, off
	s_waitcnt vmcnt(0) lgkmcnt(0)
	v_mul_f64 v[38:39], v[2:3], v[176:177]
	v_mul_f64 v[6:7], v[4:5], v[176:177]
	v_fmac_f64_e32 v[38:39], v[4:5], v[174:175]
	v_fma_f64 v[2:3], v[2:3], v[174:175], -v[6:7]
	v_mov_b64_e32 v[4:5], v[38:39]
.LBB54_786:
	v_cmp_ne_u32_e32 vcc, 44, v0
	s_and_saveexec_b64 s[6:7], vcc
	s_cbranch_execz .LBB54_790
; %bb.787:
	v_mov_b32_e32 v7, 0
	v_add_u32_e32 v6, 0x380, v66
	v_add3_u32 v7, v66, v7, 24
	s_mov_b64 s[8:9], 0
	v_mov_b32_e32 v174, v0
.LBB54_788:                             ; =>This Inner Loop Header: Depth=1
	v_add_u32_e32 v38, -8, v7
	scratch_load_dwordx4 v[176:179], v38, off
	ds_read_b128 v[180:183], v6
	v_add_u32_e32 v174, 1, v174
	v_cmp_lt_u32_e32 vcc, 43, v174
	v_add_u32_e32 v6, 16, v6
	v_add_u32_e32 v7, 16, v7
	s_or_b64 s[8:9], vcc, s[8:9]
	s_waitcnt vmcnt(0) lgkmcnt(0)
	v_mul_f64 v[38:39], v[182:183], v[178:179]
	v_mul_f64 v[178:179], v[180:181], v[178:179]
	v_fma_f64 v[38:39], v[180:181], v[176:177], -v[38:39]
	v_fmac_f64_e32 v[178:179], v[182:183], v[176:177]
	v_add_f64 v[2:3], v[2:3], v[38:39]
	v_add_f64 v[4:5], v[4:5], v[178:179]
	s_andn2_b64 exec, exec, s[8:9]
	s_cbranch_execnz .LBB54_788
; %bb.789:
	s_or_b64 exec, exec, s[8:9]
.LBB54_790:
	s_or_b64 exec, exec, s[6:7]
	v_mov_b32_e32 v6, 0
	ds_read_b128 v[174:177], v6 offset:720
	s_waitcnt lgkmcnt(0)
	v_mul_f64 v[6:7], v[4:5], v[176:177]
	v_mul_f64 v[178:179], v[2:3], v[176:177]
	v_fma_f64 v[176:177], v[2:3], v[174:175], -v[6:7]
	v_fmac_f64_e32 v[178:179], v[4:5], v[174:175]
	scratch_store_dwordx4 off, v[176:179], off offset:720
.LBB54_791:
	s_or_b64 exec, exec, s[2:3]
	scratch_load_dwordx4 v[2:5], v128, off
	v_cmp_gt_u32_e32 vcc, 46, v0
	s_waitcnt vmcnt(0)
	ds_write_b128 v9, v[2:5]
	s_waitcnt lgkmcnt(0)
	; wave barrier
	s_waitcnt lgkmcnt(0)
	s_and_saveexec_b64 s[2:3], vcc
	s_cbranch_execz .LBB54_799
; %bb.792:
	ds_read_b128 v[2:5], v9
	s_and_b64 vcc, exec, s[0:1]
	s_cbranch_vccnz .LBB54_794
; %bb.793:
	scratch_load_dwordx4 v[174:177], v8, off
	s_waitcnt vmcnt(0) lgkmcnt(0)
	v_mul_f64 v[38:39], v[2:3], v[176:177]
	v_mul_f64 v[6:7], v[4:5], v[176:177]
	v_fmac_f64_e32 v[38:39], v[4:5], v[174:175]
	v_fma_f64 v[2:3], v[2:3], v[174:175], -v[6:7]
	v_mov_b64_e32 v[4:5], v[38:39]
.LBB54_794:
	v_cmp_ne_u32_e32 vcc, 45, v0
	s_and_saveexec_b64 s[6:7], vcc
	s_cbranch_execz .LBB54_798
; %bb.795:
	v_mov_b32_e32 v7, 0
	v_add_u32_e32 v6, 0x380, v66
	v_add3_u32 v7, v66, v7, 24
	s_mov_b64 s[8:9], 0
	v_mov_b32_e32 v174, v0
.LBB54_796:                             ; =>This Inner Loop Header: Depth=1
	v_add_u32_e32 v38, -8, v7
	scratch_load_dwordx4 v[176:179], v38, off
	ds_read_b128 v[180:183], v6
	v_add_u32_e32 v174, 1, v174
	v_cmp_lt_u32_e32 vcc, 44, v174
	v_add_u32_e32 v6, 16, v6
	v_add_u32_e32 v7, 16, v7
	s_or_b64 s[8:9], vcc, s[8:9]
	s_waitcnt vmcnt(0) lgkmcnt(0)
	v_mul_f64 v[38:39], v[182:183], v[178:179]
	v_mul_f64 v[178:179], v[180:181], v[178:179]
	v_fma_f64 v[38:39], v[180:181], v[176:177], -v[38:39]
	v_fmac_f64_e32 v[178:179], v[182:183], v[176:177]
	v_add_f64 v[2:3], v[2:3], v[38:39]
	v_add_f64 v[4:5], v[4:5], v[178:179]
	s_andn2_b64 exec, exec, s[8:9]
	s_cbranch_execnz .LBB54_796
; %bb.797:
	s_or_b64 exec, exec, s[8:9]
.LBB54_798:
	s_or_b64 exec, exec, s[6:7]
	v_mov_b32_e32 v6, 0
	ds_read_b128 v[174:177], v6 offset:736
	s_waitcnt lgkmcnt(0)
	v_mul_f64 v[6:7], v[4:5], v[176:177]
	v_mul_f64 v[178:179], v[2:3], v[176:177]
	v_fma_f64 v[176:177], v[2:3], v[174:175], -v[6:7]
	v_fmac_f64_e32 v[178:179], v[4:5], v[174:175]
	scratch_store_dwordx4 off, v[176:179], off offset:736
.LBB54_799:
	s_or_b64 exec, exec, s[2:3]
	scratch_load_dwordx4 v[2:5], v127, off
	v_cmp_gt_u32_e32 vcc, 47, v0
	s_waitcnt vmcnt(0)
	ds_write_b128 v9, v[2:5]
	s_waitcnt lgkmcnt(0)
	; wave barrier
	s_waitcnt lgkmcnt(0)
	s_and_saveexec_b64 s[2:3], vcc
	s_cbranch_execz .LBB54_807
; %bb.800:
	ds_read_b128 v[2:5], v9
	s_and_b64 vcc, exec, s[0:1]
	s_cbranch_vccnz .LBB54_802
; %bb.801:
	scratch_load_dwordx4 v[174:177], v8, off
	s_waitcnt vmcnt(0) lgkmcnt(0)
	v_mul_f64 v[38:39], v[2:3], v[176:177]
	v_mul_f64 v[6:7], v[4:5], v[176:177]
	v_fmac_f64_e32 v[38:39], v[4:5], v[174:175]
	v_fma_f64 v[2:3], v[2:3], v[174:175], -v[6:7]
	v_mov_b64_e32 v[4:5], v[38:39]
.LBB54_802:
	v_cmp_ne_u32_e32 vcc, 46, v0
	s_and_saveexec_b64 s[6:7], vcc
	s_cbranch_execz .LBB54_806
; %bb.803:
	v_mov_b32_e32 v7, 0
	v_add_u32_e32 v6, 0x380, v66
	v_add3_u32 v7, v66, v7, 24
	s_mov_b64 s[8:9], 0
	v_mov_b32_e32 v174, v0
.LBB54_804:                             ; =>This Inner Loop Header: Depth=1
	v_add_u32_e32 v38, -8, v7
	scratch_load_dwordx4 v[176:179], v38, off
	ds_read_b128 v[180:183], v6
	v_add_u32_e32 v174, 1, v174
	v_cmp_lt_u32_e32 vcc, 45, v174
	v_add_u32_e32 v6, 16, v6
	v_add_u32_e32 v7, 16, v7
	s_or_b64 s[8:9], vcc, s[8:9]
	s_waitcnt vmcnt(0) lgkmcnt(0)
	v_mul_f64 v[38:39], v[182:183], v[178:179]
	v_mul_f64 v[178:179], v[180:181], v[178:179]
	v_fma_f64 v[38:39], v[180:181], v[176:177], -v[38:39]
	v_fmac_f64_e32 v[178:179], v[182:183], v[176:177]
	v_add_f64 v[2:3], v[2:3], v[38:39]
	v_add_f64 v[4:5], v[4:5], v[178:179]
	s_andn2_b64 exec, exec, s[8:9]
	s_cbranch_execnz .LBB54_804
; %bb.805:
	s_or_b64 exec, exec, s[8:9]
.LBB54_806:
	s_or_b64 exec, exec, s[6:7]
	v_mov_b32_e32 v6, 0
	ds_read_b128 v[174:177], v6 offset:752
	s_waitcnt lgkmcnt(0)
	v_mul_f64 v[6:7], v[4:5], v[176:177]
	v_mul_f64 v[178:179], v[2:3], v[176:177]
	v_fma_f64 v[176:177], v[2:3], v[174:175], -v[6:7]
	v_fmac_f64_e32 v[178:179], v[4:5], v[174:175]
	scratch_store_dwordx4 off, v[176:179], off offset:752
.LBB54_807:
	s_or_b64 exec, exec, s[2:3]
	scratch_load_dwordx4 v[2:5], v126, off
	v_cmp_gt_u32_e32 vcc, 48, v0
	s_waitcnt vmcnt(0)
	ds_write_b128 v9, v[2:5]
	s_waitcnt lgkmcnt(0)
	; wave barrier
	s_waitcnt lgkmcnt(0)
	s_and_saveexec_b64 s[2:3], vcc
	s_cbranch_execz .LBB54_815
; %bb.808:
	ds_read_b128 v[2:5], v9
	s_and_b64 vcc, exec, s[0:1]
	s_cbranch_vccnz .LBB54_810
; %bb.809:
	scratch_load_dwordx4 v[174:177], v8, off
	s_waitcnt vmcnt(0) lgkmcnt(0)
	v_mul_f64 v[38:39], v[2:3], v[176:177]
	v_mul_f64 v[6:7], v[4:5], v[176:177]
	v_fmac_f64_e32 v[38:39], v[4:5], v[174:175]
	v_fma_f64 v[2:3], v[2:3], v[174:175], -v[6:7]
	v_mov_b64_e32 v[4:5], v[38:39]
.LBB54_810:
	v_cmp_ne_u32_e32 vcc, 47, v0
	s_and_saveexec_b64 s[6:7], vcc
	s_cbranch_execz .LBB54_814
; %bb.811:
	v_mov_b32_e32 v7, 0
	v_add_u32_e32 v6, 0x380, v66
	v_add3_u32 v7, v66, v7, 24
	s_mov_b64 s[8:9], 0
	v_mov_b32_e32 v174, v0
.LBB54_812:                             ; =>This Inner Loop Header: Depth=1
	v_add_u32_e32 v38, -8, v7
	scratch_load_dwordx4 v[176:179], v38, off
	ds_read_b128 v[180:183], v6
	v_add_u32_e32 v174, 1, v174
	v_cmp_lt_u32_e32 vcc, 46, v174
	v_add_u32_e32 v6, 16, v6
	v_add_u32_e32 v7, 16, v7
	s_or_b64 s[8:9], vcc, s[8:9]
	s_waitcnt vmcnt(0) lgkmcnt(0)
	v_mul_f64 v[38:39], v[182:183], v[178:179]
	v_mul_f64 v[178:179], v[180:181], v[178:179]
	v_fma_f64 v[38:39], v[180:181], v[176:177], -v[38:39]
	v_fmac_f64_e32 v[178:179], v[182:183], v[176:177]
	v_add_f64 v[2:3], v[2:3], v[38:39]
	v_add_f64 v[4:5], v[4:5], v[178:179]
	s_andn2_b64 exec, exec, s[8:9]
	s_cbranch_execnz .LBB54_812
; %bb.813:
	s_or_b64 exec, exec, s[8:9]
.LBB54_814:
	s_or_b64 exec, exec, s[6:7]
	v_mov_b32_e32 v6, 0
	ds_read_b128 v[174:177], v6 offset:768
	s_waitcnt lgkmcnt(0)
	v_mul_f64 v[6:7], v[4:5], v[176:177]
	v_mul_f64 v[178:179], v[2:3], v[176:177]
	v_fma_f64 v[176:177], v[2:3], v[174:175], -v[6:7]
	v_fmac_f64_e32 v[178:179], v[4:5], v[174:175]
	scratch_store_dwordx4 off, v[176:179], off offset:768
.LBB54_815:
	s_or_b64 exec, exec, s[2:3]
	scratch_load_dwordx4 v[2:5], v125, off
	v_cmp_gt_u32_e32 vcc, 49, v0
	s_waitcnt vmcnt(0)
	ds_write_b128 v9, v[2:5]
	s_waitcnt lgkmcnt(0)
	; wave barrier
	s_waitcnt lgkmcnt(0)
	s_and_saveexec_b64 s[2:3], vcc
	s_cbranch_execz .LBB54_823
; %bb.816:
	ds_read_b128 v[2:5], v9
	s_and_b64 vcc, exec, s[0:1]
	s_cbranch_vccnz .LBB54_818
; %bb.817:
	scratch_load_dwordx4 v[174:177], v8, off
	s_waitcnt vmcnt(0) lgkmcnt(0)
	v_mul_f64 v[38:39], v[2:3], v[176:177]
	v_mul_f64 v[6:7], v[4:5], v[176:177]
	v_fmac_f64_e32 v[38:39], v[4:5], v[174:175]
	v_fma_f64 v[2:3], v[2:3], v[174:175], -v[6:7]
	v_mov_b64_e32 v[4:5], v[38:39]
.LBB54_818:
	v_cmp_ne_u32_e32 vcc, 48, v0
	s_and_saveexec_b64 s[6:7], vcc
	s_cbranch_execz .LBB54_822
; %bb.819:
	v_mov_b32_e32 v7, 0
	v_add_u32_e32 v6, 0x380, v66
	v_add3_u32 v7, v66, v7, 24
	s_mov_b64 s[8:9], 0
	v_mov_b32_e32 v174, v0
.LBB54_820:                             ; =>This Inner Loop Header: Depth=1
	v_add_u32_e32 v38, -8, v7
	scratch_load_dwordx4 v[176:179], v38, off
	ds_read_b128 v[180:183], v6
	v_add_u32_e32 v174, 1, v174
	v_cmp_lt_u32_e32 vcc, 47, v174
	v_add_u32_e32 v6, 16, v6
	v_add_u32_e32 v7, 16, v7
	s_or_b64 s[8:9], vcc, s[8:9]
	s_waitcnt vmcnt(0) lgkmcnt(0)
	v_mul_f64 v[38:39], v[182:183], v[178:179]
	v_mul_f64 v[178:179], v[180:181], v[178:179]
	v_fma_f64 v[38:39], v[180:181], v[176:177], -v[38:39]
	v_fmac_f64_e32 v[178:179], v[182:183], v[176:177]
	v_add_f64 v[2:3], v[2:3], v[38:39]
	v_add_f64 v[4:5], v[4:5], v[178:179]
	s_andn2_b64 exec, exec, s[8:9]
	s_cbranch_execnz .LBB54_820
; %bb.821:
	s_or_b64 exec, exec, s[8:9]
.LBB54_822:
	s_or_b64 exec, exec, s[6:7]
	v_mov_b32_e32 v6, 0
	ds_read_b128 v[174:177], v6 offset:784
	s_waitcnt lgkmcnt(0)
	v_mul_f64 v[6:7], v[4:5], v[176:177]
	v_mul_f64 v[178:179], v[2:3], v[176:177]
	v_fma_f64 v[176:177], v[2:3], v[174:175], -v[6:7]
	v_fmac_f64_e32 v[178:179], v[4:5], v[174:175]
	scratch_store_dwordx4 off, v[176:179], off offset:784
.LBB54_823:
	s_or_b64 exec, exec, s[2:3]
	scratch_load_dwordx4 v[2:5], v124, off
	v_cmp_gt_u32_e32 vcc, 50, v0
	s_waitcnt vmcnt(0)
	ds_write_b128 v9, v[2:5]
	s_waitcnt lgkmcnt(0)
	; wave barrier
	s_waitcnt lgkmcnt(0)
	s_and_saveexec_b64 s[2:3], vcc
	s_cbranch_execz .LBB54_831
; %bb.824:
	ds_read_b128 v[2:5], v9
	s_and_b64 vcc, exec, s[0:1]
	s_cbranch_vccnz .LBB54_826
; %bb.825:
	scratch_load_dwordx4 v[174:177], v8, off
	s_waitcnt vmcnt(0) lgkmcnt(0)
	v_mul_f64 v[38:39], v[2:3], v[176:177]
	v_mul_f64 v[6:7], v[4:5], v[176:177]
	v_fmac_f64_e32 v[38:39], v[4:5], v[174:175]
	v_fma_f64 v[2:3], v[2:3], v[174:175], -v[6:7]
	v_mov_b64_e32 v[4:5], v[38:39]
.LBB54_826:
	v_cmp_ne_u32_e32 vcc, 49, v0
	s_and_saveexec_b64 s[6:7], vcc
	s_cbranch_execz .LBB54_830
; %bb.827:
	v_mov_b32_e32 v7, 0
	v_add_u32_e32 v6, 0x380, v66
	v_add3_u32 v7, v66, v7, 24
	s_mov_b64 s[8:9], 0
	v_mov_b32_e32 v174, v0
.LBB54_828:                             ; =>This Inner Loop Header: Depth=1
	v_add_u32_e32 v38, -8, v7
	scratch_load_dwordx4 v[176:179], v38, off
	ds_read_b128 v[180:183], v6
	v_add_u32_e32 v174, 1, v174
	v_cmp_lt_u32_e32 vcc, 48, v174
	v_add_u32_e32 v6, 16, v6
	v_add_u32_e32 v7, 16, v7
	s_or_b64 s[8:9], vcc, s[8:9]
	s_waitcnt vmcnt(0) lgkmcnt(0)
	v_mul_f64 v[38:39], v[182:183], v[178:179]
	v_mul_f64 v[178:179], v[180:181], v[178:179]
	v_fma_f64 v[38:39], v[180:181], v[176:177], -v[38:39]
	v_fmac_f64_e32 v[178:179], v[182:183], v[176:177]
	v_add_f64 v[2:3], v[2:3], v[38:39]
	v_add_f64 v[4:5], v[4:5], v[178:179]
	s_andn2_b64 exec, exec, s[8:9]
	s_cbranch_execnz .LBB54_828
; %bb.829:
	s_or_b64 exec, exec, s[8:9]
.LBB54_830:
	s_or_b64 exec, exec, s[6:7]
	v_mov_b32_e32 v6, 0
	ds_read_b128 v[174:177], v6 offset:800
	s_waitcnt lgkmcnt(0)
	v_mul_f64 v[6:7], v[4:5], v[176:177]
	v_mul_f64 v[178:179], v[2:3], v[176:177]
	v_fma_f64 v[176:177], v[2:3], v[174:175], -v[6:7]
	v_fmac_f64_e32 v[178:179], v[4:5], v[174:175]
	scratch_store_dwordx4 off, v[176:179], off offset:800
.LBB54_831:
	s_or_b64 exec, exec, s[2:3]
	scratch_load_dwordx4 v[2:5], v67, off
	v_cmp_gt_u32_e32 vcc, 51, v0
	s_waitcnt vmcnt(0)
	ds_write_b128 v9, v[2:5]
	s_waitcnt lgkmcnt(0)
	; wave barrier
	s_waitcnt lgkmcnt(0)
	s_and_saveexec_b64 s[2:3], vcc
	s_cbranch_execz .LBB54_839
; %bb.832:
	ds_read_b128 v[2:5], v9
	s_and_b64 vcc, exec, s[0:1]
	s_cbranch_vccnz .LBB54_834
; %bb.833:
	scratch_load_dwordx4 v[174:177], v8, off
	s_waitcnt vmcnt(0) lgkmcnt(0)
	v_mul_f64 v[38:39], v[2:3], v[176:177]
	v_mul_f64 v[6:7], v[4:5], v[176:177]
	v_fmac_f64_e32 v[38:39], v[4:5], v[174:175]
	v_fma_f64 v[2:3], v[2:3], v[174:175], -v[6:7]
	v_mov_b64_e32 v[4:5], v[38:39]
.LBB54_834:
	v_cmp_ne_u32_e32 vcc, 50, v0
	s_and_saveexec_b64 s[6:7], vcc
	s_cbranch_execz .LBB54_838
; %bb.835:
	v_mov_b32_e32 v7, 0
	v_add_u32_e32 v6, 0x380, v66
	v_add3_u32 v7, v66, v7, 24
	s_mov_b64 s[8:9], 0
	v_mov_b32_e32 v174, v0
.LBB54_836:                             ; =>This Inner Loop Header: Depth=1
	v_add_u32_e32 v38, -8, v7
	scratch_load_dwordx4 v[176:179], v38, off
	ds_read_b128 v[180:183], v6
	v_add_u32_e32 v174, 1, v174
	v_cmp_lt_u32_e32 vcc, 49, v174
	v_add_u32_e32 v6, 16, v6
	v_add_u32_e32 v7, 16, v7
	s_or_b64 s[8:9], vcc, s[8:9]
	s_waitcnt vmcnt(0) lgkmcnt(0)
	v_mul_f64 v[38:39], v[182:183], v[178:179]
	v_mul_f64 v[178:179], v[180:181], v[178:179]
	v_fma_f64 v[38:39], v[180:181], v[176:177], -v[38:39]
	v_fmac_f64_e32 v[178:179], v[182:183], v[176:177]
	v_add_f64 v[2:3], v[2:3], v[38:39]
	v_add_f64 v[4:5], v[4:5], v[178:179]
	s_andn2_b64 exec, exec, s[8:9]
	s_cbranch_execnz .LBB54_836
; %bb.837:
	s_or_b64 exec, exec, s[8:9]
.LBB54_838:
	s_or_b64 exec, exec, s[6:7]
	v_mov_b32_e32 v6, 0
	ds_read_b128 v[174:177], v6 offset:816
	s_waitcnt lgkmcnt(0)
	v_mul_f64 v[6:7], v[4:5], v[176:177]
	v_mul_f64 v[178:179], v[2:3], v[176:177]
	v_fma_f64 v[176:177], v[2:3], v[174:175], -v[6:7]
	v_fmac_f64_e32 v[178:179], v[4:5], v[174:175]
	scratch_store_dwordx4 off, v[176:179], off offset:816
.LBB54_839:
	s_or_b64 exec, exec, s[2:3]
	scratch_load_dwordx4 v[2:5], v11, off
	v_cmp_gt_u32_e32 vcc, 52, v0
	s_waitcnt vmcnt(0)
	ds_write_b128 v9, v[2:5]
	s_waitcnt lgkmcnt(0)
	; wave barrier
	s_waitcnt lgkmcnt(0)
	s_and_saveexec_b64 s[2:3], vcc
	s_cbranch_execz .LBB54_847
; %bb.840:
	ds_read_b128 v[2:5], v9
	s_and_b64 vcc, exec, s[0:1]
	s_cbranch_vccnz .LBB54_842
; %bb.841:
	scratch_load_dwordx4 v[174:177], v8, off
	s_waitcnt vmcnt(0) lgkmcnt(0)
	v_mul_f64 v[38:39], v[2:3], v[176:177]
	v_mul_f64 v[6:7], v[4:5], v[176:177]
	v_fmac_f64_e32 v[38:39], v[4:5], v[174:175]
	v_fma_f64 v[2:3], v[2:3], v[174:175], -v[6:7]
	v_mov_b64_e32 v[4:5], v[38:39]
.LBB54_842:
	v_cmp_ne_u32_e32 vcc, 51, v0
	s_and_saveexec_b64 s[6:7], vcc
	s_cbranch_execz .LBB54_846
; %bb.843:
	v_mov_b32_e32 v7, 0
	v_add_u32_e32 v6, 0x380, v66
	v_add3_u32 v7, v66, v7, 24
	s_mov_b64 s[8:9], 0
	v_mov_b32_e32 v174, v0
.LBB54_844:                             ; =>This Inner Loop Header: Depth=1
	v_add_u32_e32 v38, -8, v7
	scratch_load_dwordx4 v[176:179], v38, off
	ds_read_b128 v[180:183], v6
	v_add_u32_e32 v174, 1, v174
	v_cmp_lt_u32_e32 vcc, 50, v174
	v_add_u32_e32 v6, 16, v6
	v_add_u32_e32 v7, 16, v7
	s_or_b64 s[8:9], vcc, s[8:9]
	s_waitcnt vmcnt(0) lgkmcnt(0)
	v_mul_f64 v[38:39], v[182:183], v[178:179]
	v_mul_f64 v[178:179], v[180:181], v[178:179]
	v_fma_f64 v[38:39], v[180:181], v[176:177], -v[38:39]
	v_fmac_f64_e32 v[178:179], v[182:183], v[176:177]
	v_add_f64 v[2:3], v[2:3], v[38:39]
	v_add_f64 v[4:5], v[4:5], v[178:179]
	s_andn2_b64 exec, exec, s[8:9]
	s_cbranch_execnz .LBB54_844
; %bb.845:
	s_or_b64 exec, exec, s[8:9]
.LBB54_846:
	s_or_b64 exec, exec, s[6:7]
	v_mov_b32_e32 v6, 0
	ds_read_b128 v[174:177], v6 offset:832
	s_waitcnt lgkmcnt(0)
	v_mul_f64 v[6:7], v[4:5], v[176:177]
	v_mul_f64 v[178:179], v[2:3], v[176:177]
	v_fma_f64 v[176:177], v[2:3], v[174:175], -v[6:7]
	v_fmac_f64_e32 v[178:179], v[4:5], v[174:175]
	scratch_store_dwordx4 off, v[176:179], off offset:832
.LBB54_847:
	s_or_b64 exec, exec, s[2:3]
	scratch_load_dwordx4 v[2:5], v10, off
	v_cmp_gt_u32_e64 s[2:3], 53, v0
	s_waitcnt vmcnt(0)
	ds_write_b128 v9, v[2:5]
	s_waitcnt lgkmcnt(0)
	; wave barrier
	s_waitcnt lgkmcnt(0)
	s_and_saveexec_b64 s[6:7], s[2:3]
	s_cbranch_execz .LBB54_855
; %bb.848:
	ds_read_b128 v[2:5], v9
	s_and_b64 vcc, exec, s[0:1]
	s_cbranch_vccnz .LBB54_850
; %bb.849:
	scratch_load_dwordx4 v[174:177], v8, off
	s_waitcnt vmcnt(0) lgkmcnt(0)
	v_mul_f64 v[38:39], v[2:3], v[176:177]
	v_mul_f64 v[6:7], v[4:5], v[176:177]
	v_fmac_f64_e32 v[38:39], v[4:5], v[174:175]
	v_fma_f64 v[2:3], v[2:3], v[174:175], -v[6:7]
	v_mov_b64_e32 v[4:5], v[38:39]
.LBB54_850:
	v_cmp_ne_u32_e32 vcc, 52, v0
	s_and_saveexec_b64 s[8:9], vcc
	s_cbranch_execz .LBB54_854
; %bb.851:
	v_mov_b32_e32 v7, 0
	v_add_u32_e32 v6, 0x380, v66
	v_add3_u32 v7, v66, v7, 24
	s_mov_b64 s[10:11], 0
	v_mov_b32_e32 v174, v0
.LBB54_852:                             ; =>This Inner Loop Header: Depth=1
	v_add_u32_e32 v38, -8, v7
	scratch_load_dwordx4 v[176:179], v38, off
	ds_read_b128 v[180:183], v6
	v_add_u32_e32 v174, 1, v174
	v_cmp_lt_u32_e32 vcc, 51, v174
	v_add_u32_e32 v6, 16, v6
	v_add_u32_e32 v7, 16, v7
	s_or_b64 s[10:11], vcc, s[10:11]
	s_waitcnt vmcnt(0) lgkmcnt(0)
	v_mul_f64 v[38:39], v[182:183], v[178:179]
	v_mul_f64 v[178:179], v[180:181], v[178:179]
	v_fma_f64 v[38:39], v[180:181], v[176:177], -v[38:39]
	v_fmac_f64_e32 v[178:179], v[182:183], v[176:177]
	v_add_f64 v[2:3], v[2:3], v[38:39]
	v_add_f64 v[4:5], v[4:5], v[178:179]
	s_andn2_b64 exec, exec, s[10:11]
	s_cbranch_execnz .LBB54_852
; %bb.853:
	s_or_b64 exec, exec, s[10:11]
.LBB54_854:
	s_or_b64 exec, exec, s[8:9]
	v_mov_b32_e32 v6, 0
	ds_read_b128 v[174:177], v6 offset:848
	s_waitcnt lgkmcnt(0)
	v_mul_f64 v[6:7], v[4:5], v[176:177]
	v_mul_f64 v[178:179], v[2:3], v[176:177]
	v_fma_f64 v[176:177], v[2:3], v[174:175], -v[6:7]
	v_fmac_f64_e32 v[178:179], v[4:5], v[174:175]
	scratch_store_dwordx4 off, v[176:179], off offset:848
.LBB54_855:
	s_or_b64 exec, exec, s[6:7]
	scratch_load_dwordx4 v[2:5], v1, off
	v_cmp_ne_u32_e32 vcc, 54, v0
                                        ; implicit-def: $vgpr6_vgpr7
                                        ; implicit-def: $vgpr174
	s_waitcnt vmcnt(0)
	ds_write_b128 v9, v[2:5]
	s_waitcnt lgkmcnt(0)
	; wave barrier
	s_waitcnt lgkmcnt(0)
	s_and_saveexec_b64 s[6:7], vcc
	s_cbranch_execz .LBB54_863
; %bb.856:
	ds_read_b128 v[2:5], v9
	s_and_b64 vcc, exec, s[0:1]
	s_cbranch_vccnz .LBB54_858
; %bb.857:
	scratch_load_dwordx4 v[6:9], v8, off
	s_waitcnt vmcnt(0) lgkmcnt(0)
	v_mul_f64 v[38:39], v[4:5], v[8:9]
	v_mul_f64 v[8:9], v[2:3], v[8:9]
	v_fmac_f64_e32 v[8:9], v[4:5], v[6:7]
	v_fma_f64 v[2:3], v[2:3], v[6:7], -v[38:39]
	v_mov_b64_e32 v[4:5], v[8:9]
.LBB54_858:
	s_and_saveexec_b64 s[0:1], s[2:3]
	s_cbranch_execz .LBB54_862
; %bb.859:
	v_mov_b32_e32 v7, 0
	v_add_u32_e32 v6, 0x380, v66
	v_add3_u32 v7, v66, v7, 24
	s_mov_b64 s[2:3], 0
.LBB54_860:                             ; =>This Inner Loop Header: Depth=1
	v_add_u32_e32 v8, -8, v7
	scratch_load_dwordx4 v[174:177], v8, off
	ds_read_b128 v[178:181], v6
	v_add_u32_e32 v0, 1, v0
	v_cmp_lt_u32_e32 vcc, 52, v0
	v_add_u32_e32 v6, 16, v6
	v_add_u32_e32 v7, 16, v7
	s_or_b64 s[2:3], vcc, s[2:3]
	s_waitcnt vmcnt(0) lgkmcnt(0)
	v_mul_f64 v[8:9], v[180:181], v[176:177]
	v_mul_f64 v[38:39], v[178:179], v[176:177]
	v_fma_f64 v[8:9], v[178:179], v[174:175], -v[8:9]
	v_fmac_f64_e32 v[38:39], v[180:181], v[174:175]
	v_add_f64 v[2:3], v[2:3], v[8:9]
	v_add_f64 v[4:5], v[4:5], v[38:39]
	s_andn2_b64 exec, exec, s[2:3]
	s_cbranch_execnz .LBB54_860
; %bb.861:
	s_or_b64 exec, exec, s[2:3]
.LBB54_862:
	s_or_b64 exec, exec, s[0:1]
	v_mov_b32_e32 v0, 0
	ds_read_b128 v[176:179], v0 offset:864
	v_mov_b32_e32 v0, 0
	v_add_u32_e32 v174, 0x368, v0
	s_or_b64 s[4:5], s[4:5], exec
	s_waitcnt lgkmcnt(0)
	v_mul_f64 v[8:9], v[4:5], v[178:179]
	v_mul_f64 v[6:7], v[2:3], v[178:179]
	v_fma_f64 v[2:3], v[2:3], v[176:177], -v[8:9]
	v_fmac_f64_e32 v[6:7], v[4:5], v[176:177]
	scratch_store_dwordx2 off, v[2:3], off offset:864
.LBB54_863:
	s_or_b64 exec, exec, s[6:7]
.LBB54_864:
	s_and_saveexec_b64 s[0:1], s[4:5]
	s_cbranch_execz .LBB54_866
; %bb.865:
	scratch_store_dwordx2 v174, v[6:7], off
.LBB54_866:
	s_or_b64 exec, exec, s[0:1]
	scratch_load_dwordx4 v[2:5], off, off
	scratch_load_dwordx4 v[6:9], v173, off
	s_nop 0
	scratch_load_dwordx4 v[172:175], v172, off
	s_nop 0
	scratch_load_dwordx4 v[176:179], v171, off
	scratch_load_dwordx4 v[180:183], v170, off
	scratch_load_dwordx4 v[184:187], v169, off
	s_nop 0
	scratch_load_dwordx4 v[168:171], v168, off
	s_nop 0
	scratch_load_dwordx4 v[188:191], v167, off
	scratch_load_dwordx4 v[192:195], v166, off
	;; [unrolled: 6-line block ×7, first 2 shown]
	s_waitcnt vmcnt(28)
	global_store_dwordx4 v[12:13], v[2:5], off
	scratch_load_dwordx4 v[2:5], v145, off
	s_nop 0
	scratch_load_dwordx4 v[144:147], v144, off
	s_waitcnt vmcnt(30)
	global_store_dwordx4 v[14:15], v[6:9], off
	scratch_load_dwordx4 v[6:9], v143, off
	s_nop 0
	scratch_load_dwordx4 v[12:15], v142, off
	;; [unrolled: 5-line block ×13, first 2 shown]
	v_accvgpr_read_b32 v0, a0
	v_accvgpr_read_b32 v1, a1
	s_waitcnt vmcnt(54)
	global_store_dwordx4 v[0:1], v[208:211], off
	s_waitcnt vmcnt(54)
	global_store_dwordx4 v[40:41], v[160:163], off
	;; [unrolled: 2-line block ×42, first 2 shown]
.LBB54_867:
	s_endpgm
	.section	.rodata,"a",@progbits
	.p2align	6, 0x0
	.amdhsa_kernel _ZN9rocsolver6v33100L18trti2_kernel_smallILi55E19rocblas_complex_numIdEPS3_EEv13rocblas_fill_17rocblas_diagonal_T1_iil
		.amdhsa_group_segment_fixed_size 1760
		.amdhsa_private_segment_fixed_size 896
		.amdhsa_kernarg_size 32
		.amdhsa_user_sgpr_count 2
		.amdhsa_user_sgpr_dispatch_ptr 0
		.amdhsa_user_sgpr_queue_ptr 0
		.amdhsa_user_sgpr_kernarg_segment_ptr 1
		.amdhsa_user_sgpr_dispatch_id 0
		.amdhsa_user_sgpr_kernarg_preload_length 0
		.amdhsa_user_sgpr_kernarg_preload_offset 0
		.amdhsa_user_sgpr_private_segment_size 0
		.amdhsa_uses_dynamic_stack 0
		.amdhsa_enable_private_segment 1
		.amdhsa_system_sgpr_workgroup_id_x 1
		.amdhsa_system_sgpr_workgroup_id_y 0
		.amdhsa_system_sgpr_workgroup_id_z 0
		.amdhsa_system_sgpr_workgroup_info 0
		.amdhsa_system_vgpr_workitem_id 0
		.amdhsa_next_free_vgpr 258
		.amdhsa_next_free_sgpr 12
		.amdhsa_accum_offset 256
		.amdhsa_reserve_vcc 1
		.amdhsa_float_round_mode_32 0
		.amdhsa_float_round_mode_16_64 0
		.amdhsa_float_denorm_mode_32 3
		.amdhsa_float_denorm_mode_16_64 3
		.amdhsa_dx10_clamp 1
		.amdhsa_ieee_mode 1
		.amdhsa_fp16_overflow 0
		.amdhsa_tg_split 0
		.amdhsa_exception_fp_ieee_invalid_op 0
		.amdhsa_exception_fp_denorm_src 0
		.amdhsa_exception_fp_ieee_div_zero 0
		.amdhsa_exception_fp_ieee_overflow 0
		.amdhsa_exception_fp_ieee_underflow 0
		.amdhsa_exception_fp_ieee_inexact 0
		.amdhsa_exception_int_div_zero 0
	.end_amdhsa_kernel
	.section	.text._ZN9rocsolver6v33100L18trti2_kernel_smallILi55E19rocblas_complex_numIdEPS3_EEv13rocblas_fill_17rocblas_diagonal_T1_iil,"axG",@progbits,_ZN9rocsolver6v33100L18trti2_kernel_smallILi55E19rocblas_complex_numIdEPS3_EEv13rocblas_fill_17rocblas_diagonal_T1_iil,comdat
.Lfunc_end54:
	.size	_ZN9rocsolver6v33100L18trti2_kernel_smallILi55E19rocblas_complex_numIdEPS3_EEv13rocblas_fill_17rocblas_diagonal_T1_iil, .Lfunc_end54-_ZN9rocsolver6v33100L18trti2_kernel_smallILi55E19rocblas_complex_numIdEPS3_EEv13rocblas_fill_17rocblas_diagonal_T1_iil
                                        ; -- End function
	.section	.AMDGPU.csdata,"",@progbits
; Kernel info:
; codeLenInByte = 36364
; NumSgprs: 18
; NumVgprs: 256
; NumAgprs: 2
; TotalNumVgprs: 258
; ScratchSize: 896
; MemoryBound: 0
; FloatMode: 240
; IeeeMode: 1
; LDSByteSize: 1760 bytes/workgroup (compile time only)
; SGPRBlocks: 2
; VGPRBlocks: 32
; NumSGPRsForWavesPerEU: 18
; NumVGPRsForWavesPerEU: 258
; AccumOffset: 256
; Occupancy: 1
; WaveLimiterHint : 0
; COMPUTE_PGM_RSRC2:SCRATCH_EN: 1
; COMPUTE_PGM_RSRC2:USER_SGPR: 2
; COMPUTE_PGM_RSRC2:TRAP_HANDLER: 0
; COMPUTE_PGM_RSRC2:TGID_X_EN: 1
; COMPUTE_PGM_RSRC2:TGID_Y_EN: 0
; COMPUTE_PGM_RSRC2:TGID_Z_EN: 0
; COMPUTE_PGM_RSRC2:TIDIG_COMP_CNT: 0
; COMPUTE_PGM_RSRC3_GFX90A:ACCUM_OFFSET: 63
; COMPUTE_PGM_RSRC3_GFX90A:TG_SPLIT: 0
	.section	.text._ZN9rocsolver6v33100L18trti2_kernel_smallILi56E19rocblas_complex_numIdEPS3_EEv13rocblas_fill_17rocblas_diagonal_T1_iil,"axG",@progbits,_ZN9rocsolver6v33100L18trti2_kernel_smallILi56E19rocblas_complex_numIdEPS3_EEv13rocblas_fill_17rocblas_diagonal_T1_iil,comdat
	.globl	_ZN9rocsolver6v33100L18trti2_kernel_smallILi56E19rocblas_complex_numIdEPS3_EEv13rocblas_fill_17rocblas_diagonal_T1_iil ; -- Begin function _ZN9rocsolver6v33100L18trti2_kernel_smallILi56E19rocblas_complex_numIdEPS3_EEv13rocblas_fill_17rocblas_diagonal_T1_iil
	.p2align	8
	.type	_ZN9rocsolver6v33100L18trti2_kernel_smallILi56E19rocblas_complex_numIdEPS3_EEv13rocblas_fill_17rocblas_diagonal_T1_iil,@function
_ZN9rocsolver6v33100L18trti2_kernel_smallILi56E19rocblas_complex_numIdEPS3_EEv13rocblas_fill_17rocblas_diagonal_T1_iil: ; @_ZN9rocsolver6v33100L18trti2_kernel_smallILi56E19rocblas_complex_numIdEPS3_EEv13rocblas_fill_17rocblas_diagonal_T1_iil
; %bb.0:
	v_cmp_gt_u32_e32 vcc, 56, v0
	s_and_saveexec_b64 s[4:5], vcc
	s_cbranch_execz .LBB55_883
; %bb.1:
	s_load_dwordx8 s[4:11], s[0:1], 0x0
	s_ashr_i32 s3, s2, 31
	v_lshlrev_b32_e32 v124, 4, v0
	v_mov_b32_e32 v125, 0
	v_mov_b32_e32 v1, 0
	s_waitcnt lgkmcnt(0)
	s_ashr_i32 s1, s8, 31
	s_mov_b32 s0, s8
	s_mul_i32 s8, s2, s11
	s_mul_hi_u32 s11, s2, s10
	s_add_i32 s8, s11, s8
	s_mul_i32 s3, s3, s10
	s_add_i32 s3, s8, s3
	s_mul_i32 s2, s2, s10
	s_lshl_b64 s[2:3], s[2:3], 4
	s_add_u32 s2, s6, s2
	s_addc_u32 s3, s7, s3
	s_lshl_b64 s[0:1], s[0:1], 4
	s_add_u32 s0, s2, s0
	s_addc_u32 s1, s3, s1
	s_add_i32 s2, s9, s9
	v_add_u32_e32 v4, s2, v0
	v_add_u32_e32 v2, s9, v4
	;; [unrolled: 1-line block ×15, first 2 shown]
	v_ashrrev_i32_e32 v11, 31, v10
	v_ashrrev_i32_e32 v41, 31, v40
	v_add_u32_e32 v50, s9, v48
	s_mov_b32 s2, s9
	s_ashr_i32 s3, s9, 31
	v_lshl_add_u64 v[52:53], s[0:1], 0, v[124:125]
	v_ashrrev_i32_e32 v3, 31, v2
	v_ashrrev_i32_e32 v9, 31, v8
	v_lshl_add_u64 v[30:31], v[10:11], 4, s[0:1]
	v_ashrrev_i32_e32 v13, 31, v12
	v_ashrrev_i32_e32 v17, 31, v16
	;; [unrolled: 1-line block ×4, first 2 shown]
	v_lshl_add_u64 v[10:11], v[40:41], 4, s[0:1]
	v_add_u32_e32 v54, s9, v50
	v_ashrrev_i32_e32 v5, 31, v4
	v_lshl_add_u64 v[46:47], s[2:3], 4, v[52:53]
	v_lshl_add_u64 v[44:45], v[2:3], 4, s[0:1]
	v_ashrrev_i32_e32 v7, 31, v6
	v_lshl_add_u64 v[38:39], v[8:9], 4, s[0:1]
	v_lshl_add_u64 v[32:33], v[12:13], 4, s[0:1]
	v_ashrrev_i32_e32 v15, 31, v14
	v_lshl_add_u64 v[28:29], v[16:17], 4, s[0:1]
	v_ashrrev_i32_e32 v19, 31, v18
	;; [unrolled: 2-line block ×3, first 2 shown]
	v_lshl_add_u64 v[12:13], v[26:27], 4, s[0:1]
	v_accvgpr_write_b32 a0, v10
	v_ashrrev_i32_e32 v43, 31, v42
	v_add_u32_e32 v56, s9, v54
	global_load_dwordx4 v[60:63], v124, s[0:1]
	v_lshl_add_u64 v[34:35], v[4:5], 4, s[0:1]
	global_load_dwordx4 v[64:67], v[46:47], off
	global_load_dwordx4 v[68:71], v[34:35], off
	v_lshl_add_u64 v[36:37], v[6:7], 4, s[0:1]
	global_load_dwordx4 v[2:5], v[44:45], off
	global_load_dwordx4 v[72:75], v[36:37], off
	;; [unrolled: 1-line block ×4, first 2 shown]
	v_lshl_add_u64 v[24:25], v[14:15], 4, s[0:1]
	global_load_dwordx4 v[80:83], v[32:33], off
	global_load_dwordx4 v[84:87], v[24:25], off
	v_lshl_add_u64 v[18:19], v[18:19], 4, s[0:1]
	global_load_dwordx4 v[88:91], v[28:29], off
	global_load_dwordx4 v[92:95], v[18:19], off
	;; [unrolled: 3-line block ×3, first 2 shown]
	global_load_dwordx4 v[104:107], v[12:13], off
	global_load_dwordx4 v[108:111], v[10:11], off
	v_accvgpr_write_b32 a1, v11
	v_lshl_add_u64 v[10:11], v[42:43], 4, s[0:1]
	v_add_u32_e32 v58, s9, v56
	v_ashrrev_i32_e32 v49, 31, v48
	v_accvgpr_write_b32 a4, v10
	v_lshl_add_u64 v[26:27], v[48:49], 4, s[0:1]
	v_accvgpr_write_b32 a5, v11
	global_load_dwordx4 v[112:115], v[10:11], off
	global_load_dwordx4 v[116:119], v[26:27], off
	v_add_u32_e32 v10, s9, v58
	v_ashrrev_i32_e32 v51, 31, v50
	v_ashrrev_i32_e32 v55, 31, v54
	v_ashrrev_i32_e32 v57, 31, v56
	v_ashrrev_i32_e32 v11, 31, v10
	v_lshl_add_u64 v[40:41], v[50:51], 4, s[0:1]
	v_lshl_add_u64 v[42:43], v[54:55], 4, s[0:1]
	;; [unrolled: 1-line block ×3, first 2 shown]
	v_ashrrev_i32_e32 v59, 31, v58
	v_lshl_add_u64 v[54:55], v[10:11], 4, s[0:1]
	global_load_dwordx4 v[120:123], v[40:41], off
	global_load_dwordx4 v[126:129], v[42:43], off
	v_lshl_add_u64 v[50:51], v[58:59], 4, s[0:1]
	global_load_dwordx4 v[130:133], v[48:49], off
	global_load_dwordx4 v[134:137], v[50:51], off
	;; [unrolled: 1-line block ×3, first 2 shown]
	v_accvgpr_write_b32 a2, v12
	v_add_u32_e32 v10, s9, v10
	v_accvgpr_write_b32 a3, v13
	v_add_u32_e32 v12, s9, v10
	v_add_u32_e32 v16, s9, v12
	;; [unrolled: 1-line block ×33, first 2 shown]
	v_ashrrev_i32_e32 v57, 31, v56
	v_lshl_add_u64 v[56:57], v[56:57], 4, s[0:1]
	global_load_dwordx4 v[142:145], v[56:57], off
	v_ashrrev_i32_e32 v11, 31, v10
	v_ashrrev_i32_e32 v13, 31, v12
	;; [unrolled: 1-line block ×17, first 2 shown]
	s_waitcnt vmcnt(22)
	scratch_store_dwordx4 off, v[60:63], off
	s_waitcnt vmcnt(22)
	scratch_store_dwordx4 off, v[64:67], off offset:16
	s_waitcnt vmcnt(22)
	scratch_store_dwordx4 off, v[68:71], off offset:32
	;; [unrolled: 2-line block ×20, first 2 shown]
	v_lshl_add_u64 v[58:59], v[10:11], 4, s[0:1]
	s_waitcnt vmcnt(22)
	scratch_store_dwordx4 off, v[138:141], off offset:336
	v_lshl_add_u64 v[60:61], v[12:13], 4, s[0:1]
	v_ashrrev_i32_e32 v17, 31, v16
	v_lshl_add_u64 v[64:65], v[22:23], 4, s[0:1]
	v_ashrrev_i32_e32 v147, 31, v146
	;; [unrolled: 2-line block ×16, first 2 shown]
	global_load_dwordx4 v[2:5], v[58:59], off
	v_lshl_add_u64 v[62:63], v[16:17], 4, s[0:1]
	global_load_dwordx4 v[6:9], v[60:61], off
	global_load_dwordx4 v[126:129], v[62:63], off
	v_lshl_add_u64 v[66:67], v[146:147], 4, s[0:1]
	global_load_dwordx4 v[130:133], v[64:65], off
	;; [unrolled: 3-line block ×16, first 2 shown]
	global_load_dwordx4 v[250:253], v[122:123], off
	s_cmpk_lg_i32 s5, 0x84
	s_cselect_b64 s[6:7], -1, 0
	s_cmpk_eq_i32 s5, 0x84
	s_waitcnt vmcnt(32)
	scratch_store_dwordx4 off, v[2:5], off offset:352
	s_waitcnt vmcnt(32)
	scratch_store_dwordx4 off, v[6:9], off offset:368
	;; [unrolled: 2-line block ×33, first 2 shown]
	scratch_store_dwordx4 off, v[142:145], off offset:880
	s_cbranch_scc1 .LBB55_7
; %bb.2:
	scratch_load_dwordx4 v[8:11], v124, off
                                        ; implicit-def: $vgpr6_vgpr7
	s_waitcnt vmcnt(0)
	v_xor_b32_e32 v3, 0x80000000, v9
	v_cmp_gt_f64_e32 vcc, 0, v[8:9]
	v_xor_b32_e32 v4, 0x80000000, v11
	v_mov_b32_e32 v2, v8
	v_cndmask_b32_e32 v3, v9, v3, vcc
	v_cmp_gt_f64_e32 vcc, 0, v[10:11]
	s_nop 1
	v_cndmask_b32_e32 v5, v11, v4, vcc
	v_mov_b32_e32 v4, v10
	v_cmp_ngt_f64_e32 vcc, v[2:3], v[4:5]
                                        ; implicit-def: $vgpr2_vgpr3
	s_and_saveexec_b64 s[0:1], vcc
	s_xor_b64 s[0:1], exec, s[0:1]
	s_cbranch_execz .LBB55_4
; %bb.3:
	v_div_scale_f64 v[2:3], s[2:3], v[10:11], v[10:11], v[8:9]
	v_rcp_f64_e32 v[4:5], v[2:3]
	v_div_scale_f64 v[6:7], vcc, v[8:9], v[10:11], v[8:9]
	v_fma_f64 v[12:13], -v[2:3], v[4:5], 1.0
	v_fmac_f64_e32 v[4:5], v[4:5], v[12:13]
	v_fma_f64 v[12:13], -v[2:3], v[4:5], 1.0
	v_fmac_f64_e32 v[4:5], v[4:5], v[12:13]
	v_mul_f64 v[12:13], v[6:7], v[4:5]
	v_fma_f64 v[2:3], -v[2:3], v[12:13], v[6:7]
	v_div_fmas_f64 v[2:3], v[2:3], v[4:5], v[12:13]
	v_div_fixup_f64 v[2:3], v[2:3], v[10:11], v[8:9]
	v_fmac_f64_e32 v[10:11], v[8:9], v[2:3]
	v_div_scale_f64 v[4:5], s[2:3], v[10:11], v[10:11], 1.0
	v_rcp_f64_e32 v[6:7], v[4:5]
	s_nop 0
	v_fma_f64 v[8:9], -v[4:5], v[6:7], 1.0
	v_fmac_f64_e32 v[6:7], v[6:7], v[8:9]
	v_fma_f64 v[8:9], -v[4:5], v[6:7], 1.0
	v_fmac_f64_e32 v[6:7], v[6:7], v[8:9]
	v_div_scale_f64 v[8:9], vcc, 1.0, v[10:11], 1.0
	v_mul_f64 v[12:13], v[8:9], v[6:7]
	v_fma_f64 v[4:5], -v[4:5], v[12:13], v[8:9]
                                        ; implicit-def: $vgpr8_vgpr9
	s_nop 1
	v_div_fmas_f64 v[4:5], v[4:5], v[6:7], v[12:13]
	v_div_fixup_f64 v[4:5], v[4:5], v[10:11], 1.0
	v_mul_f64 v[2:3], v[2:3], v[4:5]
	v_xor_b32_e32 v5, 0x80000000, v5
	v_xor_b32_e32 v7, 0x80000000, v3
	v_mov_b32_e32 v6, v2
.LBB55_4:
	s_or_saveexec_b64 s[0:1], s[0:1]
	v_add_u32_e32 v125, 0, v124
	s_xor_b64 exec, exec, s[0:1]
	s_cbranch_execz .LBB55_6
; %bb.5:
	v_div_scale_f64 v[2:3], s[2:3], v[8:9], v[8:9], v[10:11]
	v_rcp_f64_e32 v[4:5], v[2:3]
	v_div_scale_f64 v[6:7], vcc, v[10:11], v[8:9], v[10:11]
	v_fma_f64 v[12:13], -v[2:3], v[4:5], 1.0
	v_fmac_f64_e32 v[4:5], v[4:5], v[12:13]
	v_fma_f64 v[12:13], -v[2:3], v[4:5], 1.0
	v_fmac_f64_e32 v[4:5], v[4:5], v[12:13]
	v_mul_f64 v[12:13], v[6:7], v[4:5]
	v_fma_f64 v[2:3], -v[2:3], v[12:13], v[6:7]
	v_div_fmas_f64 v[2:3], v[2:3], v[4:5], v[12:13]
	v_div_fixup_f64 v[4:5], v[2:3], v[8:9], v[10:11]
	v_fmac_f64_e32 v[8:9], v[10:11], v[4:5]
	v_div_scale_f64 v[2:3], s[2:3], v[8:9], v[8:9], 1.0
	v_rcp_f64_e32 v[6:7], v[2:3]
	s_nop 0
	v_fma_f64 v[10:11], -v[2:3], v[6:7], 1.0
	v_fmac_f64_e32 v[6:7], v[6:7], v[10:11]
	v_fma_f64 v[10:11], -v[2:3], v[6:7], 1.0
	v_fmac_f64_e32 v[6:7], v[6:7], v[10:11]
	v_div_scale_f64 v[10:11], vcc, 1.0, v[8:9], 1.0
	v_mul_f64 v[12:13], v[10:11], v[6:7]
	v_fma_f64 v[2:3], -v[2:3], v[12:13], v[10:11]
	s_nop 1
	v_div_fmas_f64 v[2:3], v[2:3], v[6:7], v[12:13]
	v_div_fixup_f64 v[2:3], v[2:3], v[8:9], 1.0
	v_xor_b32_e32 v7, 0x80000000, v3
	v_mov_b32_e32 v6, v2
	v_mul_f64 v[4:5], v[4:5], -v[2:3]
.LBB55_6:
	s_or_b64 exec, exec, s[0:1]
	scratch_store_dwordx4 v125, v[2:5], off
	s_nop 1
	v_xor_b32_e32 v5, 0x80000000, v5
	s_branch .LBB55_8
.LBB55_7:
	v_mov_b64_e32 v[4:5], 0
	v_mov_b64_e32 v[6:7], -1.0
.LBB55_8:
	v_mov_b32_e32 v8, v4
	v_mov_b32_e32 v9, v5
	v_add_u32_e32 v176, 16, v1
	v_add_u32_e32 v175, 32, v1
	;; [unrolled: 1-line block ×55, first 2 shown]
	ds_write_b128 v124, v[6:9]
	s_cmpk_eq_i32 s4, 0x79
	v_add_u32_e32 v9, 0x380, v124
	v_add_u32_e32 v8, 0, v124
	s_cbranch_scc1 .LBB55_444
; %bb.9:
	scratch_load_dwordx4 v[2:5], v22, off
	v_cmp_eq_u32_e64 s[0:1], 55, v0
	s_waitcnt vmcnt(0)
	ds_write_b128 v9, v[2:5]
	s_waitcnt lgkmcnt(0)
	; wave barrier
	s_waitcnt lgkmcnt(0)
	s_and_saveexec_b64 s[2:3], s[0:1]
	s_cbranch_execz .LBB55_13
; %bb.10:
	ds_read_b128 v[2:5], v9
	s_andn2_b64 vcc, exec, s[6:7]
	s_cbranch_vccnz .LBB55_12
; %bb.11:
	scratch_load_dwordx4 v[178:181], v8, off
	s_waitcnt vmcnt(0) lgkmcnt(0)
	v_mul_f64 v[12:13], v[2:3], v[180:181]
	v_mul_f64 v[6:7], v[4:5], v[180:181]
	v_fmac_f64_e32 v[12:13], v[4:5], v[178:179]
	v_fma_f64 v[2:3], v[2:3], v[178:179], -v[6:7]
	v_mov_b64_e32 v[4:5], v[12:13]
.LBB55_12:
	v_mov_b32_e32 v6, 0
	ds_read_b128 v[178:181], v6 offset:864
	s_waitcnt lgkmcnt(0)
	v_mul_f64 v[6:7], v[4:5], v[180:181]
	v_mul_f64 v[182:183], v[2:3], v[180:181]
	v_fma_f64 v[180:181], v[2:3], v[178:179], -v[6:7]
	v_fmac_f64_e32 v[182:183], v[4:5], v[178:179]
	scratch_store_dwordx4 off, v[180:183], off offset:864
.LBB55_13:
	s_or_b64 exec, exec, s[2:3]
	scratch_load_dwordx4 v[2:5], v23, off
	v_cmp_lt_u32_e64 s[2:3], 53, v0
	s_waitcnt vmcnt(0)
	ds_write_b128 v9, v[2:5]
	s_waitcnt lgkmcnt(0)
	; wave barrier
	s_waitcnt lgkmcnt(0)
	s_and_saveexec_b64 s[4:5], s[2:3]
	s_cbranch_execz .LBB55_19
; %bb.14:
	ds_read_b128 v[2:5], v9
	s_andn2_b64 vcc, exec, s[6:7]
	s_cbranch_vccnz .LBB55_16
; %bb.15:
	scratch_load_dwordx4 v[178:181], v8, off
	s_waitcnt vmcnt(0) lgkmcnt(0)
	v_mul_f64 v[12:13], v[2:3], v[180:181]
	v_mul_f64 v[6:7], v[4:5], v[180:181]
	v_fmac_f64_e32 v[12:13], v[4:5], v[178:179]
	v_fma_f64 v[2:3], v[2:3], v[178:179], -v[6:7]
	v_mov_b64_e32 v[4:5], v[12:13]
.LBB55_16:
	s_and_saveexec_b64 s[8:9], s[0:1]
	s_cbranch_execz .LBB55_18
; %bb.17:
	scratch_load_dwordx4 v[178:181], off, off offset:864
	v_mov_b32_e32 v6, 0
	ds_read_b128 v[182:185], v6 offset:1760
	s_waitcnt vmcnt(0) lgkmcnt(0)
	v_mul_f64 v[6:7], v[182:183], v[180:181]
	v_mul_f64 v[12:13], v[184:185], v[180:181]
	v_fmac_f64_e32 v[6:7], v[184:185], v[178:179]
	v_fma_f64 v[12:13], v[182:183], v[178:179], -v[12:13]
	v_add_f64 v[4:5], v[4:5], v[6:7]
	v_add_f64 v[2:3], v[2:3], v[12:13]
.LBB55_18:
	s_or_b64 exec, exec, s[8:9]
	v_mov_b32_e32 v6, 0
	ds_read_b128 v[178:181], v6 offset:848
	s_waitcnt lgkmcnt(0)
	v_mul_f64 v[6:7], v[4:5], v[180:181]
	v_mul_f64 v[182:183], v[2:3], v[180:181]
	v_fma_f64 v[180:181], v[2:3], v[178:179], -v[6:7]
	v_fmac_f64_e32 v[182:183], v[4:5], v[178:179]
	scratch_store_dwordx4 off, v[180:183], off offset:848
.LBB55_19:
	s_or_b64 exec, exec, s[4:5]
	scratch_load_dwordx4 v[2:5], v125, off
	v_cmp_lt_u32_e64 s[0:1], 52, v0
	s_waitcnt vmcnt(0)
	ds_write_b128 v9, v[2:5]
	s_waitcnt lgkmcnt(0)
	; wave barrier
	s_waitcnt lgkmcnt(0)
	s_and_saveexec_b64 s[4:5], s[0:1]
	s_cbranch_execz .LBB55_27
; %bb.20:
	ds_read_b128 v[2:5], v9
	s_andn2_b64 vcc, exec, s[6:7]
	s_cbranch_vccnz .LBB55_22
; %bb.21:
	scratch_load_dwordx4 v[178:181], v8, off
	s_waitcnt vmcnt(0) lgkmcnt(0)
	v_mul_f64 v[12:13], v[2:3], v[180:181]
	v_mul_f64 v[6:7], v[4:5], v[180:181]
	v_fmac_f64_e32 v[12:13], v[4:5], v[178:179]
	v_fma_f64 v[2:3], v[2:3], v[178:179], -v[6:7]
	v_mov_b64_e32 v[4:5], v[12:13]
.LBB55_22:
	s_and_saveexec_b64 s[8:9], s[2:3]
	s_cbranch_execz .LBB55_26
; %bb.23:
	v_mov_b32_e32 v7, 0
	v_subrev_u32_e32 v6, 53, v0
	v_add_u32_e32 v7, 0x358, v7
	s_movk_i32 s10, 0x6d0
	s_mov_b64 s[2:3], 0
.LBB55_24:                              ; =>This Inner Loop Header: Depth=1
	v_add_u32_e32 v12, -8, v7
	scratch_load_dwordx4 v[178:181], v12, off
	v_mov_b32_e32 v12, s10
	ds_read_b128 v[182:185], v12
	v_add_u32_e32 v6, -1, v6
	s_add_i32 s10, s10, 16
	v_cmp_eq_u32_e32 vcc, 0, v6
	v_add_u32_e32 v7, 16, v7
	s_or_b64 s[2:3], vcc, s[2:3]
	s_waitcnt vmcnt(0) lgkmcnt(0)
	v_mul_f64 v[12:13], v[184:185], v[180:181]
	v_mul_f64 v[16:17], v[182:183], v[180:181]
	v_fma_f64 v[12:13], v[182:183], v[178:179], -v[12:13]
	v_fmac_f64_e32 v[16:17], v[184:185], v[178:179]
	v_add_f64 v[2:3], v[2:3], v[12:13]
	v_add_f64 v[4:5], v[4:5], v[16:17]
	s_andn2_b64 exec, exec, s[2:3]
	s_cbranch_execnz .LBB55_24
; %bb.25:
	s_or_b64 exec, exec, s[2:3]
.LBB55_26:
	s_or_b64 exec, exec, s[8:9]
	v_mov_b32_e32 v6, 0
	ds_read_b128 v[178:181], v6 offset:832
	s_waitcnt lgkmcnt(0)
	v_mul_f64 v[6:7], v[4:5], v[180:181]
	v_mul_f64 v[182:183], v[2:3], v[180:181]
	v_fma_f64 v[180:181], v[2:3], v[178:179], -v[6:7]
	v_fmac_f64_e32 v[182:183], v[4:5], v[178:179]
	scratch_store_dwordx4 off, v[180:183], off offset:832
.LBB55_27:
	s_or_b64 exec, exec, s[4:5]
	scratch_load_dwordx4 v[2:5], v126, off
	v_cmp_lt_u32_e64 s[2:3], 51, v0
	s_waitcnt vmcnt(0)
	ds_write_b128 v9, v[2:5]
	s_waitcnt lgkmcnt(0)
	; wave barrier
	s_waitcnt lgkmcnt(0)
	s_and_saveexec_b64 s[4:5], s[2:3]
	s_cbranch_execz .LBB55_35
; %bb.28:
	ds_read_b128 v[2:5], v9
	s_andn2_b64 vcc, exec, s[6:7]
	s_cbranch_vccnz .LBB55_30
; %bb.29:
	scratch_load_dwordx4 v[178:181], v8, off
	s_waitcnt vmcnt(0) lgkmcnt(0)
	v_mul_f64 v[12:13], v[2:3], v[180:181]
	v_mul_f64 v[6:7], v[4:5], v[180:181]
	v_fmac_f64_e32 v[12:13], v[4:5], v[178:179]
	v_fma_f64 v[2:3], v[2:3], v[178:179], -v[6:7]
	v_mov_b64_e32 v[4:5], v[12:13]
.LBB55_30:
	s_and_saveexec_b64 s[8:9], s[0:1]
	s_cbranch_execz .LBB55_34
; %bb.31:
	v_mov_b32_e32 v7, 0
	v_subrev_u32_e32 v6, 52, v0
	v_add_u32_e32 v7, 0x348, v7
	s_movk_i32 s10, 0x6c0
	s_mov_b64 s[0:1], 0
.LBB55_32:                              ; =>This Inner Loop Header: Depth=1
	v_add_u32_e32 v12, -8, v7
	scratch_load_dwordx4 v[178:181], v12, off
	v_mov_b32_e32 v12, s10
	ds_read_b128 v[182:185], v12
	v_add_u32_e32 v6, -1, v6
	s_add_i32 s10, s10, 16
	v_cmp_eq_u32_e32 vcc, 0, v6
	v_add_u32_e32 v7, 16, v7
	s_or_b64 s[0:1], vcc, s[0:1]
	s_waitcnt vmcnt(0) lgkmcnt(0)
	v_mul_f64 v[12:13], v[184:185], v[180:181]
	v_mul_f64 v[16:17], v[182:183], v[180:181]
	v_fma_f64 v[12:13], v[182:183], v[178:179], -v[12:13]
	v_fmac_f64_e32 v[16:17], v[184:185], v[178:179]
	v_add_f64 v[2:3], v[2:3], v[12:13]
	v_add_f64 v[4:5], v[4:5], v[16:17]
	s_andn2_b64 exec, exec, s[0:1]
	s_cbranch_execnz .LBB55_32
; %bb.33:
	s_or_b64 exec, exec, s[0:1]
.LBB55_34:
	s_or_b64 exec, exec, s[8:9]
	v_mov_b32_e32 v6, 0
	ds_read_b128 v[178:181], v6 offset:816
	s_waitcnt lgkmcnt(0)
	v_mul_f64 v[6:7], v[4:5], v[180:181]
	v_mul_f64 v[182:183], v[2:3], v[180:181]
	v_fma_f64 v[180:181], v[2:3], v[178:179], -v[6:7]
	v_fmac_f64_e32 v[182:183], v[4:5], v[178:179]
	scratch_store_dwordx4 off, v[180:183], off offset:816
.LBB55_35:
	s_or_b64 exec, exec, s[4:5]
	scratch_load_dwordx4 v[2:5], v127, off
	v_cmp_lt_u32_e64 s[0:1], 50, v0
	s_waitcnt vmcnt(0)
	ds_write_b128 v9, v[2:5]
	s_waitcnt lgkmcnt(0)
	; wave barrier
	s_waitcnt lgkmcnt(0)
	s_and_saveexec_b64 s[4:5], s[0:1]
	s_cbranch_execz .LBB55_43
; %bb.36:
	ds_read_b128 v[2:5], v9
	s_andn2_b64 vcc, exec, s[6:7]
	s_cbranch_vccnz .LBB55_38
; %bb.37:
	scratch_load_dwordx4 v[178:181], v8, off
	s_waitcnt vmcnt(0) lgkmcnt(0)
	v_mul_f64 v[12:13], v[2:3], v[180:181]
	v_mul_f64 v[6:7], v[4:5], v[180:181]
	v_fmac_f64_e32 v[12:13], v[4:5], v[178:179]
	v_fma_f64 v[2:3], v[2:3], v[178:179], -v[6:7]
	v_mov_b64_e32 v[4:5], v[12:13]
.LBB55_38:
	s_and_saveexec_b64 s[8:9], s[2:3]
	s_cbranch_execz .LBB55_42
; %bb.39:
	v_mov_b32_e32 v7, 0
	v_subrev_u32_e32 v6, 51, v0
	v_add_u32_e32 v7, 0x338, v7
	s_movk_i32 s10, 0x6b0
	s_mov_b64 s[2:3], 0
.LBB55_40:                              ; =>This Inner Loop Header: Depth=1
	v_add_u32_e32 v12, -8, v7
	scratch_load_dwordx4 v[178:181], v12, off
	v_mov_b32_e32 v12, s10
	ds_read_b128 v[182:185], v12
	v_add_u32_e32 v6, -1, v6
	s_add_i32 s10, s10, 16
	v_cmp_eq_u32_e32 vcc, 0, v6
	v_add_u32_e32 v7, 16, v7
	s_or_b64 s[2:3], vcc, s[2:3]
	s_waitcnt vmcnt(0) lgkmcnt(0)
	v_mul_f64 v[12:13], v[184:185], v[180:181]
	v_mul_f64 v[16:17], v[182:183], v[180:181]
	v_fma_f64 v[12:13], v[182:183], v[178:179], -v[12:13]
	v_fmac_f64_e32 v[16:17], v[184:185], v[178:179]
	v_add_f64 v[2:3], v[2:3], v[12:13]
	v_add_f64 v[4:5], v[4:5], v[16:17]
	s_andn2_b64 exec, exec, s[2:3]
	s_cbranch_execnz .LBB55_40
; %bb.41:
	s_or_b64 exec, exec, s[2:3]
.LBB55_42:
	s_or_b64 exec, exec, s[8:9]
	v_mov_b32_e32 v6, 0
	ds_read_b128 v[178:181], v6 offset:800
	s_waitcnt lgkmcnt(0)
	v_mul_f64 v[6:7], v[4:5], v[180:181]
	v_mul_f64 v[182:183], v[2:3], v[180:181]
	v_fma_f64 v[180:181], v[2:3], v[178:179], -v[6:7]
	v_fmac_f64_e32 v[182:183], v[4:5], v[178:179]
	scratch_store_dwordx4 off, v[180:183], off offset:800
.LBB55_43:
	s_or_b64 exec, exec, s[4:5]
	scratch_load_dwordx4 v[2:5], v10, off
	v_cmp_lt_u32_e64 s[2:3], 49, v0
	s_waitcnt vmcnt(0)
	ds_write_b128 v9, v[2:5]
	s_waitcnt lgkmcnt(0)
	; wave barrier
	s_waitcnt lgkmcnt(0)
	s_and_saveexec_b64 s[4:5], s[2:3]
	s_cbranch_execz .LBB55_51
; %bb.44:
	ds_read_b128 v[2:5], v9
	s_andn2_b64 vcc, exec, s[6:7]
	s_cbranch_vccnz .LBB55_46
; %bb.45:
	scratch_load_dwordx4 v[178:181], v8, off
	s_waitcnt vmcnt(0) lgkmcnt(0)
	v_mul_f64 v[12:13], v[2:3], v[180:181]
	v_mul_f64 v[6:7], v[4:5], v[180:181]
	v_fmac_f64_e32 v[12:13], v[4:5], v[178:179]
	v_fma_f64 v[2:3], v[2:3], v[178:179], -v[6:7]
	v_mov_b64_e32 v[4:5], v[12:13]
.LBB55_46:
	s_and_saveexec_b64 s[8:9], s[0:1]
	s_cbranch_execz .LBB55_50
; %bb.47:
	v_mov_b32_e32 v7, 0
	v_subrev_u32_e32 v6, 50, v0
	v_add_u32_e32 v7, 0x328, v7
	s_movk_i32 s10, 0x6a0
	s_mov_b64 s[0:1], 0
.LBB55_48:                              ; =>This Inner Loop Header: Depth=1
	v_add_u32_e32 v12, -8, v7
	scratch_load_dwordx4 v[178:181], v12, off
	v_mov_b32_e32 v12, s10
	ds_read_b128 v[182:185], v12
	v_add_u32_e32 v6, -1, v6
	s_add_i32 s10, s10, 16
	v_cmp_eq_u32_e32 vcc, 0, v6
	v_add_u32_e32 v7, 16, v7
	s_or_b64 s[0:1], vcc, s[0:1]
	s_waitcnt vmcnt(0) lgkmcnt(0)
	v_mul_f64 v[12:13], v[184:185], v[180:181]
	v_mul_f64 v[16:17], v[182:183], v[180:181]
	v_fma_f64 v[12:13], v[182:183], v[178:179], -v[12:13]
	v_fmac_f64_e32 v[16:17], v[184:185], v[178:179]
	v_add_f64 v[2:3], v[2:3], v[12:13]
	v_add_f64 v[4:5], v[4:5], v[16:17]
	s_andn2_b64 exec, exec, s[0:1]
	s_cbranch_execnz .LBB55_48
; %bb.49:
	s_or_b64 exec, exec, s[0:1]
.LBB55_50:
	s_or_b64 exec, exec, s[8:9]
	v_mov_b32_e32 v6, 0
	ds_read_b128 v[178:181], v6 offset:784
	s_waitcnt lgkmcnt(0)
	v_mul_f64 v[6:7], v[4:5], v[180:181]
	v_mul_f64 v[182:183], v[2:3], v[180:181]
	v_fma_f64 v[180:181], v[2:3], v[178:179], -v[6:7]
	v_fmac_f64_e32 v[182:183], v[4:5], v[178:179]
	scratch_store_dwordx4 off, v[180:183], off offset:784
.LBB55_51:
	s_or_b64 exec, exec, s[4:5]
	scratch_load_dwordx4 v[2:5], v11, off
	v_cmp_lt_u32_e64 s[0:1], 48, v0
	s_waitcnt vmcnt(0)
	ds_write_b128 v9, v[2:5]
	s_waitcnt lgkmcnt(0)
	; wave barrier
	s_waitcnt lgkmcnt(0)
	s_and_saveexec_b64 s[4:5], s[0:1]
	s_cbranch_execz .LBB55_59
; %bb.52:
	ds_read_b128 v[2:5], v9
	s_andn2_b64 vcc, exec, s[6:7]
	s_cbranch_vccnz .LBB55_54
; %bb.53:
	scratch_load_dwordx4 v[178:181], v8, off
	s_waitcnt vmcnt(0) lgkmcnt(0)
	v_mul_f64 v[12:13], v[2:3], v[180:181]
	v_mul_f64 v[6:7], v[4:5], v[180:181]
	v_fmac_f64_e32 v[12:13], v[4:5], v[178:179]
	v_fma_f64 v[2:3], v[2:3], v[178:179], -v[6:7]
	v_mov_b64_e32 v[4:5], v[12:13]
.LBB55_54:
	s_and_saveexec_b64 s[8:9], s[2:3]
	s_cbranch_execz .LBB55_58
; %bb.55:
	v_mov_b32_e32 v7, 0
	v_subrev_u32_e32 v6, 49, v0
	v_add_u32_e32 v7, 0x318, v7
	s_movk_i32 s10, 0x690
	s_mov_b64 s[2:3], 0
.LBB55_56:                              ; =>This Inner Loop Header: Depth=1
	v_add_u32_e32 v12, -8, v7
	scratch_load_dwordx4 v[178:181], v12, off
	v_mov_b32_e32 v12, s10
	ds_read_b128 v[182:185], v12
	v_add_u32_e32 v6, -1, v6
	s_add_i32 s10, s10, 16
	v_cmp_eq_u32_e32 vcc, 0, v6
	v_add_u32_e32 v7, 16, v7
	s_or_b64 s[2:3], vcc, s[2:3]
	s_waitcnt vmcnt(0) lgkmcnt(0)
	v_mul_f64 v[12:13], v[184:185], v[180:181]
	v_mul_f64 v[16:17], v[182:183], v[180:181]
	v_fma_f64 v[12:13], v[182:183], v[178:179], -v[12:13]
	v_fmac_f64_e32 v[16:17], v[184:185], v[178:179]
	v_add_f64 v[2:3], v[2:3], v[12:13]
	v_add_f64 v[4:5], v[4:5], v[16:17]
	s_andn2_b64 exec, exec, s[2:3]
	s_cbranch_execnz .LBB55_56
; %bb.57:
	s_or_b64 exec, exec, s[2:3]
.LBB55_58:
	s_or_b64 exec, exec, s[8:9]
	v_mov_b32_e32 v6, 0
	ds_read_b128 v[178:181], v6 offset:768
	s_waitcnt lgkmcnt(0)
	v_mul_f64 v[6:7], v[4:5], v[180:181]
	v_mul_f64 v[182:183], v[2:3], v[180:181]
	v_fma_f64 v[180:181], v[2:3], v[178:179], -v[6:7]
	v_fmac_f64_e32 v[182:183], v[4:5], v[178:179]
	scratch_store_dwordx4 off, v[180:183], off offset:768
.LBB55_59:
	s_or_b64 exec, exec, s[4:5]
	scratch_load_dwordx4 v[2:5], v130, off
	v_cmp_lt_u32_e64 s[2:3], 47, v0
	s_waitcnt vmcnt(0)
	ds_write_b128 v9, v[2:5]
	s_waitcnt lgkmcnt(0)
	; wave barrier
	s_waitcnt lgkmcnt(0)
	s_and_saveexec_b64 s[4:5], s[2:3]
	s_cbranch_execz .LBB55_67
; %bb.60:
	ds_read_b128 v[2:5], v9
	s_andn2_b64 vcc, exec, s[6:7]
	s_cbranch_vccnz .LBB55_62
; %bb.61:
	scratch_load_dwordx4 v[178:181], v8, off
	s_waitcnt vmcnt(0) lgkmcnt(0)
	v_mul_f64 v[12:13], v[2:3], v[180:181]
	v_mul_f64 v[6:7], v[4:5], v[180:181]
	v_fmac_f64_e32 v[12:13], v[4:5], v[178:179]
	v_fma_f64 v[2:3], v[2:3], v[178:179], -v[6:7]
	v_mov_b64_e32 v[4:5], v[12:13]
.LBB55_62:
	s_and_saveexec_b64 s[8:9], s[0:1]
	s_cbranch_execz .LBB55_66
; %bb.63:
	v_mov_b32_e32 v7, 0
	v_subrev_u32_e32 v6, 48, v0
	v_add_u32_e32 v7, 0x308, v7
	s_movk_i32 s10, 0x680
	s_mov_b64 s[0:1], 0
.LBB55_64:                              ; =>This Inner Loop Header: Depth=1
	v_add_u32_e32 v12, -8, v7
	scratch_load_dwordx4 v[178:181], v12, off
	v_mov_b32_e32 v12, s10
	ds_read_b128 v[182:185], v12
	v_add_u32_e32 v6, -1, v6
	s_add_i32 s10, s10, 16
	v_cmp_eq_u32_e32 vcc, 0, v6
	v_add_u32_e32 v7, 16, v7
	s_or_b64 s[0:1], vcc, s[0:1]
	s_waitcnt vmcnt(0) lgkmcnt(0)
	v_mul_f64 v[12:13], v[184:185], v[180:181]
	v_mul_f64 v[16:17], v[182:183], v[180:181]
	v_fma_f64 v[12:13], v[182:183], v[178:179], -v[12:13]
	v_fmac_f64_e32 v[16:17], v[184:185], v[178:179]
	v_add_f64 v[2:3], v[2:3], v[12:13]
	v_add_f64 v[4:5], v[4:5], v[16:17]
	s_andn2_b64 exec, exec, s[0:1]
	s_cbranch_execnz .LBB55_64
; %bb.65:
	s_or_b64 exec, exec, s[0:1]
.LBB55_66:
	s_or_b64 exec, exec, s[8:9]
	v_mov_b32_e32 v6, 0
	ds_read_b128 v[178:181], v6 offset:752
	s_waitcnt lgkmcnt(0)
	v_mul_f64 v[6:7], v[4:5], v[180:181]
	v_mul_f64 v[182:183], v[2:3], v[180:181]
	v_fma_f64 v[180:181], v[2:3], v[178:179], -v[6:7]
	v_fmac_f64_e32 v[182:183], v[4:5], v[178:179]
	scratch_store_dwordx4 off, v[180:183], off offset:752
.LBB55_67:
	s_or_b64 exec, exec, s[4:5]
	scratch_load_dwordx4 v[2:5], v131, off
	v_cmp_lt_u32_e64 s[0:1], 46, v0
	s_waitcnt vmcnt(0)
	ds_write_b128 v9, v[2:5]
	s_waitcnt lgkmcnt(0)
	; wave barrier
	s_waitcnt lgkmcnt(0)
	s_and_saveexec_b64 s[4:5], s[0:1]
	s_cbranch_execz .LBB55_75
; %bb.68:
	ds_read_b128 v[2:5], v9
	s_andn2_b64 vcc, exec, s[6:7]
	s_cbranch_vccnz .LBB55_70
; %bb.69:
	scratch_load_dwordx4 v[178:181], v8, off
	s_waitcnt vmcnt(0) lgkmcnt(0)
	v_mul_f64 v[12:13], v[2:3], v[180:181]
	v_mul_f64 v[6:7], v[4:5], v[180:181]
	v_fmac_f64_e32 v[12:13], v[4:5], v[178:179]
	v_fma_f64 v[2:3], v[2:3], v[178:179], -v[6:7]
	v_mov_b64_e32 v[4:5], v[12:13]
.LBB55_70:
	s_and_saveexec_b64 s[8:9], s[2:3]
	s_cbranch_execz .LBB55_74
; %bb.71:
	v_mov_b32_e32 v7, 0
	v_subrev_u32_e32 v6, 47, v0
	v_add_u32_e32 v7, 0x2f8, v7
	s_movk_i32 s10, 0x670
	s_mov_b64 s[2:3], 0
.LBB55_72:                              ; =>This Inner Loop Header: Depth=1
	v_add_u32_e32 v12, -8, v7
	scratch_load_dwordx4 v[178:181], v12, off
	v_mov_b32_e32 v12, s10
	ds_read_b128 v[182:185], v12
	v_add_u32_e32 v6, -1, v6
	s_add_i32 s10, s10, 16
	v_cmp_eq_u32_e32 vcc, 0, v6
	v_add_u32_e32 v7, 16, v7
	s_or_b64 s[2:3], vcc, s[2:3]
	s_waitcnt vmcnt(0) lgkmcnt(0)
	v_mul_f64 v[12:13], v[184:185], v[180:181]
	v_mul_f64 v[16:17], v[182:183], v[180:181]
	v_fma_f64 v[12:13], v[182:183], v[178:179], -v[12:13]
	v_fmac_f64_e32 v[16:17], v[184:185], v[178:179]
	v_add_f64 v[2:3], v[2:3], v[12:13]
	v_add_f64 v[4:5], v[4:5], v[16:17]
	s_andn2_b64 exec, exec, s[2:3]
	s_cbranch_execnz .LBB55_72
; %bb.73:
	s_or_b64 exec, exec, s[2:3]
.LBB55_74:
	s_or_b64 exec, exec, s[8:9]
	v_mov_b32_e32 v6, 0
	ds_read_b128 v[178:181], v6 offset:736
	s_waitcnt lgkmcnt(0)
	v_mul_f64 v[6:7], v[4:5], v[180:181]
	v_mul_f64 v[182:183], v[2:3], v[180:181]
	v_fma_f64 v[180:181], v[2:3], v[178:179], -v[6:7]
	v_fmac_f64_e32 v[182:183], v[4:5], v[178:179]
	scratch_store_dwordx4 off, v[180:183], off offset:736
.LBB55_75:
	s_or_b64 exec, exec, s[4:5]
	scratch_load_dwordx4 v[2:5], v132, off
	v_cmp_lt_u32_e64 s[2:3], 45, v0
	s_waitcnt vmcnt(0)
	ds_write_b128 v9, v[2:5]
	s_waitcnt lgkmcnt(0)
	; wave barrier
	s_waitcnt lgkmcnt(0)
	s_and_saveexec_b64 s[4:5], s[2:3]
	s_cbranch_execz .LBB55_83
; %bb.76:
	ds_read_b128 v[2:5], v9
	s_andn2_b64 vcc, exec, s[6:7]
	s_cbranch_vccnz .LBB55_78
; %bb.77:
	scratch_load_dwordx4 v[178:181], v8, off
	s_waitcnt vmcnt(0) lgkmcnt(0)
	v_mul_f64 v[12:13], v[2:3], v[180:181]
	v_mul_f64 v[6:7], v[4:5], v[180:181]
	v_fmac_f64_e32 v[12:13], v[4:5], v[178:179]
	v_fma_f64 v[2:3], v[2:3], v[178:179], -v[6:7]
	v_mov_b64_e32 v[4:5], v[12:13]
.LBB55_78:
	s_and_saveexec_b64 s[8:9], s[0:1]
	s_cbranch_execz .LBB55_82
; %bb.79:
	v_mov_b32_e32 v7, 0
	v_subrev_u32_e32 v6, 46, v0
	v_add_u32_e32 v7, 0x2e8, v7
	s_movk_i32 s10, 0x660
	s_mov_b64 s[0:1], 0
.LBB55_80:                              ; =>This Inner Loop Header: Depth=1
	v_add_u32_e32 v12, -8, v7
	scratch_load_dwordx4 v[178:181], v12, off
	v_mov_b32_e32 v12, s10
	ds_read_b128 v[182:185], v12
	v_add_u32_e32 v6, -1, v6
	s_add_i32 s10, s10, 16
	v_cmp_eq_u32_e32 vcc, 0, v6
	v_add_u32_e32 v7, 16, v7
	s_or_b64 s[0:1], vcc, s[0:1]
	s_waitcnt vmcnt(0) lgkmcnt(0)
	v_mul_f64 v[12:13], v[184:185], v[180:181]
	v_mul_f64 v[16:17], v[182:183], v[180:181]
	v_fma_f64 v[12:13], v[182:183], v[178:179], -v[12:13]
	v_fmac_f64_e32 v[16:17], v[184:185], v[178:179]
	v_add_f64 v[2:3], v[2:3], v[12:13]
	v_add_f64 v[4:5], v[4:5], v[16:17]
	s_andn2_b64 exec, exec, s[0:1]
	s_cbranch_execnz .LBB55_80
; %bb.81:
	s_or_b64 exec, exec, s[0:1]
.LBB55_82:
	s_or_b64 exec, exec, s[8:9]
	v_mov_b32_e32 v6, 0
	ds_read_b128 v[178:181], v6 offset:720
	s_waitcnt lgkmcnt(0)
	v_mul_f64 v[6:7], v[4:5], v[180:181]
	v_mul_f64 v[182:183], v[2:3], v[180:181]
	v_fma_f64 v[180:181], v[2:3], v[178:179], -v[6:7]
	v_fmac_f64_e32 v[182:183], v[4:5], v[178:179]
	scratch_store_dwordx4 off, v[180:183], off offset:720
.LBB55_83:
	s_or_b64 exec, exec, s[4:5]
	scratch_load_dwordx4 v[2:5], v133, off
	v_cmp_lt_u32_e64 s[0:1], 44, v0
	s_waitcnt vmcnt(0)
	ds_write_b128 v9, v[2:5]
	s_waitcnt lgkmcnt(0)
	; wave barrier
	s_waitcnt lgkmcnt(0)
	s_and_saveexec_b64 s[4:5], s[0:1]
	s_cbranch_execz .LBB55_91
; %bb.84:
	ds_read_b128 v[2:5], v9
	s_andn2_b64 vcc, exec, s[6:7]
	s_cbranch_vccnz .LBB55_86
; %bb.85:
	scratch_load_dwordx4 v[178:181], v8, off
	s_waitcnt vmcnt(0) lgkmcnt(0)
	v_mul_f64 v[12:13], v[2:3], v[180:181]
	v_mul_f64 v[6:7], v[4:5], v[180:181]
	v_fmac_f64_e32 v[12:13], v[4:5], v[178:179]
	v_fma_f64 v[2:3], v[2:3], v[178:179], -v[6:7]
	v_mov_b64_e32 v[4:5], v[12:13]
.LBB55_86:
	s_and_saveexec_b64 s[8:9], s[2:3]
	s_cbranch_execz .LBB55_90
; %bb.87:
	v_mov_b32_e32 v7, 0
	v_subrev_u32_e32 v6, 45, v0
	v_add_u32_e32 v7, 0x2d8, v7
	s_movk_i32 s10, 0x650
	s_mov_b64 s[2:3], 0
.LBB55_88:                              ; =>This Inner Loop Header: Depth=1
	v_add_u32_e32 v12, -8, v7
	scratch_load_dwordx4 v[178:181], v12, off
	v_mov_b32_e32 v12, s10
	ds_read_b128 v[182:185], v12
	v_add_u32_e32 v6, -1, v6
	s_add_i32 s10, s10, 16
	v_cmp_eq_u32_e32 vcc, 0, v6
	v_add_u32_e32 v7, 16, v7
	s_or_b64 s[2:3], vcc, s[2:3]
	s_waitcnt vmcnt(0) lgkmcnt(0)
	v_mul_f64 v[12:13], v[184:185], v[180:181]
	v_mul_f64 v[16:17], v[182:183], v[180:181]
	v_fma_f64 v[12:13], v[182:183], v[178:179], -v[12:13]
	v_fmac_f64_e32 v[16:17], v[184:185], v[178:179]
	v_add_f64 v[2:3], v[2:3], v[12:13]
	v_add_f64 v[4:5], v[4:5], v[16:17]
	s_andn2_b64 exec, exec, s[2:3]
	s_cbranch_execnz .LBB55_88
; %bb.89:
	s_or_b64 exec, exec, s[2:3]
.LBB55_90:
	s_or_b64 exec, exec, s[8:9]
	v_mov_b32_e32 v6, 0
	ds_read_b128 v[178:181], v6 offset:704
	s_waitcnt lgkmcnt(0)
	v_mul_f64 v[6:7], v[4:5], v[180:181]
	v_mul_f64 v[182:183], v[2:3], v[180:181]
	v_fma_f64 v[180:181], v[2:3], v[178:179], -v[6:7]
	v_fmac_f64_e32 v[182:183], v[4:5], v[178:179]
	scratch_store_dwordx4 off, v[180:183], off offset:704
.LBB55_91:
	s_or_b64 exec, exec, s[4:5]
	scratch_load_dwordx4 v[2:5], v134, off
	v_cmp_lt_u32_e64 s[2:3], 43, v0
	s_waitcnt vmcnt(0)
	ds_write_b128 v9, v[2:5]
	s_waitcnt lgkmcnt(0)
	; wave barrier
	s_waitcnt lgkmcnt(0)
	s_and_saveexec_b64 s[4:5], s[2:3]
	s_cbranch_execz .LBB55_99
; %bb.92:
	ds_read_b128 v[2:5], v9
	s_andn2_b64 vcc, exec, s[6:7]
	s_cbranch_vccnz .LBB55_94
; %bb.93:
	scratch_load_dwordx4 v[178:181], v8, off
	s_waitcnt vmcnt(0) lgkmcnt(0)
	v_mul_f64 v[12:13], v[2:3], v[180:181]
	v_mul_f64 v[6:7], v[4:5], v[180:181]
	v_fmac_f64_e32 v[12:13], v[4:5], v[178:179]
	v_fma_f64 v[2:3], v[2:3], v[178:179], -v[6:7]
	v_mov_b64_e32 v[4:5], v[12:13]
.LBB55_94:
	s_and_saveexec_b64 s[8:9], s[0:1]
	s_cbranch_execz .LBB55_98
; %bb.95:
	v_mov_b32_e32 v7, 0
	v_subrev_u32_e32 v6, 44, v0
	v_add_u32_e32 v7, 0x2c8, v7
	s_movk_i32 s10, 0x640
	s_mov_b64 s[0:1], 0
.LBB55_96:                              ; =>This Inner Loop Header: Depth=1
	v_add_u32_e32 v12, -8, v7
	scratch_load_dwordx4 v[178:181], v12, off
	v_mov_b32_e32 v12, s10
	ds_read_b128 v[182:185], v12
	v_add_u32_e32 v6, -1, v6
	s_add_i32 s10, s10, 16
	v_cmp_eq_u32_e32 vcc, 0, v6
	v_add_u32_e32 v7, 16, v7
	s_or_b64 s[0:1], vcc, s[0:1]
	s_waitcnt vmcnt(0) lgkmcnt(0)
	v_mul_f64 v[12:13], v[184:185], v[180:181]
	v_mul_f64 v[16:17], v[182:183], v[180:181]
	v_fma_f64 v[12:13], v[182:183], v[178:179], -v[12:13]
	v_fmac_f64_e32 v[16:17], v[184:185], v[178:179]
	v_add_f64 v[2:3], v[2:3], v[12:13]
	v_add_f64 v[4:5], v[4:5], v[16:17]
	s_andn2_b64 exec, exec, s[0:1]
	s_cbranch_execnz .LBB55_96
; %bb.97:
	s_or_b64 exec, exec, s[0:1]
.LBB55_98:
	s_or_b64 exec, exec, s[8:9]
	v_mov_b32_e32 v6, 0
	ds_read_b128 v[178:181], v6 offset:688
	s_waitcnt lgkmcnt(0)
	v_mul_f64 v[6:7], v[4:5], v[180:181]
	v_mul_f64 v[182:183], v[2:3], v[180:181]
	v_fma_f64 v[180:181], v[2:3], v[178:179], -v[6:7]
	v_fmac_f64_e32 v[182:183], v[4:5], v[178:179]
	scratch_store_dwordx4 off, v[180:183], off offset:688
.LBB55_99:
	s_or_b64 exec, exec, s[4:5]
	scratch_load_dwordx4 v[2:5], v135, off
	v_cmp_lt_u32_e64 s[0:1], 42, v0
	s_waitcnt vmcnt(0)
	ds_write_b128 v9, v[2:5]
	s_waitcnt lgkmcnt(0)
	; wave barrier
	s_waitcnt lgkmcnt(0)
	s_and_saveexec_b64 s[4:5], s[0:1]
	s_cbranch_execz .LBB55_107
; %bb.100:
	ds_read_b128 v[2:5], v9
	s_andn2_b64 vcc, exec, s[6:7]
	s_cbranch_vccnz .LBB55_102
; %bb.101:
	scratch_load_dwordx4 v[178:181], v8, off
	s_waitcnt vmcnt(0) lgkmcnt(0)
	v_mul_f64 v[12:13], v[2:3], v[180:181]
	v_mul_f64 v[6:7], v[4:5], v[180:181]
	v_fmac_f64_e32 v[12:13], v[4:5], v[178:179]
	v_fma_f64 v[2:3], v[2:3], v[178:179], -v[6:7]
	v_mov_b64_e32 v[4:5], v[12:13]
.LBB55_102:
	s_and_saveexec_b64 s[8:9], s[2:3]
	s_cbranch_execz .LBB55_106
; %bb.103:
	v_mov_b32_e32 v7, 0
	v_subrev_u32_e32 v6, 43, v0
	v_add_u32_e32 v7, 0x2b8, v7
	s_movk_i32 s10, 0x630
	s_mov_b64 s[2:3], 0
.LBB55_104:                             ; =>This Inner Loop Header: Depth=1
	v_add_u32_e32 v12, -8, v7
	scratch_load_dwordx4 v[178:181], v12, off
	v_mov_b32_e32 v12, s10
	ds_read_b128 v[182:185], v12
	v_add_u32_e32 v6, -1, v6
	s_add_i32 s10, s10, 16
	v_cmp_eq_u32_e32 vcc, 0, v6
	v_add_u32_e32 v7, 16, v7
	s_or_b64 s[2:3], vcc, s[2:3]
	s_waitcnt vmcnt(0) lgkmcnt(0)
	v_mul_f64 v[12:13], v[184:185], v[180:181]
	v_mul_f64 v[16:17], v[182:183], v[180:181]
	v_fma_f64 v[12:13], v[182:183], v[178:179], -v[12:13]
	v_fmac_f64_e32 v[16:17], v[184:185], v[178:179]
	v_add_f64 v[2:3], v[2:3], v[12:13]
	v_add_f64 v[4:5], v[4:5], v[16:17]
	s_andn2_b64 exec, exec, s[2:3]
	s_cbranch_execnz .LBB55_104
; %bb.105:
	s_or_b64 exec, exec, s[2:3]
.LBB55_106:
	s_or_b64 exec, exec, s[8:9]
	v_mov_b32_e32 v6, 0
	ds_read_b128 v[178:181], v6 offset:672
	s_waitcnt lgkmcnt(0)
	v_mul_f64 v[6:7], v[4:5], v[180:181]
	v_mul_f64 v[182:183], v[2:3], v[180:181]
	v_fma_f64 v[180:181], v[2:3], v[178:179], -v[6:7]
	v_fmac_f64_e32 v[182:183], v[4:5], v[178:179]
	scratch_store_dwordx4 off, v[180:183], off offset:672
.LBB55_107:
	s_or_b64 exec, exec, s[4:5]
	scratch_load_dwordx4 v[2:5], v136, off
	v_cmp_lt_u32_e64 s[2:3], 41, v0
	s_waitcnt vmcnt(0)
	ds_write_b128 v9, v[2:5]
	s_waitcnt lgkmcnt(0)
	; wave barrier
	s_waitcnt lgkmcnt(0)
	s_and_saveexec_b64 s[4:5], s[2:3]
	s_cbranch_execz .LBB55_115
; %bb.108:
	ds_read_b128 v[2:5], v9
	s_andn2_b64 vcc, exec, s[6:7]
	s_cbranch_vccnz .LBB55_110
; %bb.109:
	scratch_load_dwordx4 v[178:181], v8, off
	s_waitcnt vmcnt(0) lgkmcnt(0)
	v_mul_f64 v[12:13], v[2:3], v[180:181]
	v_mul_f64 v[6:7], v[4:5], v[180:181]
	v_fmac_f64_e32 v[12:13], v[4:5], v[178:179]
	v_fma_f64 v[2:3], v[2:3], v[178:179], -v[6:7]
	v_mov_b64_e32 v[4:5], v[12:13]
.LBB55_110:
	s_and_saveexec_b64 s[8:9], s[0:1]
	s_cbranch_execz .LBB55_114
; %bb.111:
	v_mov_b32_e32 v7, 0
	v_subrev_u32_e32 v6, 42, v0
	v_add_u32_e32 v7, 0x2a8, v7
	s_movk_i32 s10, 0x620
	s_mov_b64 s[0:1], 0
.LBB55_112:                             ; =>This Inner Loop Header: Depth=1
	v_add_u32_e32 v12, -8, v7
	scratch_load_dwordx4 v[178:181], v12, off
	v_mov_b32_e32 v12, s10
	ds_read_b128 v[182:185], v12
	v_add_u32_e32 v6, -1, v6
	s_add_i32 s10, s10, 16
	v_cmp_eq_u32_e32 vcc, 0, v6
	v_add_u32_e32 v7, 16, v7
	s_or_b64 s[0:1], vcc, s[0:1]
	s_waitcnt vmcnt(0) lgkmcnt(0)
	v_mul_f64 v[12:13], v[184:185], v[180:181]
	v_mul_f64 v[16:17], v[182:183], v[180:181]
	v_fma_f64 v[12:13], v[182:183], v[178:179], -v[12:13]
	v_fmac_f64_e32 v[16:17], v[184:185], v[178:179]
	v_add_f64 v[2:3], v[2:3], v[12:13]
	v_add_f64 v[4:5], v[4:5], v[16:17]
	s_andn2_b64 exec, exec, s[0:1]
	s_cbranch_execnz .LBB55_112
; %bb.113:
	s_or_b64 exec, exec, s[0:1]
.LBB55_114:
	s_or_b64 exec, exec, s[8:9]
	v_mov_b32_e32 v6, 0
	ds_read_b128 v[178:181], v6 offset:656
	s_waitcnt lgkmcnt(0)
	v_mul_f64 v[6:7], v[4:5], v[180:181]
	v_mul_f64 v[182:183], v[2:3], v[180:181]
	v_fma_f64 v[180:181], v[2:3], v[178:179], -v[6:7]
	v_fmac_f64_e32 v[182:183], v[4:5], v[178:179]
	scratch_store_dwordx4 off, v[180:183], off offset:656
.LBB55_115:
	;; [unrolled: 63-line block ×27, first 2 shown]
	s_or_b64 exec, exec, s[4:5]
	scratch_load_dwordx4 v[2:5], v162, off
	v_cmp_lt_u32_e64 s[2:3], 15, v0
	s_waitcnt vmcnt(0)
	ds_write_b128 v9, v[2:5]
	s_waitcnt lgkmcnt(0)
	; wave barrier
	s_waitcnt lgkmcnt(0)
	s_and_saveexec_b64 s[4:5], s[2:3]
	s_cbranch_execz .LBB55_323
; %bb.316:
	ds_read_b128 v[2:5], v9
	s_andn2_b64 vcc, exec, s[6:7]
	s_cbranch_vccnz .LBB55_318
; %bb.317:
	scratch_load_dwordx4 v[178:181], v8, off
	s_waitcnt vmcnt(0) lgkmcnt(0)
	v_mul_f64 v[12:13], v[2:3], v[180:181]
	v_mul_f64 v[6:7], v[4:5], v[180:181]
	v_fmac_f64_e32 v[12:13], v[4:5], v[178:179]
	v_fma_f64 v[2:3], v[2:3], v[178:179], -v[6:7]
	v_mov_b64_e32 v[4:5], v[12:13]
.LBB55_318:
	s_and_saveexec_b64 s[8:9], s[0:1]
	s_cbranch_execz .LBB55_322
; %bb.319:
	v_mov_b32_e32 v7, 0
	v_add_u32_e32 v6, -16, v0
	v_add_u32_e32 v7, 0x108, v7
	s_movk_i32 s10, 0x480
	s_mov_b64 s[0:1], 0
.LBB55_320:                             ; =>This Inner Loop Header: Depth=1
	v_add_u32_e32 v12, -8, v7
	scratch_load_dwordx4 v[178:181], v12, off
	v_mov_b32_e32 v12, s10
	ds_read_b128 v[182:185], v12
	v_add_u32_e32 v6, -1, v6
	s_add_i32 s10, s10, 16
	v_cmp_eq_u32_e32 vcc, 0, v6
	v_add_u32_e32 v7, 16, v7
	s_or_b64 s[0:1], vcc, s[0:1]
	s_waitcnt vmcnt(0) lgkmcnt(0)
	v_mul_f64 v[12:13], v[184:185], v[180:181]
	v_mul_f64 v[16:17], v[182:183], v[180:181]
	v_fma_f64 v[12:13], v[182:183], v[178:179], -v[12:13]
	v_fmac_f64_e32 v[16:17], v[184:185], v[178:179]
	v_add_f64 v[2:3], v[2:3], v[12:13]
	v_add_f64 v[4:5], v[4:5], v[16:17]
	s_andn2_b64 exec, exec, s[0:1]
	s_cbranch_execnz .LBB55_320
; %bb.321:
	s_or_b64 exec, exec, s[0:1]
.LBB55_322:
	s_or_b64 exec, exec, s[8:9]
	v_mov_b32_e32 v6, 0
	ds_read_b128 v[178:181], v6 offset:240
	s_waitcnt lgkmcnt(0)
	v_mul_f64 v[6:7], v[4:5], v[180:181]
	v_mul_f64 v[182:183], v[2:3], v[180:181]
	v_fma_f64 v[180:181], v[2:3], v[178:179], -v[6:7]
	v_fmac_f64_e32 v[182:183], v[4:5], v[178:179]
	scratch_store_dwordx4 off, v[180:183], off offset:240
.LBB55_323:
	s_or_b64 exec, exec, s[4:5]
	scratch_load_dwordx4 v[2:5], v163, off
	v_cmp_lt_u32_e64 s[0:1], 14, v0
	s_waitcnt vmcnt(0)
	ds_write_b128 v9, v[2:5]
	s_waitcnt lgkmcnt(0)
	; wave barrier
	s_waitcnt lgkmcnt(0)
	s_and_saveexec_b64 s[4:5], s[0:1]
	s_cbranch_execz .LBB55_331
; %bb.324:
	ds_read_b128 v[2:5], v9
	s_andn2_b64 vcc, exec, s[6:7]
	s_cbranch_vccnz .LBB55_326
; %bb.325:
	scratch_load_dwordx4 v[178:181], v8, off
	s_waitcnt vmcnt(0) lgkmcnt(0)
	v_mul_f64 v[12:13], v[2:3], v[180:181]
	v_mul_f64 v[6:7], v[4:5], v[180:181]
	v_fmac_f64_e32 v[12:13], v[4:5], v[178:179]
	v_fma_f64 v[2:3], v[2:3], v[178:179], -v[6:7]
	v_mov_b64_e32 v[4:5], v[12:13]
.LBB55_326:
	s_and_saveexec_b64 s[8:9], s[2:3]
	s_cbranch_execz .LBB55_330
; %bb.327:
	v_mov_b32_e32 v7, 0
	v_add_u32_e32 v6, -15, v0
	v_add_u32_e32 v7, 0xf8, v7
	s_movk_i32 s10, 0x470
	s_mov_b64 s[2:3], 0
.LBB55_328:                             ; =>This Inner Loop Header: Depth=1
	v_add_u32_e32 v12, -8, v7
	scratch_load_dwordx4 v[178:181], v12, off
	v_mov_b32_e32 v12, s10
	ds_read_b128 v[182:185], v12
	v_add_u32_e32 v6, -1, v6
	s_add_i32 s10, s10, 16
	v_cmp_eq_u32_e32 vcc, 0, v6
	v_add_u32_e32 v7, 16, v7
	s_or_b64 s[2:3], vcc, s[2:3]
	s_waitcnt vmcnt(0) lgkmcnt(0)
	v_mul_f64 v[12:13], v[184:185], v[180:181]
	v_mul_f64 v[16:17], v[182:183], v[180:181]
	v_fma_f64 v[12:13], v[182:183], v[178:179], -v[12:13]
	v_fmac_f64_e32 v[16:17], v[184:185], v[178:179]
	v_add_f64 v[2:3], v[2:3], v[12:13]
	v_add_f64 v[4:5], v[4:5], v[16:17]
	s_andn2_b64 exec, exec, s[2:3]
	s_cbranch_execnz .LBB55_328
; %bb.329:
	s_or_b64 exec, exec, s[2:3]
.LBB55_330:
	s_or_b64 exec, exec, s[8:9]
	v_mov_b32_e32 v6, 0
	ds_read_b128 v[178:181], v6 offset:224
	s_waitcnt lgkmcnt(0)
	v_mul_f64 v[6:7], v[4:5], v[180:181]
	v_mul_f64 v[182:183], v[2:3], v[180:181]
	v_fma_f64 v[180:181], v[2:3], v[178:179], -v[6:7]
	v_fmac_f64_e32 v[182:183], v[4:5], v[178:179]
	scratch_store_dwordx4 off, v[180:183], off offset:224
.LBB55_331:
	;; [unrolled: 63-line block ×15, first 2 shown]
	s_or_b64 exec, exec, s[2:3]
	scratch_load_dwordx4 v[2:5], off, off
	v_cmp_ne_u32_e32 vcc, 0, v0
	s_mov_b64 s[2:3], 0
	s_mov_b64 s[4:5], 0
                                        ; implicit-def: $vgpr6_vgpr7
                                        ; implicit-def: $vgpr177
	s_waitcnt vmcnt(0)
	ds_write_b128 v9, v[2:5]
	s_waitcnt lgkmcnt(0)
	; wave barrier
	s_waitcnt lgkmcnt(0)
	s_and_saveexec_b64 s[8:9], vcc
	s_cbranch_execz .LBB55_443
; %bb.436:
	ds_read_b128 v[2:5], v9
	s_andn2_b64 vcc, exec, s[6:7]
	s_cbranch_vccnz .LBB55_438
; %bb.437:
	scratch_load_dwordx4 v[178:181], v8, off
	s_waitcnt vmcnt(0) lgkmcnt(0)
	v_mul_f64 v[12:13], v[2:3], v[180:181]
	v_mul_f64 v[6:7], v[4:5], v[180:181]
	v_fmac_f64_e32 v[12:13], v[4:5], v[178:179]
	v_fma_f64 v[2:3], v[2:3], v[178:179], -v[6:7]
	v_mov_b64_e32 v[4:5], v[12:13]
.LBB55_438:
	s_and_saveexec_b64 s[4:5], s[0:1]
	s_cbranch_execz .LBB55_442
; %bb.439:
	v_mov_b32_e32 v7, 0
	v_add_u32_e32 v6, -1, v0
	v_add_u32_e32 v7, 24, v7
	s_movk_i32 s10, 0x390
	s_mov_b64 s[0:1], 0
.LBB55_440:                             ; =>This Inner Loop Header: Depth=1
	v_add_u32_e32 v12, -8, v7
	scratch_load_dwordx4 v[178:181], v12, off
	v_mov_b32_e32 v12, s10
	ds_read_b128 v[182:185], v12
	v_add_u32_e32 v6, -1, v6
	s_add_i32 s10, s10, 16
	v_cmp_eq_u32_e32 vcc, 0, v6
	v_add_u32_e32 v7, 16, v7
	s_or_b64 s[0:1], vcc, s[0:1]
	s_waitcnt vmcnt(0) lgkmcnt(0)
	v_mul_f64 v[12:13], v[184:185], v[180:181]
	v_mul_f64 v[16:17], v[182:183], v[180:181]
	v_fma_f64 v[12:13], v[182:183], v[178:179], -v[12:13]
	v_fmac_f64_e32 v[16:17], v[184:185], v[178:179]
	v_add_f64 v[2:3], v[2:3], v[12:13]
	v_add_f64 v[4:5], v[4:5], v[16:17]
	s_andn2_b64 exec, exec, s[0:1]
	s_cbranch_execnz .LBB55_440
; %bb.441:
	s_or_b64 exec, exec, s[0:1]
.LBB55_442:
	s_or_b64 exec, exec, s[4:5]
	v_mov_b32_e32 v6, 0
	ds_read_b128 v[178:181], v6
	v_mov_b32_e32 v6, 0
	v_or_b32_e32 v177, 8, v6
	s_mov_b64 s[4:5], exec
	s_waitcnt lgkmcnt(0)
	v_mul_f64 v[12:13], v[4:5], v[180:181]
	v_mul_f64 v[6:7], v[2:3], v[180:181]
	v_fma_f64 v[2:3], v[2:3], v[178:179], -v[12:13]
	v_fmac_f64_e32 v[6:7], v[4:5], v[178:179]
	scratch_store_dwordx2 off, v[2:3], off
.LBB55_443:
	s_or_b64 exec, exec, s[8:9]
	s_and_b64 vcc, exec, s[2:3]
	s_cbranch_vccnz .LBB55_445
	s_branch .LBB55_880
.LBB55_444:
	s_mov_b64 s[4:5], 0
                                        ; implicit-def: $vgpr6_vgpr7
                                        ; implicit-def: $vgpr177
	s_cbranch_execz .LBB55_880
.LBB55_445:
	scratch_load_dwordx4 v[2:5], v176, off
	v_cndmask_b32_e64 v6, 0, 1, s[6:7]
	v_cmp_eq_u32_e64 s[2:3], 0, v0
	v_cmp_ne_u32_e64 s[0:1], 1, v6
	s_waitcnt vmcnt(0)
	ds_write_b128 v9, v[2:5]
	s_waitcnt lgkmcnt(0)
	; wave barrier
	s_waitcnt lgkmcnt(0)
	s_and_saveexec_b64 s[6:7], s[2:3]
	s_cbranch_execz .LBB55_449
; %bb.446:
	ds_read_b128 v[2:5], v9
	s_and_b64 vcc, exec, s[0:1]
	s_cbranch_vccnz .LBB55_448
; %bb.447:
	scratch_load_dwordx4 v[178:181], v8, off
	s_waitcnt vmcnt(0) lgkmcnt(0)
	v_mul_f64 v[12:13], v[2:3], v[180:181]
	v_mul_f64 v[6:7], v[4:5], v[180:181]
	v_fmac_f64_e32 v[12:13], v[4:5], v[178:179]
	v_fma_f64 v[2:3], v[2:3], v[178:179], -v[6:7]
	v_mov_b64_e32 v[4:5], v[12:13]
.LBB55_448:
	v_mov_b32_e32 v6, 0
	ds_read_b128 v[178:181], v6 offset:16
	s_waitcnt lgkmcnt(0)
	v_mul_f64 v[6:7], v[4:5], v[180:181]
	v_mul_f64 v[182:183], v[2:3], v[180:181]
	v_fma_f64 v[180:181], v[2:3], v[178:179], -v[6:7]
	v_fmac_f64_e32 v[182:183], v[4:5], v[178:179]
	scratch_store_dwordx4 off, v[180:183], off offset:16
.LBB55_449:
	s_or_b64 exec, exec, s[6:7]
	scratch_load_dwordx4 v[2:5], v175, off
	v_cmp_gt_u32_e32 vcc, 2, v0
	s_waitcnt vmcnt(0)
	ds_write_b128 v9, v[2:5]
	s_waitcnt lgkmcnt(0)
	; wave barrier
	s_waitcnt lgkmcnt(0)
	s_and_saveexec_b64 s[6:7], vcc
	s_cbranch_execz .LBB55_455
; %bb.450:
	ds_read_b128 v[2:5], v9
	s_and_b64 vcc, exec, s[0:1]
	s_cbranch_vccnz .LBB55_452
; %bb.451:
	scratch_load_dwordx4 v[178:181], v8, off
	s_waitcnt vmcnt(0) lgkmcnt(0)
	v_mul_f64 v[12:13], v[2:3], v[180:181]
	v_mul_f64 v[6:7], v[4:5], v[180:181]
	v_fmac_f64_e32 v[12:13], v[4:5], v[178:179]
	v_fma_f64 v[2:3], v[2:3], v[178:179], -v[6:7]
	v_mov_b64_e32 v[4:5], v[12:13]
.LBB55_452:
	s_and_saveexec_b64 s[8:9], s[2:3]
	s_cbranch_execz .LBB55_454
; %bb.453:
	scratch_load_dwordx4 v[178:181], v8, off offset:16
	ds_read_b128 v[182:185], v9 offset:16
	s_waitcnt vmcnt(0) lgkmcnt(0)
	v_mul_f64 v[6:7], v[184:185], v[180:181]
	v_mul_f64 v[12:13], v[182:183], v[180:181]
	v_fma_f64 v[6:7], v[182:183], v[178:179], -v[6:7]
	v_fmac_f64_e32 v[12:13], v[184:185], v[178:179]
	v_add_f64 v[2:3], v[2:3], v[6:7]
	v_add_f64 v[4:5], v[4:5], v[12:13]
.LBB55_454:
	s_or_b64 exec, exec, s[8:9]
	v_mov_b32_e32 v6, 0
	ds_read_b128 v[178:181], v6 offset:32
	s_waitcnt lgkmcnt(0)
	v_mul_f64 v[6:7], v[4:5], v[180:181]
	v_mul_f64 v[182:183], v[2:3], v[180:181]
	v_fma_f64 v[180:181], v[2:3], v[178:179], -v[6:7]
	v_fmac_f64_e32 v[182:183], v[4:5], v[178:179]
	scratch_store_dwordx4 off, v[180:183], off offset:32
.LBB55_455:
	s_or_b64 exec, exec, s[6:7]
	scratch_load_dwordx4 v[2:5], v174, off
	v_cmp_gt_u32_e32 vcc, 3, v0
	s_waitcnt vmcnt(0)
	ds_write_b128 v9, v[2:5]
	s_waitcnt lgkmcnt(0)
	; wave barrier
	s_waitcnt lgkmcnt(0)
	s_and_saveexec_b64 s[6:7], vcc
	s_cbranch_execz .LBB55_463
; %bb.456:
	ds_read_b128 v[2:5], v9
	s_and_b64 vcc, exec, s[0:1]
	s_cbranch_vccnz .LBB55_458
; %bb.457:
	scratch_load_dwordx4 v[178:181], v8, off
	s_waitcnt vmcnt(0) lgkmcnt(0)
	v_mul_f64 v[12:13], v[2:3], v[180:181]
	v_mul_f64 v[6:7], v[4:5], v[180:181]
	v_fmac_f64_e32 v[12:13], v[4:5], v[178:179]
	v_fma_f64 v[2:3], v[2:3], v[178:179], -v[6:7]
	v_mov_b64_e32 v[4:5], v[12:13]
.LBB55_458:
	v_cmp_ne_u32_e32 vcc, 2, v0
	s_and_saveexec_b64 s[8:9], vcc
	s_cbranch_execz .LBB55_462
; %bb.459:
	scratch_load_dwordx4 v[178:181], v8, off offset:16
	ds_read_b128 v[182:185], v9 offset:16
	s_waitcnt vmcnt(0) lgkmcnt(0)
	v_mul_f64 v[6:7], v[184:185], v[180:181]
	v_mul_f64 v[12:13], v[182:183], v[180:181]
	v_fma_f64 v[6:7], v[182:183], v[178:179], -v[6:7]
	v_fmac_f64_e32 v[12:13], v[184:185], v[178:179]
	v_add_f64 v[2:3], v[2:3], v[6:7]
	v_add_f64 v[4:5], v[4:5], v[12:13]
	s_and_saveexec_b64 s[10:11], s[2:3]
	s_cbranch_execz .LBB55_461
; %bb.460:
	scratch_load_dwordx4 v[178:181], off, off offset:32
	v_mov_b32_e32 v6, 0
	ds_read_b128 v[182:185], v6 offset:928
	s_waitcnt vmcnt(0) lgkmcnt(0)
	v_mul_f64 v[6:7], v[182:183], v[180:181]
	v_mul_f64 v[12:13], v[184:185], v[180:181]
	v_fmac_f64_e32 v[6:7], v[184:185], v[178:179]
	v_fma_f64 v[12:13], v[182:183], v[178:179], -v[12:13]
	v_add_f64 v[4:5], v[4:5], v[6:7]
	v_add_f64 v[2:3], v[2:3], v[12:13]
.LBB55_461:
	s_or_b64 exec, exec, s[10:11]
.LBB55_462:
	s_or_b64 exec, exec, s[8:9]
	v_mov_b32_e32 v6, 0
	ds_read_b128 v[178:181], v6 offset:48
	s_waitcnt lgkmcnt(0)
	v_mul_f64 v[6:7], v[4:5], v[180:181]
	v_mul_f64 v[182:183], v[2:3], v[180:181]
	v_fma_f64 v[180:181], v[2:3], v[178:179], -v[6:7]
	v_fmac_f64_e32 v[182:183], v[4:5], v[178:179]
	scratch_store_dwordx4 off, v[180:183], off offset:48
.LBB55_463:
	s_or_b64 exec, exec, s[6:7]
	scratch_load_dwordx4 v[2:5], v173, off
	v_cmp_gt_u32_e32 vcc, 4, v0
	s_waitcnt vmcnt(0)
	ds_write_b128 v9, v[2:5]
	s_waitcnt lgkmcnt(0)
	; wave barrier
	s_waitcnt lgkmcnt(0)
	s_and_saveexec_b64 s[2:3], vcc
	s_cbranch_execz .LBB55_471
; %bb.464:
	ds_read_b128 v[2:5], v9
	s_and_b64 vcc, exec, s[0:1]
	s_cbranch_vccnz .LBB55_466
; %bb.465:
	scratch_load_dwordx4 v[178:181], v8, off
	s_waitcnt vmcnt(0) lgkmcnt(0)
	v_mul_f64 v[12:13], v[2:3], v[180:181]
	v_mul_f64 v[6:7], v[4:5], v[180:181]
	v_fmac_f64_e32 v[12:13], v[4:5], v[178:179]
	v_fma_f64 v[2:3], v[2:3], v[178:179], -v[6:7]
	v_mov_b64_e32 v[4:5], v[12:13]
.LBB55_466:
	v_cmp_ne_u32_e32 vcc, 3, v0
	s_and_saveexec_b64 s[6:7], vcc
	s_cbranch_execz .LBB55_470
; %bb.467:
	v_mov_b32_e32 v7, 0
	v_add_u32_e32 v6, 0x390, v124
	v_add3_u32 v7, v124, v7, 24
	s_mov_b64 s[8:9], 0
	v_mov_b32_e32 v177, v0
.LBB55_468:                             ; =>This Inner Loop Header: Depth=1
	v_add_u32_e32 v12, -8, v7
	scratch_load_dwordx4 v[178:181], v12, off
	ds_read_b128 v[182:185], v6
	v_add_u32_e32 v177, 1, v177
	v_cmp_lt_u32_e32 vcc, 2, v177
	v_add_u32_e32 v6, 16, v6
	v_add_u32_e32 v7, 16, v7
	s_or_b64 s[8:9], vcc, s[8:9]
	s_waitcnt vmcnt(0) lgkmcnt(0)
	v_mul_f64 v[12:13], v[184:185], v[180:181]
	v_mul_f64 v[16:17], v[182:183], v[180:181]
	v_fma_f64 v[12:13], v[182:183], v[178:179], -v[12:13]
	v_fmac_f64_e32 v[16:17], v[184:185], v[178:179]
	v_add_f64 v[2:3], v[2:3], v[12:13]
	v_add_f64 v[4:5], v[4:5], v[16:17]
	s_andn2_b64 exec, exec, s[8:9]
	s_cbranch_execnz .LBB55_468
; %bb.469:
	s_or_b64 exec, exec, s[8:9]
.LBB55_470:
	s_or_b64 exec, exec, s[6:7]
	v_mov_b32_e32 v6, 0
	ds_read_b128 v[178:181], v6 offset:64
	s_waitcnt lgkmcnt(0)
	v_mul_f64 v[6:7], v[4:5], v[180:181]
	v_mul_f64 v[182:183], v[2:3], v[180:181]
	v_fma_f64 v[180:181], v[2:3], v[178:179], -v[6:7]
	v_fmac_f64_e32 v[182:183], v[4:5], v[178:179]
	scratch_store_dwordx4 off, v[180:183], off offset:64
.LBB55_471:
	s_or_b64 exec, exec, s[2:3]
	scratch_load_dwordx4 v[2:5], v172, off
	v_cmp_gt_u32_e32 vcc, 5, v0
	s_waitcnt vmcnt(0)
	ds_write_b128 v9, v[2:5]
	s_waitcnt lgkmcnt(0)
	; wave barrier
	s_waitcnt lgkmcnt(0)
	s_and_saveexec_b64 s[2:3], vcc
	s_cbranch_execz .LBB55_479
; %bb.472:
	ds_read_b128 v[2:5], v9
	s_and_b64 vcc, exec, s[0:1]
	s_cbranch_vccnz .LBB55_474
; %bb.473:
	scratch_load_dwordx4 v[178:181], v8, off
	s_waitcnt vmcnt(0) lgkmcnt(0)
	v_mul_f64 v[12:13], v[2:3], v[180:181]
	v_mul_f64 v[6:7], v[4:5], v[180:181]
	v_fmac_f64_e32 v[12:13], v[4:5], v[178:179]
	v_fma_f64 v[2:3], v[2:3], v[178:179], -v[6:7]
	v_mov_b64_e32 v[4:5], v[12:13]
.LBB55_474:
	v_cmp_ne_u32_e32 vcc, 4, v0
	s_and_saveexec_b64 s[6:7], vcc
	s_cbranch_execz .LBB55_478
; %bb.475:
	v_mov_b32_e32 v7, 0
	v_add_u32_e32 v6, 0x390, v124
	v_add3_u32 v7, v124, v7, 24
	s_mov_b64 s[8:9], 0
	v_mov_b32_e32 v177, v0
.LBB55_476:                             ; =>This Inner Loop Header: Depth=1
	v_add_u32_e32 v12, -8, v7
	scratch_load_dwordx4 v[178:181], v12, off
	ds_read_b128 v[182:185], v6
	v_add_u32_e32 v177, 1, v177
	v_cmp_lt_u32_e32 vcc, 3, v177
	v_add_u32_e32 v6, 16, v6
	v_add_u32_e32 v7, 16, v7
	s_or_b64 s[8:9], vcc, s[8:9]
	s_waitcnt vmcnt(0) lgkmcnt(0)
	v_mul_f64 v[12:13], v[184:185], v[180:181]
	v_mul_f64 v[16:17], v[182:183], v[180:181]
	v_fma_f64 v[12:13], v[182:183], v[178:179], -v[12:13]
	v_fmac_f64_e32 v[16:17], v[184:185], v[178:179]
	v_add_f64 v[2:3], v[2:3], v[12:13]
	v_add_f64 v[4:5], v[4:5], v[16:17]
	s_andn2_b64 exec, exec, s[8:9]
	s_cbranch_execnz .LBB55_476
; %bb.477:
	s_or_b64 exec, exec, s[8:9]
.LBB55_478:
	s_or_b64 exec, exec, s[6:7]
	v_mov_b32_e32 v6, 0
	ds_read_b128 v[178:181], v6 offset:80
	s_waitcnt lgkmcnt(0)
	v_mul_f64 v[6:7], v[4:5], v[180:181]
	v_mul_f64 v[182:183], v[2:3], v[180:181]
	v_fma_f64 v[180:181], v[2:3], v[178:179], -v[6:7]
	v_fmac_f64_e32 v[182:183], v[4:5], v[178:179]
	scratch_store_dwordx4 off, v[180:183], off offset:80
.LBB55_479:
	;; [unrolled: 63-line block ×50, first 2 shown]
	s_or_b64 exec, exec, s[2:3]
	scratch_load_dwordx4 v[2:5], v22, off
	v_cmp_gt_u32_e64 s[2:3], 54, v0
	s_waitcnt vmcnt(0)
	ds_write_b128 v9, v[2:5]
	s_waitcnt lgkmcnt(0)
	; wave barrier
	s_waitcnt lgkmcnt(0)
	s_and_saveexec_b64 s[6:7], s[2:3]
	s_cbranch_execz .LBB55_871
; %bb.864:
	ds_read_b128 v[2:5], v9
	s_and_b64 vcc, exec, s[0:1]
	s_cbranch_vccnz .LBB55_866
; %bb.865:
	scratch_load_dwordx4 v[178:181], v8, off
	s_waitcnt vmcnt(0) lgkmcnt(0)
	v_mul_f64 v[12:13], v[2:3], v[180:181]
	v_mul_f64 v[6:7], v[4:5], v[180:181]
	v_fmac_f64_e32 v[12:13], v[4:5], v[178:179]
	v_fma_f64 v[2:3], v[2:3], v[178:179], -v[6:7]
	v_mov_b64_e32 v[4:5], v[12:13]
.LBB55_866:
	v_cmp_ne_u32_e32 vcc, 53, v0
	s_and_saveexec_b64 s[8:9], vcc
	s_cbranch_execz .LBB55_870
; %bb.867:
	v_mov_b32_e32 v7, 0
	v_add_u32_e32 v6, 0x390, v124
	v_add3_u32 v7, v124, v7, 24
	s_mov_b64 s[10:11], 0
	v_mov_b32_e32 v177, v0
.LBB55_868:                             ; =>This Inner Loop Header: Depth=1
	v_add_u32_e32 v12, -8, v7
	scratch_load_dwordx4 v[178:181], v12, off
	ds_read_b128 v[182:185], v6
	v_add_u32_e32 v177, 1, v177
	v_cmp_lt_u32_e32 vcc, 52, v177
	v_add_u32_e32 v6, 16, v6
	v_add_u32_e32 v7, 16, v7
	s_or_b64 s[10:11], vcc, s[10:11]
	s_waitcnt vmcnt(0) lgkmcnt(0)
	v_mul_f64 v[12:13], v[184:185], v[180:181]
	v_mul_f64 v[16:17], v[182:183], v[180:181]
	v_fma_f64 v[12:13], v[182:183], v[178:179], -v[12:13]
	v_fmac_f64_e32 v[16:17], v[184:185], v[178:179]
	v_add_f64 v[2:3], v[2:3], v[12:13]
	v_add_f64 v[4:5], v[4:5], v[16:17]
	s_andn2_b64 exec, exec, s[10:11]
	s_cbranch_execnz .LBB55_868
; %bb.869:
	s_or_b64 exec, exec, s[10:11]
.LBB55_870:
	s_or_b64 exec, exec, s[8:9]
	v_mov_b32_e32 v6, 0
	ds_read_b128 v[178:181], v6 offset:864
	s_waitcnt lgkmcnt(0)
	v_mul_f64 v[6:7], v[4:5], v[180:181]
	v_mul_f64 v[182:183], v[2:3], v[180:181]
	v_fma_f64 v[180:181], v[2:3], v[178:179], -v[6:7]
	v_fmac_f64_e32 v[182:183], v[4:5], v[178:179]
	scratch_store_dwordx4 off, v[180:183], off offset:864
.LBB55_871:
	s_or_b64 exec, exec, s[6:7]
	scratch_load_dwordx4 v[2:5], v1, off
	v_cmp_ne_u32_e32 vcc, 55, v0
                                        ; implicit-def: $vgpr6_vgpr7
                                        ; implicit-def: $vgpr177
	s_waitcnt vmcnt(0)
	ds_write_b128 v9, v[2:5]
	s_waitcnt lgkmcnt(0)
	; wave barrier
	s_waitcnt lgkmcnt(0)
	s_and_saveexec_b64 s[6:7], vcc
	s_cbranch_execz .LBB55_879
; %bb.872:
	ds_read_b128 v[2:5], v9
	s_and_b64 vcc, exec, s[0:1]
	s_cbranch_vccnz .LBB55_874
; %bb.873:
	scratch_load_dwordx4 v[6:9], v8, off
	s_waitcnt vmcnt(0) lgkmcnt(0)
	v_mul_f64 v[12:13], v[4:5], v[8:9]
	v_mul_f64 v[8:9], v[2:3], v[8:9]
	v_fmac_f64_e32 v[8:9], v[4:5], v[6:7]
	v_fma_f64 v[2:3], v[2:3], v[6:7], -v[12:13]
	v_mov_b64_e32 v[4:5], v[8:9]
.LBB55_874:
	s_and_saveexec_b64 s[0:1], s[2:3]
	s_cbranch_execz .LBB55_878
; %bb.875:
	v_mov_b32_e32 v7, 0
	v_add_u32_e32 v6, 0x390, v124
	v_add3_u32 v7, v124, v7, 24
	s_mov_b64 s[2:3], 0
.LBB55_876:                             ; =>This Inner Loop Header: Depth=1
	v_add_u32_e32 v8, -8, v7
	scratch_load_dwordx4 v[178:181], v8, off
	ds_read_b128 v[182:185], v6
	v_add_u32_e32 v0, 1, v0
	v_cmp_lt_u32_e32 vcc, 53, v0
	v_add_u32_e32 v6, 16, v6
	v_add_u32_e32 v7, 16, v7
	s_or_b64 s[2:3], vcc, s[2:3]
	s_waitcnt vmcnt(0) lgkmcnt(0)
	v_mul_f64 v[8:9], v[184:185], v[180:181]
	v_mul_f64 v[12:13], v[182:183], v[180:181]
	v_fma_f64 v[8:9], v[182:183], v[178:179], -v[8:9]
	v_fmac_f64_e32 v[12:13], v[184:185], v[178:179]
	v_add_f64 v[2:3], v[2:3], v[8:9]
	v_add_f64 v[4:5], v[4:5], v[12:13]
	s_andn2_b64 exec, exec, s[2:3]
	s_cbranch_execnz .LBB55_876
; %bb.877:
	s_or_b64 exec, exec, s[2:3]
.LBB55_878:
	s_or_b64 exec, exec, s[0:1]
	v_mov_b32_e32 v0, 0
	ds_read_b128 v[178:181], v0 offset:880
	v_mov_b32_e32 v0, 0
	v_add_u32_e32 v177, 0x378, v0
	s_or_b64 s[4:5], s[4:5], exec
	s_waitcnt lgkmcnt(0)
	v_mul_f64 v[8:9], v[4:5], v[180:181]
	v_mul_f64 v[6:7], v[2:3], v[180:181]
	v_fma_f64 v[2:3], v[2:3], v[178:179], -v[8:9]
	v_fmac_f64_e32 v[6:7], v[4:5], v[178:179]
	scratch_store_dwordx2 off, v[2:3], off offset:880
.LBB55_879:
	s_or_b64 exec, exec, s[6:7]
.LBB55_880:
	v_accvgpr_write_b32 a6, v127
	v_mov_b32_e32 v17, v126
	v_mov_b32_e32 v16, v125
	;; [unrolled: 1-line block ×3, first 2 shown]
	s_and_saveexec_b64 s[0:1], s[4:5]
	s_cbranch_execz .LBB55_882
; %bb.881:
	scratch_store_dwordx2 v177, v[6:7], off
.LBB55_882:
	s_or_b64 exec, exec, s[0:1]
	scratch_load_dwordx4 v[2:5], off, off
	scratch_load_dwordx4 v[6:9], v176, off
	s_nop 0
	scratch_load_dwordx4 v[176:179], v175, off
	scratch_load_dwordx4 v[180:183], v174, off
	scratch_load_dwordx4 v[184:187], v173, off
	s_nop 0
	scratch_load_dwordx4 v[172:175], v172, off
	s_nop 0
	scratch_load_dwordx4 v[188:191], v171, off
	scratch_load_dwordx4 v[192:195], v170, off
	scratch_load_dwordx4 v[196:199], v169, off
	s_nop 0
	scratch_load_dwordx4 v[168:171], v168, off
	s_nop 0
	scratch_load_dwordx4 v[200:203], v167, off
	scratch_load_dwordx4 v[204:207], v166, off
	scratch_load_dwordx4 v[208:211], v165, off
	s_nop 0
	scratch_load_dwordx4 v[164:167], v164, off
	s_nop 0
	scratch_load_dwordx4 v[212:215], v163, off
	scratch_load_dwordx4 v[216:219], v162, off
	scratch_load_dwordx4 v[220:223], v161, off
	s_nop 0
	scratch_load_dwordx4 v[160:163], v160, off
	s_nop 0
	scratch_load_dwordx4 v[224:227], v159, off
	scratch_load_dwordx4 v[228:231], v158, off
	scratch_load_dwordx4 v[232:235], v157, off
	s_nop 0
	scratch_load_dwordx4 v[156:159], v156, off
	s_nop 0
	scratch_load_dwordx4 v[236:239], v155, off
	scratch_load_dwordx4 v[240:243], v154, off
	scratch_load_dwordx4 v[244:247], v153, off
	s_nop 0
	scratch_load_dwordx4 v[152:155], v152, off
	s_nop 0
	scratch_load_dwordx4 v[248:251], v151, off
	scratch_load_dwordx4 v[252:255], v150, off
	s_waitcnt vmcnt(27)
	global_store_dwordx4 v[52:53], v[2:5], off
	scratch_load_dwordx4 v[2:5], v149, off
	s_nop 0
	scratch_load_dwordx4 v[148:151], v148, off
	s_waitcnt vmcnt(29)
	global_store_dwordx4 v[46:47], v[6:9], off
	scratch_load_dwordx4 v[6:9], v147, off
	s_nop 0
	;; [unrolled: 5-line block ×11, first 2 shown]
	scratch_load_dwordx4 v[10:13], v10, off
	v_accvgpr_read_b32 v18, a6
	s_waitcnt vmcnt(49)
	global_store_dwordx4 v[20:21], v[204:207], off
	scratch_load_dwordx4 v[18:21], v18, off
	s_nop 0
	scratch_load_dwordx4 v[204:207], v17, off
	s_waitcnt vmcnt(51)
	global_store_dwordx4 v[14:15], v[208:211], off
	scratch_load_dwordx4 v[208:211], v16, off
	s_nop 0
	scratch_load_dwordx4 v[14:17], v23, off
	v_accvgpr_read_b32 v23, a3
	v_accvgpr_read_b32 v22, a2
	s_waitcnt vmcnt(53)
	global_store_dwordx4 v[22:23], v[164:167], off
	scratch_load_dwordx4 v[164:167], v0, off
	s_nop 0
	scratch_load_dwordx4 v[22:25], v1, off
	v_accvgpr_read_b32 v0, a0
	v_accvgpr_read_b32 v1, a1
	s_waitcnt vmcnt(55)
	global_store_dwordx4 v[0:1], v[212:215], off
	v_accvgpr_read_b32 v0, a4
	v_accvgpr_read_b32 v1, a5
	s_waitcnt vmcnt(55)
	global_store_dwordx4 v[0:1], v[216:219], off
	s_waitcnt vmcnt(55)
	global_store_dwordx4 v[26:27], v[220:223], off
	;; [unrolled: 2-line block ×41, first 2 shown]
.LBB55_883:
	s_endpgm
	.section	.rodata,"a",@progbits
	.p2align	6, 0x0
	.amdhsa_kernel _ZN9rocsolver6v33100L18trti2_kernel_smallILi56E19rocblas_complex_numIdEPS3_EEv13rocblas_fill_17rocblas_diagonal_T1_iil
		.amdhsa_group_segment_fixed_size 1792
		.amdhsa_private_segment_fixed_size 912
		.amdhsa_kernarg_size 32
		.amdhsa_user_sgpr_count 2
		.amdhsa_user_sgpr_dispatch_ptr 0
		.amdhsa_user_sgpr_queue_ptr 0
		.amdhsa_user_sgpr_kernarg_segment_ptr 1
		.amdhsa_user_sgpr_dispatch_id 0
		.amdhsa_user_sgpr_kernarg_preload_length 0
		.amdhsa_user_sgpr_kernarg_preload_offset 0
		.amdhsa_user_sgpr_private_segment_size 0
		.amdhsa_uses_dynamic_stack 0
		.amdhsa_enable_private_segment 1
		.amdhsa_system_sgpr_workgroup_id_x 1
		.amdhsa_system_sgpr_workgroup_id_y 0
		.amdhsa_system_sgpr_workgroup_id_z 0
		.amdhsa_system_sgpr_workgroup_info 0
		.amdhsa_system_vgpr_workitem_id 0
		.amdhsa_next_free_vgpr 263
		.amdhsa_next_free_sgpr 12
		.amdhsa_accum_offset 256
		.amdhsa_reserve_vcc 1
		.amdhsa_float_round_mode_32 0
		.amdhsa_float_round_mode_16_64 0
		.amdhsa_float_denorm_mode_32 3
		.amdhsa_float_denorm_mode_16_64 3
		.amdhsa_dx10_clamp 1
		.amdhsa_ieee_mode 1
		.amdhsa_fp16_overflow 0
		.amdhsa_tg_split 0
		.amdhsa_exception_fp_ieee_invalid_op 0
		.amdhsa_exception_fp_denorm_src 0
		.amdhsa_exception_fp_ieee_div_zero 0
		.amdhsa_exception_fp_ieee_overflow 0
		.amdhsa_exception_fp_ieee_underflow 0
		.amdhsa_exception_fp_ieee_inexact 0
		.amdhsa_exception_int_div_zero 0
	.end_amdhsa_kernel
	.section	.text._ZN9rocsolver6v33100L18trti2_kernel_smallILi56E19rocblas_complex_numIdEPS3_EEv13rocblas_fill_17rocblas_diagonal_T1_iil,"axG",@progbits,_ZN9rocsolver6v33100L18trti2_kernel_smallILi56E19rocblas_complex_numIdEPS3_EEv13rocblas_fill_17rocblas_diagonal_T1_iil,comdat
.Lfunc_end55:
	.size	_ZN9rocsolver6v33100L18trti2_kernel_smallILi56E19rocblas_complex_numIdEPS3_EEv13rocblas_fill_17rocblas_diagonal_T1_iil, .Lfunc_end55-_ZN9rocsolver6v33100L18trti2_kernel_smallILi56E19rocblas_complex_numIdEPS3_EEv13rocblas_fill_17rocblas_diagonal_T1_iil
                                        ; -- End function
	.section	.AMDGPU.csdata,"",@progbits
; Kernel info:
; codeLenInByte = 37116
; NumSgprs: 18
; NumVgprs: 256
; NumAgprs: 7
; TotalNumVgprs: 263
; ScratchSize: 912
; MemoryBound: 0
; FloatMode: 240
; IeeeMode: 1
; LDSByteSize: 1792 bytes/workgroup (compile time only)
; SGPRBlocks: 2
; VGPRBlocks: 32
; NumSGPRsForWavesPerEU: 18
; NumVGPRsForWavesPerEU: 263
; AccumOffset: 256
; Occupancy: 1
; WaveLimiterHint : 0
; COMPUTE_PGM_RSRC2:SCRATCH_EN: 1
; COMPUTE_PGM_RSRC2:USER_SGPR: 2
; COMPUTE_PGM_RSRC2:TRAP_HANDLER: 0
; COMPUTE_PGM_RSRC2:TGID_X_EN: 1
; COMPUTE_PGM_RSRC2:TGID_Y_EN: 0
; COMPUTE_PGM_RSRC2:TGID_Z_EN: 0
; COMPUTE_PGM_RSRC2:TIDIG_COMP_CNT: 0
; COMPUTE_PGM_RSRC3_GFX90A:ACCUM_OFFSET: 63
; COMPUTE_PGM_RSRC3_GFX90A:TG_SPLIT: 0
	.section	.text._ZN9rocsolver6v33100L18trti2_kernel_smallILi57E19rocblas_complex_numIdEPS3_EEv13rocblas_fill_17rocblas_diagonal_T1_iil,"axG",@progbits,_ZN9rocsolver6v33100L18trti2_kernel_smallILi57E19rocblas_complex_numIdEPS3_EEv13rocblas_fill_17rocblas_diagonal_T1_iil,comdat
	.globl	_ZN9rocsolver6v33100L18trti2_kernel_smallILi57E19rocblas_complex_numIdEPS3_EEv13rocblas_fill_17rocblas_diagonal_T1_iil ; -- Begin function _ZN9rocsolver6v33100L18trti2_kernel_smallILi57E19rocblas_complex_numIdEPS3_EEv13rocblas_fill_17rocblas_diagonal_T1_iil
	.p2align	8
	.type	_ZN9rocsolver6v33100L18trti2_kernel_smallILi57E19rocblas_complex_numIdEPS3_EEv13rocblas_fill_17rocblas_diagonal_T1_iil,@function
_ZN9rocsolver6v33100L18trti2_kernel_smallILi57E19rocblas_complex_numIdEPS3_EEv13rocblas_fill_17rocblas_diagonal_T1_iil: ; @_ZN9rocsolver6v33100L18trti2_kernel_smallILi57E19rocblas_complex_numIdEPS3_EEv13rocblas_fill_17rocblas_diagonal_T1_iil
; %bb.0:
	v_cmp_gt_u32_e32 vcc, 57, v0
	s_and_saveexec_b64 s[4:5], vcc
	s_cbranch_execz .LBB56_899
; %bb.1:
	s_load_dwordx8 s[4:11], s[0:1], 0x0
	s_ashr_i32 s3, s2, 31
	v_lshlrev_b32_e32 v66, 4, v0
	v_mov_b32_e32 v67, 0
	v_mov_b32_e32 v1, 0
	s_waitcnt lgkmcnt(0)
	s_ashr_i32 s1, s8, 31
	s_mov_b32 s0, s8
	s_mul_i32 s8, s2, s11
	s_mul_hi_u32 s11, s2, s10
	s_add_i32 s8, s11, s8
	s_mul_i32 s3, s3, s10
	s_add_i32 s3, s8, s3
	s_mul_i32 s2, s2, s10
	s_lshl_b64 s[2:3], s[2:3], 4
	s_add_u32 s2, s6, s2
	s_addc_u32 s3, s7, s3
	s_lshl_b64 s[0:1], s[0:1], 4
	s_add_u32 s0, s2, s0
	s_addc_u32 s1, s3, s1
	v_lshl_add_u64 v[12:13], s[0:1], 0, v[66:67]
	s_ashr_i32 s3, s9, 31
	s_mov_b32 s2, s9
	v_lshl_add_u64 v[14:15], s[2:3], 4, v[12:13]
	s_add_i32 s2, s9, s9
	v_add_u32_e32 v10, s2, v0
	v_ashrrev_i32_e32 v11, 31, v10
	v_lshl_add_u64 v[16:17], v[10:11], 4, s[0:1]
	v_add_u32_e32 v10, s9, v10
	v_ashrrev_i32_e32 v11, 31, v10
	v_lshl_add_u64 v[18:19], v[10:11], 4, s[0:1]
	;; [unrolled: 3-line block ×6, first 2 shown]
	v_add_u32_e32 v10, s9, v10
	v_ashrrev_i32_e32 v11, 31, v10
	v_add_u32_e32 v30, s9, v10
	v_lshl_add_u64 v[28:29], v[10:11], 4, s[0:1]
	v_add_u32_e32 v10, s9, v30
	v_ashrrev_i32_e32 v11, 31, v10
	v_add_u32_e32 v34, s9, v10
	v_lshl_add_u64 v[32:33], v[10:11], 4, s[0:1]
	;; [unrolled: 4-line block ×3, first 2 shown]
	v_ashrrev_i32_e32 v41, 31, v40
	v_add_u32_e32 v10, s9, v40
	v_lshl_add_u64 v[38:39], v[40:41], 4, s[0:1]
	v_ashrrev_i32_e32 v11, 31, v10
	v_add_u32_e32 v40, s9, v10
	v_lshl_add_u64 v[42:43], v[10:11], 4, s[0:1]
	v_add_u32_e32 v10, s9, v40
	v_ashrrev_i32_e32 v41, 31, v40
	v_ashrrev_i32_e32 v11, 31, v10
	;; [unrolled: 1-line block ×4, first 2 shown]
	v_lshl_add_u64 v[254:255], v[40:41], 4, s[0:1]
	v_add_u32_e32 v40, s9, v10
	v_lshl_add_u64 v[10:11], v[10:11], 4, s[0:1]
	v_lshl_add_u64 v[30:31], v[30:31], 4, s[0:1]
	;; [unrolled: 1-line block ×3, first 2 shown]
	v_accvgpr_write_b32 a0, v10
	global_load_dwordx4 v[2:5], v66, s[0:1]
	global_load_dwordx4 v[6:9], v[14:15], off
	global_load_dwordx4 v[60:63], v[16:17], off
	;; [unrolled: 1-line block ×14, first 2 shown]
	v_ashrrev_i32_e32 v41, 31, v40
	global_load_dwordx4 v[116:119], v[254:255], off
	global_load_dwordx4 v[120:123], v[10:11], off
	v_accvgpr_write_b32 a1, v11
	v_add_u32_e32 v10, s9, v40
	v_lshl_add_u64 v[46:47], v[40:41], 4, s[0:1]
	v_ashrrev_i32_e32 v11, 31, v10
	v_add_u32_e32 v40, s9, v10
	v_lshl_add_u64 v[48:49], v[10:11], 4, s[0:1]
	v_add_u32_e32 v10, s9, v40
	v_ashrrev_i32_e32 v11, 31, v10
	v_lshl_add_u64 v[52:53], v[10:11], 4, s[0:1]
	v_add_u32_e32 v10, s9, v10
	v_ashrrev_i32_e32 v11, 31, v10
	v_ashrrev_i32_e32 v41, 31, v40
	v_lshl_add_u64 v[54:55], v[10:11], 4, s[0:1]
	v_add_u32_e32 v10, s9, v10
	v_lshl_add_u64 v[50:51], v[40:41], 4, s[0:1]
	v_ashrrev_i32_e32 v11, 31, v10
	global_load_dwordx4 v[124:127], v[46:47], off
	global_load_dwordx4 v[128:131], v[48:49], off
	;; [unrolled: 1-line block ×4, first 2 shown]
	v_lshl_add_u64 v[56:57], v[10:11], 4, s[0:1]
	global_load_dwordx4 v[140:143], v[54:55], off
	global_load_dwordx4 v[144:147], v[56:57], off
	v_add_u32_e32 v10, s9, v10
	v_ashrrev_i32_e32 v11, 31, v10
	v_lshl_add_u64 v[58:59], v[10:11], 4, s[0:1]
	global_load_dwordx4 v[148:151], v[58:59], off
	s_cmpk_lg_i32 s5, 0x84
	s_cselect_b64 s[6:7], -1, 0
	s_cmpk_eq_i32 s5, 0x84
	s_waitcnt vmcnt(23)
	scratch_store_dwordx4 off, v[2:5], off
	s_waitcnt vmcnt(23)
	scratch_store_dwordx4 off, v[6:9], off offset:16
	s_waitcnt vmcnt(23)
	scratch_store_dwordx4 off, v[60:63], off offset:32
	;; [unrolled: 2-line block ×22, first 2 shown]
	v_add_u32_e32 v6, s9, v10
	v_ashrrev_i32_e32 v7, 31, v6
	v_lshl_add_u64 v[60:61], v[6:7], 4, s[0:1]
	v_add_u32_e32 v6, s9, v6
	v_add_u32_e32 v10, s9, v6
	v_ashrrev_i32_e32 v11, 31, v10
	v_lshl_add_u64 v[64:65], v[10:11], 4, s[0:1]
	v_add_u32_e32 v10, s9, v10
	v_ashrrev_i32_e32 v11, 31, v10
	v_lshl_add_u64 v[68:69], v[10:11], 4, s[0:1]
	;; [unrolled: 3-line block ×29, first 2 shown]
	v_add_u32_e32 v10, s9, v10
	v_ashrrev_i32_e32 v11, 31, v10
	v_ashrrev_i32_e32 v7, 31, v6
	v_lshl_add_u64 v[124:125], v[10:11], 4, s[0:1]
	v_add_u32_e32 v10, s9, v10
	s_waitcnt vmcnt(23)
	scratch_store_dwordx4 off, v[148:151], off offset:368
	v_lshl_add_u64 v[62:63], v[6:7], 4, s[0:1]
	v_ashrrev_i32_e32 v11, 31, v10
	global_load_dwordx4 v[2:5], v[60:61], off
	global_load_dwordx4 v[6:9], v[62:63], off
	;; [unrolled: 1-line block ×31, first 2 shown]
	v_lshl_add_u64 v[126:127], v[10:11], 4, s[0:1]
	global_load_dwordx4 v[244:247], v[124:125], off
	global_load_dwordx4 v[248:251], v[126:127], off
	s_waitcnt vmcnt(32)
	scratch_store_dwordx4 off, v[2:5], off offset:384
	s_waitcnt vmcnt(32)
	scratch_store_dwordx4 off, v[6:9], off offset:400
	;; [unrolled: 2-line block ×33, first 2 shown]
	s_cbranch_scc1 .LBB56_7
; %bb.2:
	scratch_load_dwordx4 v[8:11], v66, off
                                        ; implicit-def: $vgpr6_vgpr7
	s_waitcnt vmcnt(0)
	v_xor_b32_e32 v3, 0x80000000, v9
	v_cmp_gt_f64_e32 vcc, 0, v[8:9]
	v_xor_b32_e32 v4, 0x80000000, v11
	v_mov_b32_e32 v2, v8
	v_cndmask_b32_e32 v3, v9, v3, vcc
	v_cmp_gt_f64_e32 vcc, 0, v[10:11]
	s_nop 1
	v_cndmask_b32_e32 v5, v11, v4, vcc
	v_mov_b32_e32 v4, v10
	v_cmp_ngt_f64_e32 vcc, v[2:3], v[4:5]
                                        ; implicit-def: $vgpr2_vgpr3
	s_and_saveexec_b64 s[0:1], vcc
	s_xor_b64 s[0:1], exec, s[0:1]
	s_cbranch_execz .LBB56_4
; %bb.3:
	v_div_scale_f64 v[2:3], s[2:3], v[10:11], v[10:11], v[8:9]
	v_rcp_f64_e32 v[4:5], v[2:3]
	v_div_scale_f64 v[6:7], vcc, v[8:9], v[10:11], v[8:9]
	v_fma_f64 v[40:41], -v[2:3], v[4:5], 1.0
	v_fmac_f64_e32 v[4:5], v[4:5], v[40:41]
	v_fma_f64 v[40:41], -v[2:3], v[4:5], 1.0
	v_fmac_f64_e32 v[4:5], v[4:5], v[40:41]
	v_mul_f64 v[40:41], v[6:7], v[4:5]
	v_fma_f64 v[2:3], -v[2:3], v[40:41], v[6:7]
	v_div_fmas_f64 v[2:3], v[2:3], v[4:5], v[40:41]
	v_div_fixup_f64 v[2:3], v[2:3], v[10:11], v[8:9]
	v_fmac_f64_e32 v[10:11], v[8:9], v[2:3]
	v_div_scale_f64 v[4:5], s[2:3], v[10:11], v[10:11], 1.0
	v_rcp_f64_e32 v[6:7], v[4:5]
	s_nop 0
	v_fma_f64 v[8:9], -v[4:5], v[6:7], 1.0
	v_fmac_f64_e32 v[6:7], v[6:7], v[8:9]
	v_fma_f64 v[8:9], -v[4:5], v[6:7], 1.0
	v_fmac_f64_e32 v[6:7], v[6:7], v[8:9]
	v_div_scale_f64 v[8:9], vcc, 1.0, v[10:11], 1.0
	v_mul_f64 v[40:41], v[8:9], v[6:7]
	v_fma_f64 v[4:5], -v[4:5], v[40:41], v[8:9]
                                        ; implicit-def: $vgpr8_vgpr9
	s_nop 1
	v_div_fmas_f64 v[4:5], v[4:5], v[6:7], v[40:41]
	v_div_fixup_f64 v[4:5], v[4:5], v[10:11], 1.0
	v_mul_f64 v[2:3], v[2:3], v[4:5]
	v_xor_b32_e32 v5, 0x80000000, v5
	v_xor_b32_e32 v7, 0x80000000, v3
	v_mov_b32_e32 v6, v2
.LBB56_4:
	s_or_saveexec_b64 s[0:1], s[0:1]
	v_add_u32_e32 v67, 0, v66
	s_xor_b64 exec, exec, s[0:1]
	s_cbranch_execz .LBB56_6
; %bb.5:
	v_div_scale_f64 v[2:3], s[2:3], v[8:9], v[8:9], v[10:11]
	v_rcp_f64_e32 v[4:5], v[2:3]
	v_div_scale_f64 v[6:7], vcc, v[10:11], v[8:9], v[10:11]
	v_fma_f64 v[40:41], -v[2:3], v[4:5], 1.0
	v_fmac_f64_e32 v[4:5], v[4:5], v[40:41]
	v_fma_f64 v[40:41], -v[2:3], v[4:5], 1.0
	v_fmac_f64_e32 v[4:5], v[4:5], v[40:41]
	v_mul_f64 v[40:41], v[6:7], v[4:5]
	v_fma_f64 v[2:3], -v[2:3], v[40:41], v[6:7]
	v_div_fmas_f64 v[2:3], v[2:3], v[4:5], v[40:41]
	v_div_fixup_f64 v[4:5], v[2:3], v[8:9], v[10:11]
	v_fmac_f64_e32 v[8:9], v[10:11], v[4:5]
	v_div_scale_f64 v[2:3], s[2:3], v[8:9], v[8:9], 1.0
	v_rcp_f64_e32 v[6:7], v[2:3]
	s_nop 0
	v_fma_f64 v[10:11], -v[2:3], v[6:7], 1.0
	v_fmac_f64_e32 v[6:7], v[6:7], v[10:11]
	v_fma_f64 v[10:11], -v[2:3], v[6:7], 1.0
	v_fmac_f64_e32 v[6:7], v[6:7], v[10:11]
	v_div_scale_f64 v[10:11], vcc, 1.0, v[8:9], 1.0
	v_mul_f64 v[40:41], v[10:11], v[6:7]
	v_fma_f64 v[2:3], -v[2:3], v[40:41], v[10:11]
	s_nop 1
	v_div_fmas_f64 v[2:3], v[2:3], v[6:7], v[40:41]
	v_div_fixup_f64 v[2:3], v[2:3], v[8:9], 1.0
	v_xor_b32_e32 v7, 0x80000000, v3
	v_mov_b32_e32 v6, v2
	v_mul_f64 v[4:5], v[4:5], -v[2:3]
.LBB56_6:
	s_or_b64 exec, exec, s[0:1]
	scratch_store_dwordx4 v67, v[2:5], off
	s_nop 1
	v_xor_b32_e32 v5, 0x80000000, v5
	s_branch .LBB56_8
.LBB56_7:
	v_mov_b64_e32 v[4:5], 0
	v_mov_b64_e32 v[6:7], -1.0
.LBB56_8:
	v_mov_b32_e32 v8, v4
	v_mov_b32_e32 v9, v5
	v_add_u32_e32 v179, 16, v1
	v_add_u32_e32 v178, 32, v1
	;; [unrolled: 1-line block ×56, first 2 shown]
	ds_write_b128 v66, v[6:9]
	s_cmpk_eq_i32 s4, 0x79
	v_add_u32_e32 v9, 0x390, v66
	v_add_u32_e32 v8, 0, v66
	s_cbranch_scc1 .LBB56_452
; %bb.9:
	scratch_load_dwordx4 v[2:5], v41, off
	v_cmp_eq_u32_e64 s[0:1], 56, v0
	s_waitcnt vmcnt(0)
	ds_write_b128 v9, v[2:5]
	s_waitcnt lgkmcnt(0)
	; wave barrier
	s_waitcnt lgkmcnt(0)
	s_and_saveexec_b64 s[2:3], s[0:1]
	s_cbranch_execz .LBB56_13
; %bb.10:
	ds_read_b128 v[2:5], v9
	s_andn2_b64 vcc, exec, s[6:7]
	s_cbranch_vccnz .LBB56_12
; %bb.11:
	scratch_load_dwordx4 v[180:183], v8, off
	s_waitcnt vmcnt(0) lgkmcnt(0)
	v_mul_f64 v[10:11], v[2:3], v[182:183]
	v_mul_f64 v[6:7], v[4:5], v[182:183]
	v_fmac_f64_e32 v[10:11], v[4:5], v[180:181]
	v_fma_f64 v[2:3], v[2:3], v[180:181], -v[6:7]
	v_mov_b64_e32 v[4:5], v[10:11]
.LBB56_12:
	v_mov_b32_e32 v6, 0
	ds_read_b128 v[180:183], v6 offset:880
	s_waitcnt lgkmcnt(0)
	v_mul_f64 v[6:7], v[4:5], v[182:183]
	v_mul_f64 v[184:185], v[2:3], v[182:183]
	v_fma_f64 v[182:183], v[2:3], v[180:181], -v[6:7]
	v_fmac_f64_e32 v[184:185], v[4:5], v[180:181]
	scratch_store_dwordx4 off, v[182:185], off offset:880
.LBB56_13:
	s_or_b64 exec, exec, s[2:3]
	scratch_load_dwordx4 v[2:5], v40, off
	v_cmp_lt_u32_e64 s[2:3], 54, v0
	s_waitcnt vmcnt(0)
	ds_write_b128 v9, v[2:5]
	s_waitcnt lgkmcnt(0)
	; wave barrier
	s_waitcnt lgkmcnt(0)
	s_and_saveexec_b64 s[4:5], s[2:3]
	s_cbranch_execz .LBB56_19
; %bb.14:
	ds_read_b128 v[2:5], v9
	s_andn2_b64 vcc, exec, s[6:7]
	s_cbranch_vccnz .LBB56_16
; %bb.15:
	scratch_load_dwordx4 v[180:183], v8, off
	s_waitcnt vmcnt(0) lgkmcnt(0)
	v_mul_f64 v[10:11], v[2:3], v[182:183]
	v_mul_f64 v[6:7], v[4:5], v[182:183]
	v_fmac_f64_e32 v[10:11], v[4:5], v[180:181]
	v_fma_f64 v[2:3], v[2:3], v[180:181], -v[6:7]
	v_mov_b64_e32 v[4:5], v[10:11]
.LBB56_16:
	s_and_saveexec_b64 s[8:9], s[0:1]
	s_cbranch_execz .LBB56_18
; %bb.17:
	scratch_load_dwordx4 v[180:183], off, off offset:880
	v_mov_b32_e32 v6, 0
	ds_read_b128 v[184:187], v6 offset:1792
	s_waitcnt vmcnt(0) lgkmcnt(0)
	v_mul_f64 v[6:7], v[184:185], v[182:183]
	v_mul_f64 v[10:11], v[186:187], v[182:183]
	v_fmac_f64_e32 v[6:7], v[186:187], v[180:181]
	v_fma_f64 v[10:11], v[184:185], v[180:181], -v[10:11]
	v_add_f64 v[4:5], v[4:5], v[6:7]
	v_add_f64 v[2:3], v[2:3], v[10:11]
.LBB56_18:
	s_or_b64 exec, exec, s[8:9]
	v_mov_b32_e32 v6, 0
	ds_read_b128 v[180:183], v6 offset:864
	s_waitcnt lgkmcnt(0)
	v_mul_f64 v[6:7], v[4:5], v[182:183]
	v_mul_f64 v[184:185], v[2:3], v[182:183]
	v_fma_f64 v[182:183], v[2:3], v[180:181], -v[6:7]
	v_fmac_f64_e32 v[184:185], v[4:5], v[180:181]
	scratch_store_dwordx4 off, v[182:185], off offset:864
.LBB56_19:
	s_or_b64 exec, exec, s[4:5]
	scratch_load_dwordx4 v[2:5], v67, off
	v_cmp_lt_u32_e64 s[0:1], 53, v0
	s_waitcnt vmcnt(0)
	ds_write_b128 v9, v[2:5]
	s_waitcnt lgkmcnt(0)
	; wave barrier
	s_waitcnt lgkmcnt(0)
	s_and_saveexec_b64 s[4:5], s[0:1]
	s_cbranch_execz .LBB56_27
; %bb.20:
	ds_read_b128 v[2:5], v9
	s_andn2_b64 vcc, exec, s[6:7]
	s_cbranch_vccnz .LBB56_22
; %bb.21:
	scratch_load_dwordx4 v[180:183], v8, off
	s_waitcnt vmcnt(0) lgkmcnt(0)
	v_mul_f64 v[10:11], v[2:3], v[182:183]
	v_mul_f64 v[6:7], v[4:5], v[182:183]
	v_fmac_f64_e32 v[10:11], v[4:5], v[180:181]
	v_fma_f64 v[2:3], v[2:3], v[180:181], -v[6:7]
	v_mov_b64_e32 v[4:5], v[10:11]
.LBB56_22:
	s_and_saveexec_b64 s[8:9], s[2:3]
	s_cbranch_execz .LBB56_26
; %bb.23:
	v_mov_b32_e32 v7, 0
	v_subrev_u32_e32 v6, 54, v0
	v_add_u32_e32 v7, 0x368, v7
	s_movk_i32 s10, 0x6f0
	s_mov_b64 s[2:3], 0
.LBB56_24:                              ; =>This Inner Loop Header: Depth=1
	v_add_u32_e32 v10, -8, v7
	scratch_load_dwordx4 v[180:183], v10, off
	v_mov_b32_e32 v10, s10
	ds_read_b128 v[184:187], v10
	v_add_u32_e32 v6, -1, v6
	s_add_i32 s10, s10, 16
	v_cmp_eq_u32_e32 vcc, 0, v6
	v_add_u32_e32 v7, 16, v7
	s_or_b64 s[2:3], vcc, s[2:3]
	s_waitcnt vmcnt(0) lgkmcnt(0)
	v_mul_f64 v[10:11], v[186:187], v[182:183]
	v_mul_f64 v[44:45], v[184:185], v[182:183]
	v_fma_f64 v[10:11], v[184:185], v[180:181], -v[10:11]
	v_fmac_f64_e32 v[44:45], v[186:187], v[180:181]
	v_add_f64 v[2:3], v[2:3], v[10:11]
	v_add_f64 v[4:5], v[4:5], v[44:45]
	s_andn2_b64 exec, exec, s[2:3]
	s_cbranch_execnz .LBB56_24
; %bb.25:
	s_or_b64 exec, exec, s[2:3]
.LBB56_26:
	s_or_b64 exec, exec, s[8:9]
	v_mov_b32_e32 v6, 0
	ds_read_b128 v[180:183], v6 offset:848
	s_waitcnt lgkmcnt(0)
	v_mul_f64 v[6:7], v[4:5], v[182:183]
	v_mul_f64 v[184:185], v[2:3], v[182:183]
	v_fma_f64 v[182:183], v[2:3], v[180:181], -v[6:7]
	v_fmac_f64_e32 v[184:185], v[4:5], v[180:181]
	scratch_store_dwordx4 off, v[182:185], off offset:848
.LBB56_27:
	s_or_b64 exec, exec, s[4:5]
	scratch_load_dwordx4 v[2:5], v128, off
	v_cmp_lt_u32_e64 s[2:3], 52, v0
	s_waitcnt vmcnt(0)
	ds_write_b128 v9, v[2:5]
	s_waitcnt lgkmcnt(0)
	; wave barrier
	s_waitcnt lgkmcnt(0)
	s_and_saveexec_b64 s[4:5], s[2:3]
	s_cbranch_execz .LBB56_35
; %bb.28:
	ds_read_b128 v[2:5], v9
	s_andn2_b64 vcc, exec, s[6:7]
	s_cbranch_vccnz .LBB56_30
; %bb.29:
	scratch_load_dwordx4 v[180:183], v8, off
	s_waitcnt vmcnt(0) lgkmcnt(0)
	v_mul_f64 v[10:11], v[2:3], v[182:183]
	v_mul_f64 v[6:7], v[4:5], v[182:183]
	v_fmac_f64_e32 v[10:11], v[4:5], v[180:181]
	v_fma_f64 v[2:3], v[2:3], v[180:181], -v[6:7]
	v_mov_b64_e32 v[4:5], v[10:11]
.LBB56_30:
	s_and_saveexec_b64 s[8:9], s[0:1]
	s_cbranch_execz .LBB56_34
; %bb.31:
	v_mov_b32_e32 v7, 0
	v_subrev_u32_e32 v6, 53, v0
	v_add_u32_e32 v7, 0x358, v7
	s_movk_i32 s10, 0x6e0
	s_mov_b64 s[0:1], 0
.LBB56_32:                              ; =>This Inner Loop Header: Depth=1
	v_add_u32_e32 v10, -8, v7
	scratch_load_dwordx4 v[180:183], v10, off
	v_mov_b32_e32 v10, s10
	ds_read_b128 v[184:187], v10
	v_add_u32_e32 v6, -1, v6
	s_add_i32 s10, s10, 16
	v_cmp_eq_u32_e32 vcc, 0, v6
	v_add_u32_e32 v7, 16, v7
	s_or_b64 s[0:1], vcc, s[0:1]
	s_waitcnt vmcnt(0) lgkmcnt(0)
	v_mul_f64 v[10:11], v[186:187], v[182:183]
	v_mul_f64 v[44:45], v[184:185], v[182:183]
	v_fma_f64 v[10:11], v[184:185], v[180:181], -v[10:11]
	v_fmac_f64_e32 v[44:45], v[186:187], v[180:181]
	v_add_f64 v[2:3], v[2:3], v[10:11]
	v_add_f64 v[4:5], v[4:5], v[44:45]
	s_andn2_b64 exec, exec, s[0:1]
	s_cbranch_execnz .LBB56_32
; %bb.33:
	s_or_b64 exec, exec, s[0:1]
.LBB56_34:
	s_or_b64 exec, exec, s[8:9]
	v_mov_b32_e32 v6, 0
	ds_read_b128 v[180:183], v6 offset:832
	s_waitcnt lgkmcnt(0)
	v_mul_f64 v[6:7], v[4:5], v[182:183]
	v_mul_f64 v[184:185], v[2:3], v[182:183]
	v_fma_f64 v[182:183], v[2:3], v[180:181], -v[6:7]
	v_fmac_f64_e32 v[184:185], v[4:5], v[180:181]
	scratch_store_dwordx4 off, v[182:185], off offset:832
.LBB56_35:
	;; [unrolled: 63-line block ×10, first 2 shown]
	s_or_b64 exec, exec, s[4:5]
	scratch_load_dwordx4 v[2:5], v137, off
	v_cmp_lt_u32_e64 s[0:1], 43, v0
	s_waitcnt vmcnt(0)
	ds_write_b128 v9, v[2:5]
	s_waitcnt lgkmcnt(0)
	; wave barrier
	s_waitcnt lgkmcnt(0)
	s_and_saveexec_b64 s[4:5], s[0:1]
	s_cbranch_execz .LBB56_107
; %bb.100:
	ds_read_b128 v[2:5], v9
	s_andn2_b64 vcc, exec, s[6:7]
	s_cbranch_vccnz .LBB56_102
; %bb.101:
	scratch_load_dwordx4 v[180:183], v8, off
	s_waitcnt vmcnt(0) lgkmcnt(0)
	v_mul_f64 v[10:11], v[2:3], v[182:183]
	v_mul_f64 v[6:7], v[4:5], v[182:183]
	v_fmac_f64_e32 v[10:11], v[4:5], v[180:181]
	v_fma_f64 v[2:3], v[2:3], v[180:181], -v[6:7]
	v_mov_b64_e32 v[4:5], v[10:11]
.LBB56_102:
	s_and_saveexec_b64 s[8:9], s[2:3]
	s_cbranch_execz .LBB56_106
; %bb.103:
	v_mov_b32_e32 v7, 0
	v_subrev_u32_e32 v6, 44, v0
	v_add_u32_e32 v7, 0x2c8, v7
	s_movk_i32 s10, 0x650
	s_mov_b64 s[2:3], 0
.LBB56_104:                             ; =>This Inner Loop Header: Depth=1
	v_add_u32_e32 v10, -8, v7
	scratch_load_dwordx4 v[180:183], v10, off
	v_mov_b32_e32 v10, s10
	ds_read_b128 v[184:187], v10
	v_add_u32_e32 v6, -1, v6
	s_add_i32 s10, s10, 16
	v_cmp_eq_u32_e32 vcc, 0, v6
	v_add_u32_e32 v7, 16, v7
	s_or_b64 s[2:3], vcc, s[2:3]
	s_waitcnt vmcnt(0) lgkmcnt(0)
	v_mul_f64 v[10:11], v[186:187], v[182:183]
	v_mul_f64 v[44:45], v[184:185], v[182:183]
	v_fma_f64 v[10:11], v[184:185], v[180:181], -v[10:11]
	v_fmac_f64_e32 v[44:45], v[186:187], v[180:181]
	v_add_f64 v[2:3], v[2:3], v[10:11]
	v_add_f64 v[4:5], v[4:5], v[44:45]
	s_andn2_b64 exec, exec, s[2:3]
	s_cbranch_execnz .LBB56_104
; %bb.105:
	s_or_b64 exec, exec, s[2:3]
.LBB56_106:
	s_or_b64 exec, exec, s[8:9]
	v_mov_b32_e32 v6, 0
	ds_read_b128 v[180:183], v6 offset:688
	s_waitcnt lgkmcnt(0)
	v_mul_f64 v[6:7], v[4:5], v[182:183]
	v_mul_f64 v[184:185], v[2:3], v[182:183]
	v_fma_f64 v[182:183], v[2:3], v[180:181], -v[6:7]
	v_fmac_f64_e32 v[184:185], v[4:5], v[180:181]
	scratch_store_dwordx4 off, v[182:185], off offset:688
.LBB56_107:
	s_or_b64 exec, exec, s[4:5]
	scratch_load_dwordx4 v[2:5], v138, off
	v_cmp_lt_u32_e64 s[2:3], 42, v0
	s_waitcnt vmcnt(0)
	ds_write_b128 v9, v[2:5]
	s_waitcnt lgkmcnt(0)
	; wave barrier
	s_waitcnt lgkmcnt(0)
	s_and_saveexec_b64 s[4:5], s[2:3]
	s_cbranch_execz .LBB56_115
; %bb.108:
	ds_read_b128 v[2:5], v9
	s_andn2_b64 vcc, exec, s[6:7]
	s_cbranch_vccnz .LBB56_110
; %bb.109:
	scratch_load_dwordx4 v[180:183], v8, off
	s_waitcnt vmcnt(0) lgkmcnt(0)
	v_mul_f64 v[10:11], v[2:3], v[182:183]
	v_mul_f64 v[6:7], v[4:5], v[182:183]
	v_fmac_f64_e32 v[10:11], v[4:5], v[180:181]
	v_fma_f64 v[2:3], v[2:3], v[180:181], -v[6:7]
	v_mov_b64_e32 v[4:5], v[10:11]
.LBB56_110:
	s_and_saveexec_b64 s[8:9], s[0:1]
	s_cbranch_execz .LBB56_114
; %bb.111:
	v_mov_b32_e32 v7, 0
	v_subrev_u32_e32 v6, 43, v0
	v_add_u32_e32 v7, 0x2b8, v7
	s_movk_i32 s10, 0x640
	s_mov_b64 s[0:1], 0
.LBB56_112:                             ; =>This Inner Loop Header: Depth=1
	v_add_u32_e32 v10, -8, v7
	scratch_load_dwordx4 v[180:183], v10, off
	v_mov_b32_e32 v10, s10
	ds_read_b128 v[184:187], v10
	v_add_u32_e32 v6, -1, v6
	s_add_i32 s10, s10, 16
	v_cmp_eq_u32_e32 vcc, 0, v6
	v_add_u32_e32 v7, 16, v7
	s_or_b64 s[0:1], vcc, s[0:1]
	s_waitcnt vmcnt(0) lgkmcnt(0)
	v_mul_f64 v[10:11], v[186:187], v[182:183]
	v_mul_f64 v[44:45], v[184:185], v[182:183]
	v_fma_f64 v[10:11], v[184:185], v[180:181], -v[10:11]
	v_fmac_f64_e32 v[44:45], v[186:187], v[180:181]
	v_add_f64 v[2:3], v[2:3], v[10:11]
	v_add_f64 v[4:5], v[4:5], v[44:45]
	s_andn2_b64 exec, exec, s[0:1]
	s_cbranch_execnz .LBB56_112
; %bb.113:
	s_or_b64 exec, exec, s[0:1]
.LBB56_114:
	s_or_b64 exec, exec, s[8:9]
	v_mov_b32_e32 v6, 0
	ds_read_b128 v[180:183], v6 offset:672
	s_waitcnt lgkmcnt(0)
	v_mul_f64 v[6:7], v[4:5], v[182:183]
	v_mul_f64 v[184:185], v[2:3], v[182:183]
	v_fma_f64 v[182:183], v[2:3], v[180:181], -v[6:7]
	v_fmac_f64_e32 v[184:185], v[4:5], v[180:181]
	scratch_store_dwordx4 off, v[182:185], off offset:672
.LBB56_115:
	;; [unrolled: 63-line block ×28, first 2 shown]
	s_or_b64 exec, exec, s[4:5]
	scratch_load_dwordx4 v[2:5], v165, off
	v_cmp_lt_u32_e64 s[0:1], 15, v0
	s_waitcnt vmcnt(0)
	ds_write_b128 v9, v[2:5]
	s_waitcnt lgkmcnt(0)
	; wave barrier
	s_waitcnt lgkmcnt(0)
	s_and_saveexec_b64 s[4:5], s[0:1]
	s_cbranch_execz .LBB56_331
; %bb.324:
	ds_read_b128 v[2:5], v9
	s_andn2_b64 vcc, exec, s[6:7]
	s_cbranch_vccnz .LBB56_326
; %bb.325:
	scratch_load_dwordx4 v[180:183], v8, off
	s_waitcnt vmcnt(0) lgkmcnt(0)
	v_mul_f64 v[10:11], v[2:3], v[182:183]
	v_mul_f64 v[6:7], v[4:5], v[182:183]
	v_fmac_f64_e32 v[10:11], v[4:5], v[180:181]
	v_fma_f64 v[2:3], v[2:3], v[180:181], -v[6:7]
	v_mov_b64_e32 v[4:5], v[10:11]
.LBB56_326:
	s_and_saveexec_b64 s[8:9], s[2:3]
	s_cbranch_execz .LBB56_330
; %bb.327:
	v_mov_b32_e32 v7, 0
	v_add_u32_e32 v6, -16, v0
	v_add_u32_e32 v7, 0x108, v7
	s_movk_i32 s10, 0x490
	s_mov_b64 s[2:3], 0
.LBB56_328:                             ; =>This Inner Loop Header: Depth=1
	v_add_u32_e32 v10, -8, v7
	scratch_load_dwordx4 v[180:183], v10, off
	v_mov_b32_e32 v10, s10
	ds_read_b128 v[184:187], v10
	v_add_u32_e32 v6, -1, v6
	s_add_i32 s10, s10, 16
	v_cmp_eq_u32_e32 vcc, 0, v6
	v_add_u32_e32 v7, 16, v7
	s_or_b64 s[2:3], vcc, s[2:3]
	s_waitcnt vmcnt(0) lgkmcnt(0)
	v_mul_f64 v[10:11], v[186:187], v[182:183]
	v_mul_f64 v[44:45], v[184:185], v[182:183]
	v_fma_f64 v[10:11], v[184:185], v[180:181], -v[10:11]
	v_fmac_f64_e32 v[44:45], v[186:187], v[180:181]
	v_add_f64 v[2:3], v[2:3], v[10:11]
	v_add_f64 v[4:5], v[4:5], v[44:45]
	s_andn2_b64 exec, exec, s[2:3]
	s_cbranch_execnz .LBB56_328
; %bb.329:
	s_or_b64 exec, exec, s[2:3]
.LBB56_330:
	s_or_b64 exec, exec, s[8:9]
	v_mov_b32_e32 v6, 0
	ds_read_b128 v[180:183], v6 offset:240
	s_waitcnt lgkmcnt(0)
	v_mul_f64 v[6:7], v[4:5], v[182:183]
	v_mul_f64 v[184:185], v[2:3], v[182:183]
	v_fma_f64 v[182:183], v[2:3], v[180:181], -v[6:7]
	v_fmac_f64_e32 v[184:185], v[4:5], v[180:181]
	scratch_store_dwordx4 off, v[182:185], off offset:240
.LBB56_331:
	s_or_b64 exec, exec, s[4:5]
	scratch_load_dwordx4 v[2:5], v166, off
	v_cmp_lt_u32_e64 s[2:3], 14, v0
	s_waitcnt vmcnt(0)
	ds_write_b128 v9, v[2:5]
	s_waitcnt lgkmcnt(0)
	; wave barrier
	s_waitcnt lgkmcnt(0)
	s_and_saveexec_b64 s[4:5], s[2:3]
	s_cbranch_execz .LBB56_339
; %bb.332:
	ds_read_b128 v[2:5], v9
	s_andn2_b64 vcc, exec, s[6:7]
	s_cbranch_vccnz .LBB56_334
; %bb.333:
	scratch_load_dwordx4 v[180:183], v8, off
	s_waitcnt vmcnt(0) lgkmcnt(0)
	v_mul_f64 v[10:11], v[2:3], v[182:183]
	v_mul_f64 v[6:7], v[4:5], v[182:183]
	v_fmac_f64_e32 v[10:11], v[4:5], v[180:181]
	v_fma_f64 v[2:3], v[2:3], v[180:181], -v[6:7]
	v_mov_b64_e32 v[4:5], v[10:11]
.LBB56_334:
	s_and_saveexec_b64 s[8:9], s[0:1]
	s_cbranch_execz .LBB56_338
; %bb.335:
	v_mov_b32_e32 v7, 0
	v_add_u32_e32 v6, -15, v0
	v_add_u32_e32 v7, 0xf8, v7
	s_movk_i32 s10, 0x480
	s_mov_b64 s[0:1], 0
.LBB56_336:                             ; =>This Inner Loop Header: Depth=1
	v_add_u32_e32 v10, -8, v7
	scratch_load_dwordx4 v[180:183], v10, off
	v_mov_b32_e32 v10, s10
	ds_read_b128 v[184:187], v10
	v_add_u32_e32 v6, -1, v6
	s_add_i32 s10, s10, 16
	v_cmp_eq_u32_e32 vcc, 0, v6
	v_add_u32_e32 v7, 16, v7
	s_or_b64 s[0:1], vcc, s[0:1]
	s_waitcnt vmcnt(0) lgkmcnt(0)
	v_mul_f64 v[10:11], v[186:187], v[182:183]
	v_mul_f64 v[44:45], v[184:185], v[182:183]
	v_fma_f64 v[10:11], v[184:185], v[180:181], -v[10:11]
	v_fmac_f64_e32 v[44:45], v[186:187], v[180:181]
	v_add_f64 v[2:3], v[2:3], v[10:11]
	v_add_f64 v[4:5], v[4:5], v[44:45]
	s_andn2_b64 exec, exec, s[0:1]
	s_cbranch_execnz .LBB56_336
; %bb.337:
	s_or_b64 exec, exec, s[0:1]
.LBB56_338:
	s_or_b64 exec, exec, s[8:9]
	v_mov_b32_e32 v6, 0
	ds_read_b128 v[180:183], v6 offset:224
	s_waitcnt lgkmcnt(0)
	v_mul_f64 v[6:7], v[4:5], v[182:183]
	v_mul_f64 v[184:185], v[2:3], v[182:183]
	v_fma_f64 v[182:183], v[2:3], v[180:181], -v[6:7]
	v_fmac_f64_e32 v[184:185], v[4:5], v[180:181]
	scratch_store_dwordx4 off, v[182:185], off offset:224
.LBB56_339:
	;; [unrolled: 63-line block ×15, first 2 shown]
	s_or_b64 exec, exec, s[4:5]
	scratch_load_dwordx4 v[2:5], off, off
	v_cmp_ne_u32_e32 vcc, 0, v0
	s_mov_b64 s[2:3], 0
	s_mov_b64 s[4:5], 0
                                        ; implicit-def: $vgpr6_vgpr7
                                        ; implicit-def: $vgpr180
	s_waitcnt vmcnt(0)
	ds_write_b128 v9, v[2:5]
	s_waitcnt lgkmcnt(0)
	; wave barrier
	s_waitcnt lgkmcnt(0)
	s_and_saveexec_b64 s[8:9], vcc
	s_cbranch_execz .LBB56_451
; %bb.444:
	ds_read_b128 v[2:5], v9
	s_andn2_b64 vcc, exec, s[6:7]
	s_cbranch_vccnz .LBB56_446
; %bb.445:
	scratch_load_dwordx4 v[180:183], v8, off
	s_waitcnt vmcnt(0) lgkmcnt(0)
	v_mul_f64 v[10:11], v[2:3], v[182:183]
	v_mul_f64 v[6:7], v[4:5], v[182:183]
	v_fmac_f64_e32 v[10:11], v[4:5], v[180:181]
	v_fma_f64 v[2:3], v[2:3], v[180:181], -v[6:7]
	v_mov_b64_e32 v[4:5], v[10:11]
.LBB56_446:
	s_and_saveexec_b64 s[4:5], s[0:1]
	s_cbranch_execz .LBB56_450
; %bb.447:
	v_mov_b32_e32 v7, 0
	v_add_u32_e32 v6, -1, v0
	v_add_u32_e32 v7, 24, v7
	s_movk_i32 s10, 0x3a0
	s_mov_b64 s[0:1], 0
.LBB56_448:                             ; =>This Inner Loop Header: Depth=1
	v_add_u32_e32 v10, -8, v7
	scratch_load_dwordx4 v[180:183], v10, off
	v_mov_b32_e32 v10, s10
	ds_read_b128 v[184:187], v10
	v_add_u32_e32 v6, -1, v6
	s_add_i32 s10, s10, 16
	v_cmp_eq_u32_e32 vcc, 0, v6
	v_add_u32_e32 v7, 16, v7
	s_or_b64 s[0:1], vcc, s[0:1]
	s_waitcnt vmcnt(0) lgkmcnt(0)
	v_mul_f64 v[10:11], v[186:187], v[182:183]
	v_mul_f64 v[44:45], v[184:185], v[182:183]
	v_fma_f64 v[10:11], v[184:185], v[180:181], -v[10:11]
	v_fmac_f64_e32 v[44:45], v[186:187], v[180:181]
	v_add_f64 v[2:3], v[2:3], v[10:11]
	v_add_f64 v[4:5], v[4:5], v[44:45]
	s_andn2_b64 exec, exec, s[0:1]
	s_cbranch_execnz .LBB56_448
; %bb.449:
	s_or_b64 exec, exec, s[0:1]
.LBB56_450:
	s_or_b64 exec, exec, s[4:5]
	v_mov_b32_e32 v6, 0
	ds_read_b128 v[182:185], v6
	v_mov_b32_e32 v6, 0
	v_or_b32_e32 v180, 8, v6
	s_mov_b64 s[4:5], exec
	s_waitcnt lgkmcnt(0)
	v_mul_f64 v[10:11], v[4:5], v[184:185]
	v_mul_f64 v[6:7], v[2:3], v[184:185]
	v_fma_f64 v[2:3], v[2:3], v[182:183], -v[10:11]
	v_fmac_f64_e32 v[6:7], v[4:5], v[182:183]
	scratch_store_dwordx2 off, v[2:3], off
.LBB56_451:
	s_or_b64 exec, exec, s[8:9]
	s_and_b64 vcc, exec, s[2:3]
	s_cbranch_vccnz .LBB56_453
	s_branch .LBB56_896
.LBB56_452:
	s_mov_b64 s[4:5], 0
                                        ; implicit-def: $vgpr6_vgpr7
                                        ; implicit-def: $vgpr180
	s_cbranch_execz .LBB56_896
.LBB56_453:
	scratch_load_dwordx4 v[2:5], v179, off
	v_cndmask_b32_e64 v6, 0, 1, s[6:7]
	v_cmp_eq_u32_e64 s[2:3], 0, v0
	v_cmp_ne_u32_e64 s[0:1], 1, v6
	s_waitcnt vmcnt(0)
	ds_write_b128 v9, v[2:5]
	s_waitcnt lgkmcnt(0)
	; wave barrier
	s_waitcnt lgkmcnt(0)
	s_and_saveexec_b64 s[6:7], s[2:3]
	s_cbranch_execz .LBB56_457
; %bb.454:
	ds_read_b128 v[2:5], v9
	s_and_b64 vcc, exec, s[0:1]
	s_cbranch_vccnz .LBB56_456
; %bb.455:
	scratch_load_dwordx4 v[180:183], v8, off
	s_waitcnt vmcnt(0) lgkmcnt(0)
	v_mul_f64 v[10:11], v[2:3], v[182:183]
	v_mul_f64 v[6:7], v[4:5], v[182:183]
	v_fmac_f64_e32 v[10:11], v[4:5], v[180:181]
	v_fma_f64 v[2:3], v[2:3], v[180:181], -v[6:7]
	v_mov_b64_e32 v[4:5], v[10:11]
.LBB56_456:
	v_mov_b32_e32 v6, 0
	ds_read_b128 v[180:183], v6 offset:16
	s_waitcnt lgkmcnt(0)
	v_mul_f64 v[6:7], v[4:5], v[182:183]
	v_mul_f64 v[184:185], v[2:3], v[182:183]
	v_fma_f64 v[182:183], v[2:3], v[180:181], -v[6:7]
	v_fmac_f64_e32 v[184:185], v[4:5], v[180:181]
	scratch_store_dwordx4 off, v[182:185], off offset:16
.LBB56_457:
	s_or_b64 exec, exec, s[6:7]
	scratch_load_dwordx4 v[2:5], v178, off
	v_cmp_gt_u32_e32 vcc, 2, v0
	s_waitcnt vmcnt(0)
	ds_write_b128 v9, v[2:5]
	s_waitcnt lgkmcnt(0)
	; wave barrier
	s_waitcnt lgkmcnt(0)
	s_and_saveexec_b64 s[6:7], vcc
	s_cbranch_execz .LBB56_463
; %bb.458:
	ds_read_b128 v[2:5], v9
	s_and_b64 vcc, exec, s[0:1]
	s_cbranch_vccnz .LBB56_460
; %bb.459:
	scratch_load_dwordx4 v[180:183], v8, off
	s_waitcnt vmcnt(0) lgkmcnt(0)
	v_mul_f64 v[10:11], v[2:3], v[182:183]
	v_mul_f64 v[6:7], v[4:5], v[182:183]
	v_fmac_f64_e32 v[10:11], v[4:5], v[180:181]
	v_fma_f64 v[2:3], v[2:3], v[180:181], -v[6:7]
	v_mov_b64_e32 v[4:5], v[10:11]
.LBB56_460:
	s_and_saveexec_b64 s[8:9], s[2:3]
	s_cbranch_execz .LBB56_462
; %bb.461:
	scratch_load_dwordx4 v[180:183], v8, off offset:16
	ds_read_b128 v[184:187], v9 offset:16
	s_waitcnt vmcnt(0) lgkmcnt(0)
	v_mul_f64 v[6:7], v[186:187], v[182:183]
	v_mul_f64 v[10:11], v[184:185], v[182:183]
	v_fma_f64 v[6:7], v[184:185], v[180:181], -v[6:7]
	v_fmac_f64_e32 v[10:11], v[186:187], v[180:181]
	v_add_f64 v[2:3], v[2:3], v[6:7]
	v_add_f64 v[4:5], v[4:5], v[10:11]
.LBB56_462:
	s_or_b64 exec, exec, s[8:9]
	v_mov_b32_e32 v6, 0
	ds_read_b128 v[180:183], v6 offset:32
	s_waitcnt lgkmcnt(0)
	v_mul_f64 v[6:7], v[4:5], v[182:183]
	v_mul_f64 v[184:185], v[2:3], v[182:183]
	v_fma_f64 v[182:183], v[2:3], v[180:181], -v[6:7]
	v_fmac_f64_e32 v[184:185], v[4:5], v[180:181]
	scratch_store_dwordx4 off, v[182:185], off offset:32
.LBB56_463:
	s_or_b64 exec, exec, s[6:7]
	scratch_load_dwordx4 v[2:5], v177, off
	v_cmp_gt_u32_e32 vcc, 3, v0
	s_waitcnt vmcnt(0)
	ds_write_b128 v9, v[2:5]
	s_waitcnt lgkmcnt(0)
	; wave barrier
	s_waitcnt lgkmcnt(0)
	s_and_saveexec_b64 s[6:7], vcc
	s_cbranch_execz .LBB56_471
; %bb.464:
	ds_read_b128 v[2:5], v9
	s_and_b64 vcc, exec, s[0:1]
	s_cbranch_vccnz .LBB56_466
; %bb.465:
	scratch_load_dwordx4 v[180:183], v8, off
	s_waitcnt vmcnt(0) lgkmcnt(0)
	v_mul_f64 v[10:11], v[2:3], v[182:183]
	v_mul_f64 v[6:7], v[4:5], v[182:183]
	v_fmac_f64_e32 v[10:11], v[4:5], v[180:181]
	v_fma_f64 v[2:3], v[2:3], v[180:181], -v[6:7]
	v_mov_b64_e32 v[4:5], v[10:11]
.LBB56_466:
	v_cmp_ne_u32_e32 vcc, 2, v0
	s_and_saveexec_b64 s[8:9], vcc
	s_cbranch_execz .LBB56_470
; %bb.467:
	scratch_load_dwordx4 v[180:183], v8, off offset:16
	ds_read_b128 v[184:187], v9 offset:16
	s_waitcnt vmcnt(0) lgkmcnt(0)
	v_mul_f64 v[6:7], v[186:187], v[182:183]
	v_mul_f64 v[10:11], v[184:185], v[182:183]
	v_fma_f64 v[6:7], v[184:185], v[180:181], -v[6:7]
	v_fmac_f64_e32 v[10:11], v[186:187], v[180:181]
	v_add_f64 v[2:3], v[2:3], v[6:7]
	v_add_f64 v[4:5], v[4:5], v[10:11]
	s_and_saveexec_b64 s[10:11], s[2:3]
	s_cbranch_execz .LBB56_469
; %bb.468:
	scratch_load_dwordx4 v[180:183], off, off offset:32
	v_mov_b32_e32 v6, 0
	ds_read_b128 v[184:187], v6 offset:944
	s_waitcnt vmcnt(0) lgkmcnt(0)
	v_mul_f64 v[6:7], v[184:185], v[182:183]
	v_mul_f64 v[10:11], v[186:187], v[182:183]
	v_fmac_f64_e32 v[6:7], v[186:187], v[180:181]
	v_fma_f64 v[10:11], v[184:185], v[180:181], -v[10:11]
	v_add_f64 v[4:5], v[4:5], v[6:7]
	v_add_f64 v[2:3], v[2:3], v[10:11]
.LBB56_469:
	s_or_b64 exec, exec, s[10:11]
.LBB56_470:
	s_or_b64 exec, exec, s[8:9]
	v_mov_b32_e32 v6, 0
	ds_read_b128 v[180:183], v6 offset:48
	s_waitcnt lgkmcnt(0)
	v_mul_f64 v[6:7], v[4:5], v[182:183]
	v_mul_f64 v[184:185], v[2:3], v[182:183]
	v_fma_f64 v[182:183], v[2:3], v[180:181], -v[6:7]
	v_fmac_f64_e32 v[184:185], v[4:5], v[180:181]
	scratch_store_dwordx4 off, v[182:185], off offset:48
.LBB56_471:
	s_or_b64 exec, exec, s[6:7]
	scratch_load_dwordx4 v[2:5], v176, off
	v_cmp_gt_u32_e32 vcc, 4, v0
	s_waitcnt vmcnt(0)
	ds_write_b128 v9, v[2:5]
	s_waitcnt lgkmcnt(0)
	; wave barrier
	s_waitcnt lgkmcnt(0)
	s_and_saveexec_b64 s[2:3], vcc
	s_cbranch_execz .LBB56_479
; %bb.472:
	ds_read_b128 v[2:5], v9
	s_and_b64 vcc, exec, s[0:1]
	s_cbranch_vccnz .LBB56_474
; %bb.473:
	scratch_load_dwordx4 v[180:183], v8, off
	s_waitcnt vmcnt(0) lgkmcnt(0)
	v_mul_f64 v[10:11], v[2:3], v[182:183]
	v_mul_f64 v[6:7], v[4:5], v[182:183]
	v_fmac_f64_e32 v[10:11], v[4:5], v[180:181]
	v_fma_f64 v[2:3], v[2:3], v[180:181], -v[6:7]
	v_mov_b64_e32 v[4:5], v[10:11]
.LBB56_474:
	v_cmp_ne_u32_e32 vcc, 3, v0
	s_and_saveexec_b64 s[6:7], vcc
	s_cbranch_execz .LBB56_478
; %bb.475:
	v_mov_b32_e32 v7, 0
	v_add_u32_e32 v6, 0x3a0, v66
	v_add3_u32 v7, v66, v7, 24
	s_mov_b64 s[8:9], 0
	v_mov_b32_e32 v180, v0
.LBB56_476:                             ; =>This Inner Loop Header: Depth=1
	v_add_u32_e32 v10, -8, v7
	scratch_load_dwordx4 v[182:185], v10, off
	ds_read_b128 v[186:189], v6
	v_add_u32_e32 v180, 1, v180
	v_cmp_lt_u32_e32 vcc, 2, v180
	v_add_u32_e32 v6, 16, v6
	v_add_u32_e32 v7, 16, v7
	s_or_b64 s[8:9], vcc, s[8:9]
	s_waitcnt vmcnt(0) lgkmcnt(0)
	v_mul_f64 v[10:11], v[188:189], v[184:185]
	v_mul_f64 v[44:45], v[186:187], v[184:185]
	v_fma_f64 v[10:11], v[186:187], v[182:183], -v[10:11]
	v_fmac_f64_e32 v[44:45], v[188:189], v[182:183]
	v_add_f64 v[2:3], v[2:3], v[10:11]
	v_add_f64 v[4:5], v[4:5], v[44:45]
	s_andn2_b64 exec, exec, s[8:9]
	s_cbranch_execnz .LBB56_476
; %bb.477:
	s_or_b64 exec, exec, s[8:9]
.LBB56_478:
	s_or_b64 exec, exec, s[6:7]
	v_mov_b32_e32 v6, 0
	ds_read_b128 v[180:183], v6 offset:64
	s_waitcnt lgkmcnt(0)
	v_mul_f64 v[6:7], v[4:5], v[182:183]
	v_mul_f64 v[184:185], v[2:3], v[182:183]
	v_fma_f64 v[182:183], v[2:3], v[180:181], -v[6:7]
	v_fmac_f64_e32 v[184:185], v[4:5], v[180:181]
	scratch_store_dwordx4 off, v[182:185], off offset:64
.LBB56_479:
	s_or_b64 exec, exec, s[2:3]
	scratch_load_dwordx4 v[2:5], v175, off
	v_cmp_gt_u32_e32 vcc, 5, v0
	s_waitcnt vmcnt(0)
	ds_write_b128 v9, v[2:5]
	s_waitcnt lgkmcnt(0)
	; wave barrier
	s_waitcnt lgkmcnt(0)
	s_and_saveexec_b64 s[2:3], vcc
	s_cbranch_execz .LBB56_487
; %bb.480:
	ds_read_b128 v[2:5], v9
	s_and_b64 vcc, exec, s[0:1]
	s_cbranch_vccnz .LBB56_482
; %bb.481:
	scratch_load_dwordx4 v[180:183], v8, off
	s_waitcnt vmcnt(0) lgkmcnt(0)
	v_mul_f64 v[10:11], v[2:3], v[182:183]
	v_mul_f64 v[6:7], v[4:5], v[182:183]
	v_fmac_f64_e32 v[10:11], v[4:5], v[180:181]
	v_fma_f64 v[2:3], v[2:3], v[180:181], -v[6:7]
	v_mov_b64_e32 v[4:5], v[10:11]
.LBB56_482:
	v_cmp_ne_u32_e32 vcc, 4, v0
	s_and_saveexec_b64 s[6:7], vcc
	s_cbranch_execz .LBB56_486
; %bb.483:
	v_mov_b32_e32 v7, 0
	v_add_u32_e32 v6, 0x3a0, v66
	v_add3_u32 v7, v66, v7, 24
	s_mov_b64 s[8:9], 0
	v_mov_b32_e32 v180, v0
.LBB56_484:                             ; =>This Inner Loop Header: Depth=1
	v_add_u32_e32 v10, -8, v7
	scratch_load_dwordx4 v[182:185], v10, off
	ds_read_b128 v[186:189], v6
	v_add_u32_e32 v180, 1, v180
	v_cmp_lt_u32_e32 vcc, 3, v180
	v_add_u32_e32 v6, 16, v6
	v_add_u32_e32 v7, 16, v7
	s_or_b64 s[8:9], vcc, s[8:9]
	s_waitcnt vmcnt(0) lgkmcnt(0)
	v_mul_f64 v[10:11], v[188:189], v[184:185]
	v_mul_f64 v[44:45], v[186:187], v[184:185]
	v_fma_f64 v[10:11], v[186:187], v[182:183], -v[10:11]
	v_fmac_f64_e32 v[44:45], v[188:189], v[182:183]
	v_add_f64 v[2:3], v[2:3], v[10:11]
	v_add_f64 v[4:5], v[4:5], v[44:45]
	s_andn2_b64 exec, exec, s[8:9]
	s_cbranch_execnz .LBB56_484
; %bb.485:
	s_or_b64 exec, exec, s[8:9]
.LBB56_486:
	s_or_b64 exec, exec, s[6:7]
	v_mov_b32_e32 v6, 0
	ds_read_b128 v[180:183], v6 offset:80
	s_waitcnt lgkmcnt(0)
	v_mul_f64 v[6:7], v[4:5], v[182:183]
	v_mul_f64 v[184:185], v[2:3], v[182:183]
	v_fma_f64 v[182:183], v[2:3], v[180:181], -v[6:7]
	v_fmac_f64_e32 v[184:185], v[4:5], v[180:181]
	scratch_store_dwordx4 off, v[182:185], off offset:80
.LBB56_487:
	;; [unrolled: 63-line block ×51, first 2 shown]
	s_or_b64 exec, exec, s[2:3]
	scratch_load_dwordx4 v[2:5], v41, off
	v_cmp_gt_u32_e64 s[2:3], 55, v0
	s_waitcnt vmcnt(0)
	ds_write_b128 v9, v[2:5]
	s_waitcnt lgkmcnt(0)
	; wave barrier
	s_waitcnt lgkmcnt(0)
	s_and_saveexec_b64 s[6:7], s[2:3]
	s_cbranch_execz .LBB56_887
; %bb.880:
	ds_read_b128 v[2:5], v9
	s_and_b64 vcc, exec, s[0:1]
	s_cbranch_vccnz .LBB56_882
; %bb.881:
	scratch_load_dwordx4 v[180:183], v8, off
	s_waitcnt vmcnt(0) lgkmcnt(0)
	v_mul_f64 v[10:11], v[2:3], v[182:183]
	v_mul_f64 v[6:7], v[4:5], v[182:183]
	v_fmac_f64_e32 v[10:11], v[4:5], v[180:181]
	v_fma_f64 v[2:3], v[2:3], v[180:181], -v[6:7]
	v_mov_b64_e32 v[4:5], v[10:11]
.LBB56_882:
	v_cmp_ne_u32_e32 vcc, 54, v0
	s_and_saveexec_b64 s[8:9], vcc
	s_cbranch_execz .LBB56_886
; %bb.883:
	v_mov_b32_e32 v7, 0
	v_add_u32_e32 v6, 0x3a0, v66
	v_add3_u32 v7, v66, v7, 24
	s_mov_b64 s[10:11], 0
	v_mov_b32_e32 v180, v0
.LBB56_884:                             ; =>This Inner Loop Header: Depth=1
	v_add_u32_e32 v10, -8, v7
	scratch_load_dwordx4 v[182:185], v10, off
	ds_read_b128 v[186:189], v6
	v_add_u32_e32 v180, 1, v180
	v_cmp_lt_u32_e32 vcc, 53, v180
	v_add_u32_e32 v6, 16, v6
	v_add_u32_e32 v7, 16, v7
	s_or_b64 s[10:11], vcc, s[10:11]
	s_waitcnt vmcnt(0) lgkmcnt(0)
	v_mul_f64 v[10:11], v[188:189], v[184:185]
	v_mul_f64 v[44:45], v[186:187], v[184:185]
	v_fma_f64 v[10:11], v[186:187], v[182:183], -v[10:11]
	v_fmac_f64_e32 v[44:45], v[188:189], v[182:183]
	v_add_f64 v[2:3], v[2:3], v[10:11]
	v_add_f64 v[4:5], v[4:5], v[44:45]
	s_andn2_b64 exec, exec, s[10:11]
	s_cbranch_execnz .LBB56_884
; %bb.885:
	s_or_b64 exec, exec, s[10:11]
.LBB56_886:
	s_or_b64 exec, exec, s[8:9]
	v_mov_b32_e32 v6, 0
	ds_read_b128 v[180:183], v6 offset:880
	s_waitcnt lgkmcnt(0)
	v_mul_f64 v[6:7], v[4:5], v[182:183]
	v_mul_f64 v[184:185], v[2:3], v[182:183]
	v_fma_f64 v[182:183], v[2:3], v[180:181], -v[6:7]
	v_fmac_f64_e32 v[184:185], v[4:5], v[180:181]
	scratch_store_dwordx4 off, v[182:185], off offset:880
.LBB56_887:
	s_or_b64 exec, exec, s[6:7]
	scratch_load_dwordx4 v[2:5], v1, off
	v_cmp_ne_u32_e32 vcc, 56, v0
                                        ; implicit-def: $vgpr6_vgpr7
                                        ; implicit-def: $vgpr180
	s_waitcnt vmcnt(0)
	ds_write_b128 v9, v[2:5]
	s_waitcnt lgkmcnt(0)
	; wave barrier
	s_waitcnt lgkmcnt(0)
	s_and_saveexec_b64 s[6:7], vcc
	s_cbranch_execz .LBB56_895
; %bb.888:
	ds_read_b128 v[2:5], v9
	s_and_b64 vcc, exec, s[0:1]
	s_cbranch_vccnz .LBB56_890
; %bb.889:
	scratch_load_dwordx4 v[6:9], v8, off
	s_waitcnt vmcnt(0) lgkmcnt(0)
	v_mul_f64 v[10:11], v[4:5], v[8:9]
	v_mul_f64 v[8:9], v[2:3], v[8:9]
	v_fmac_f64_e32 v[8:9], v[4:5], v[6:7]
	v_fma_f64 v[2:3], v[2:3], v[6:7], -v[10:11]
	v_mov_b64_e32 v[4:5], v[8:9]
.LBB56_890:
	s_and_saveexec_b64 s[0:1], s[2:3]
	s_cbranch_execz .LBB56_894
; %bb.891:
	v_mov_b32_e32 v7, 0
	v_add_u32_e32 v6, 0x3a0, v66
	v_add3_u32 v7, v66, v7, 24
	s_mov_b64 s[2:3], 0
.LBB56_892:                             ; =>This Inner Loop Header: Depth=1
	v_add_u32_e32 v8, -8, v7
	scratch_load_dwordx4 v[180:183], v8, off
	ds_read_b128 v[184:187], v6
	v_add_u32_e32 v0, 1, v0
	v_cmp_lt_u32_e32 vcc, 54, v0
	v_add_u32_e32 v6, 16, v6
	v_add_u32_e32 v7, 16, v7
	s_or_b64 s[2:3], vcc, s[2:3]
	s_waitcnt vmcnt(0) lgkmcnt(0)
	v_mul_f64 v[8:9], v[186:187], v[182:183]
	v_mul_f64 v[10:11], v[184:185], v[182:183]
	v_fma_f64 v[8:9], v[184:185], v[180:181], -v[8:9]
	v_fmac_f64_e32 v[10:11], v[186:187], v[180:181]
	v_add_f64 v[2:3], v[2:3], v[8:9]
	v_add_f64 v[4:5], v[4:5], v[10:11]
	s_andn2_b64 exec, exec, s[2:3]
	s_cbranch_execnz .LBB56_892
; %bb.893:
	s_or_b64 exec, exec, s[2:3]
.LBB56_894:
	s_or_b64 exec, exec, s[0:1]
	v_mov_b32_e32 v0, 0
	ds_read_b128 v[182:185], v0 offset:896
	v_mov_b32_e32 v0, 0
	v_add_u32_e32 v180, 0x388, v0
	s_or_b64 s[4:5], s[4:5], exec
	s_waitcnt lgkmcnt(0)
	v_mul_f64 v[8:9], v[4:5], v[184:185]
	v_mul_f64 v[6:7], v[2:3], v[184:185]
	v_fma_f64 v[2:3], v[2:3], v[182:183], -v[8:9]
	v_fmac_f64_e32 v[6:7], v[4:5], v[182:183]
	scratch_store_dwordx2 off, v[2:3], off offset:896
.LBB56_895:
	s_or_b64 exec, exec, s[6:7]
.LBB56_896:
	v_mov_b32_e32 v0, v41
	s_and_saveexec_b64 s[0:1], s[4:5]
	s_cbranch_execz .LBB56_898
; %bb.897:
	scratch_store_dwordx2 v180, v[6:7], off
.LBB56_898:
	s_or_b64 exec, exec, s[0:1]
	scratch_load_dwordx4 v[2:5], off, off
	scratch_load_dwordx4 v[6:9], v179, off
	s_nop 0
	scratch_load_dwordx4 v[178:181], v178, off
	s_nop 0
	scratch_load_dwordx4 v[182:185], v177, off
	scratch_load_dwordx4 v[186:189], v176, off
	scratch_load_dwordx4 v[190:193], v175, off
	s_nop 0
	scratch_load_dwordx4 v[174:177], v174, off
	s_nop 0
	scratch_load_dwordx4 v[194:197], v173, off
	scratch_load_dwordx4 v[198:201], v172, off
	;; [unrolled: 6-line block ×6, first 2 shown]
	scratch_load_dwordx4 v[250:253], v155, off
	s_nop 0
	scratch_load_dwordx4 v[154:157], v154, off
	s_waitcnt vmcnt(26)
	global_store_dwordx4 v[12:13], v[2:5], off
	scratch_load_dwordx4 v[2:5], v153, off
	s_nop 0
	scratch_load_dwordx4 v[10:13], v152, off
	s_waitcnt vmcnt(28)
	global_store_dwordx4 v[14:15], v[6:9], off
	;; [unrolled: 5-line block ×15, first 2 shown]
	scratch_load_dwordx4 v[166:169], v0, off
	s_nop 0
	scratch_load_dwordx4 v[42:45], v1, off
	v_accvgpr_read_b32 v0, a0
	v_accvgpr_read_b32 v1, a1
	s_waitcnt vmcnt(56)
	global_store_dwordx4 v[254:255], v[218:221], off
	s_waitcnt vmcnt(56)
	global_store_dwordx4 v[0:1], v[222:225], off
	;; [unrolled: 2-line block ×42, first 2 shown]
.LBB56_899:
	s_endpgm
	.section	.rodata,"a",@progbits
	.p2align	6, 0x0
	.amdhsa_kernel _ZN9rocsolver6v33100L18trti2_kernel_smallILi57E19rocblas_complex_numIdEPS3_EEv13rocblas_fill_17rocblas_diagonal_T1_iil
		.amdhsa_group_segment_fixed_size 1824
		.amdhsa_private_segment_fixed_size 928
		.amdhsa_kernarg_size 32
		.amdhsa_user_sgpr_count 2
		.amdhsa_user_sgpr_dispatch_ptr 0
		.amdhsa_user_sgpr_queue_ptr 0
		.amdhsa_user_sgpr_kernarg_segment_ptr 1
		.amdhsa_user_sgpr_dispatch_id 0
		.amdhsa_user_sgpr_kernarg_preload_length 0
		.amdhsa_user_sgpr_kernarg_preload_offset 0
		.amdhsa_user_sgpr_private_segment_size 0
		.amdhsa_uses_dynamic_stack 0
		.amdhsa_enable_private_segment 1
		.amdhsa_system_sgpr_workgroup_id_x 1
		.amdhsa_system_sgpr_workgroup_id_y 0
		.amdhsa_system_sgpr_workgroup_id_z 0
		.amdhsa_system_sgpr_workgroup_info 0
		.amdhsa_system_vgpr_workitem_id 0
		.amdhsa_next_free_vgpr 258
		.amdhsa_next_free_sgpr 12
		.amdhsa_accum_offset 256
		.amdhsa_reserve_vcc 1
		.amdhsa_float_round_mode_32 0
		.amdhsa_float_round_mode_16_64 0
		.amdhsa_float_denorm_mode_32 3
		.amdhsa_float_denorm_mode_16_64 3
		.amdhsa_dx10_clamp 1
		.amdhsa_ieee_mode 1
		.amdhsa_fp16_overflow 0
		.amdhsa_tg_split 0
		.amdhsa_exception_fp_ieee_invalid_op 0
		.amdhsa_exception_fp_denorm_src 0
		.amdhsa_exception_fp_ieee_div_zero 0
		.amdhsa_exception_fp_ieee_overflow 0
		.amdhsa_exception_fp_ieee_underflow 0
		.amdhsa_exception_fp_ieee_inexact 0
		.amdhsa_exception_int_div_zero 0
	.end_amdhsa_kernel
	.section	.text._ZN9rocsolver6v33100L18trti2_kernel_smallILi57E19rocblas_complex_numIdEPS3_EEv13rocblas_fill_17rocblas_diagonal_T1_iil,"axG",@progbits,_ZN9rocsolver6v33100L18trti2_kernel_smallILi57E19rocblas_complex_numIdEPS3_EEv13rocblas_fill_17rocblas_diagonal_T1_iil,comdat
.Lfunc_end56:
	.size	_ZN9rocsolver6v33100L18trti2_kernel_smallILi57E19rocblas_complex_numIdEPS3_EEv13rocblas_fill_17rocblas_diagonal_T1_iil, .Lfunc_end56-_ZN9rocsolver6v33100L18trti2_kernel_smallILi57E19rocblas_complex_numIdEPS3_EEv13rocblas_fill_17rocblas_diagonal_T1_iil
                                        ; -- End function
	.section	.AMDGPU.csdata,"",@progbits
; Kernel info:
; codeLenInByte = 37700
; NumSgprs: 18
; NumVgprs: 256
; NumAgprs: 2
; TotalNumVgprs: 258
; ScratchSize: 928
; MemoryBound: 0
; FloatMode: 240
; IeeeMode: 1
; LDSByteSize: 1824 bytes/workgroup (compile time only)
; SGPRBlocks: 2
; VGPRBlocks: 32
; NumSGPRsForWavesPerEU: 18
; NumVGPRsForWavesPerEU: 258
; AccumOffset: 256
; Occupancy: 1
; WaveLimiterHint : 0
; COMPUTE_PGM_RSRC2:SCRATCH_EN: 1
; COMPUTE_PGM_RSRC2:USER_SGPR: 2
; COMPUTE_PGM_RSRC2:TRAP_HANDLER: 0
; COMPUTE_PGM_RSRC2:TGID_X_EN: 1
; COMPUTE_PGM_RSRC2:TGID_Y_EN: 0
; COMPUTE_PGM_RSRC2:TGID_Z_EN: 0
; COMPUTE_PGM_RSRC2:TIDIG_COMP_CNT: 0
; COMPUTE_PGM_RSRC3_GFX90A:ACCUM_OFFSET: 63
; COMPUTE_PGM_RSRC3_GFX90A:TG_SPLIT: 0
	.section	.text._ZN9rocsolver6v33100L18trti2_kernel_smallILi58E19rocblas_complex_numIdEPS3_EEv13rocblas_fill_17rocblas_diagonal_T1_iil,"axG",@progbits,_ZN9rocsolver6v33100L18trti2_kernel_smallILi58E19rocblas_complex_numIdEPS3_EEv13rocblas_fill_17rocblas_diagonal_T1_iil,comdat
	.globl	_ZN9rocsolver6v33100L18trti2_kernel_smallILi58E19rocblas_complex_numIdEPS3_EEv13rocblas_fill_17rocblas_diagonal_T1_iil ; -- Begin function _ZN9rocsolver6v33100L18trti2_kernel_smallILi58E19rocblas_complex_numIdEPS3_EEv13rocblas_fill_17rocblas_diagonal_T1_iil
	.p2align	8
	.type	_ZN9rocsolver6v33100L18trti2_kernel_smallILi58E19rocblas_complex_numIdEPS3_EEv13rocblas_fill_17rocblas_diagonal_T1_iil,@function
_ZN9rocsolver6v33100L18trti2_kernel_smallILi58E19rocblas_complex_numIdEPS3_EEv13rocblas_fill_17rocblas_diagonal_T1_iil: ; @_ZN9rocsolver6v33100L18trti2_kernel_smallILi58E19rocblas_complex_numIdEPS3_EEv13rocblas_fill_17rocblas_diagonal_T1_iil
; %bb.0:
	v_cmp_gt_u32_e32 vcc, 58, v0
	s_and_saveexec_b64 s[4:5], vcc
	s_cbranch_execz .LBB57_915
; %bb.1:
	s_load_dwordx8 s[4:11], s[0:1], 0x0
	s_ashr_i32 s3, s2, 31
	v_lshlrev_b32_e32 v152, 4, v0
	v_mov_b32_e32 v153, 0
	v_mov_b32_e32 v1, 0
	s_waitcnt lgkmcnt(0)
	s_ashr_i32 s1, s8, 31
	s_mov_b32 s0, s8
	s_mul_i32 s8, s2, s11
	s_mul_hi_u32 s11, s2, s10
	s_add_i32 s8, s11, s8
	s_mul_i32 s3, s3, s10
	s_add_i32 s3, s8, s3
	s_mul_i32 s2, s2, s10
	s_lshl_b64 s[2:3], s[2:3], 4
	s_add_u32 s2, s6, s2
	s_addc_u32 s3, s7, s3
	s_lshl_b64 s[0:1], s[0:1], 4
	s_add_u32 s0, s2, s0
	s_addc_u32 s1, s3, s1
	v_lshl_add_u64 v[106:107], s[0:1], 0, v[152:153]
	s_ashr_i32 s3, s9, 31
	s_mov_b32 s2, s9
	v_lshl_add_u64 v[108:109], s[2:3], 4, v[106:107]
	s_add_i32 s2, s9, s9
	v_add_u32_e32 v14, s2, v0
	v_ashrrev_i32_e32 v15, 31, v14
	v_lshl_add_u64 v[110:111], v[14:15], 4, s[0:1]
	v_add_u32_e32 v14, s9, v14
	v_add_u32_e32 v22, s9, v14
	v_ashrrev_i32_e32 v23, 31, v22
	v_lshl_add_u64 v[114:115], v[22:23], 4, s[0:1]
	v_add_u32_e32 v22, s9, v22
	;; [unrolled: 4-line block ×10, first 2 shown]
	v_add_u32_e32 v94, s9, v86
	v_ashrrev_i32_e32 v95, 31, v94
	v_ashrrev_i32_e32 v63, 31, v62
	;; [unrolled: 1-line block ×3, first 2 shown]
	v_lshl_add_u64 v[150:151], v[94:95], 4, s[0:1]
	v_add_u32_e32 v94, s9, v94
	v_ashrrev_i32_e32 v15, 31, v14
	v_ashrrev_i32_e32 v23, 31, v22
	;; [unrolled: 1-line block ×6, first 2 shown]
	v_lshl_add_u64 v[64:65], v[62:63], 4, s[0:1]
	v_lshl_add_u64 v[72:73], v[70:71], 4, s[0:1]
	v_ashrrev_i32_e32 v79, 31, v78
	v_ashrrev_i32_e32 v87, 31, v86
	;; [unrolled: 1-line block ×3, first 2 shown]
	v_add_u32_e32 v102, s9, v94
	v_lshl_add_u64 v[112:113], v[14:15], 4, s[0:1]
	v_lshl_add_u64 v[116:117], v[22:23], 4, s[0:1]
	;; [unrolled: 1-line block ×6, first 2 shown]
	v_accvgpr_write_b32 a0, v58
	v_accvgpr_write_b32 a2, v64
	;; [unrolled: 1-line block ×5, first 2 shown]
	v_lshl_add_u64 v[144:145], v[78:79], 4, s[0:1]
	v_lshl_add_u64 v[148:149], v[86:87], 4, s[0:1]
	;; [unrolled: 1-line block ×3, first 2 shown]
	v_ashrrev_i32_e32 v103, 31, v102
	global_load_dwordx4 v[2:5], v152, s[0:1]
	global_load_dwordx4 v[6:9], v[108:109], off
	global_load_dwordx4 v[10:13], v[110:111], off
	;; [unrolled: 1-line block ×13, first 2 shown]
	v_accvgpr_write_b32 a1, v59
	global_load_dwordx4 v[58:61], v[58:59], off
	v_accvgpr_write_b32 a3, v65
	global_load_dwordx4 v[62:65], v[64:65], off
	;; [unrolled: 2-line block ×5, first 2 shown]
	s_nop 0
	global_load_dwordx4 v[78:81], v[144:145], off
	global_load_dwordx4 v[82:85], v[146:147], off
	;; [unrolled: 1-line block ×4, first 2 shown]
	v_lshl_add_u64 v[156:157], v[102:103], 4, s[0:1]
	global_load_dwordx4 v[94:97], v[154:155], off
	global_load_dwordx4 v[98:101], v[156:157], off
	v_add_u32_e32 v160, s9, v102
	v_add_u32_e32 v162, s9, v160
	;; [unrolled: 1-line block ×33, first 2 shown]
	v_ashrrev_i32_e32 v103, 31, v102
	v_lshl_add_u64 v[158:159], v[102:103], 4, s[0:1]
	v_ashrrev_i32_e32 v161, 31, v160
	v_ashrrev_i32_e32 v165, 31, v164
	;; [unrolled: 1-line block ×16, first 2 shown]
	global_load_dwordx4 v[102:105], v[158:159], off
	s_waitcnt vmcnt(25)
	scratch_store_dwordx4 off, v[2:5], off
	s_waitcnt vmcnt(25)
	scratch_store_dwordx4 off, v[6:9], off offset:16
	s_waitcnt vmcnt(25)
	scratch_store_dwordx4 off, v[10:13], off offset:32
	s_waitcnt vmcnt(25)
	scratch_store_dwordx4 off, v[14:17], off offset:48
	s_waitcnt vmcnt(25)
	scratch_store_dwordx4 off, v[18:21], off offset:64
	s_waitcnt vmcnt(25)
	scratch_store_dwordx4 off, v[22:25], off offset:80
	s_waitcnt vmcnt(25)
	scratch_store_dwordx4 off, v[26:29], off offset:96
	s_waitcnt vmcnt(25)
	scratch_store_dwordx4 off, v[30:33], off offset:112
	s_waitcnt vmcnt(25)
	scratch_store_dwordx4 off, v[34:37], off offset:128
	s_waitcnt vmcnt(25)
	scratch_store_dwordx4 off, v[38:41], off offset:144
	s_waitcnt vmcnt(25)
	scratch_store_dwordx4 off, v[42:45], off offset:160
	s_waitcnt vmcnt(25)
	scratch_store_dwordx4 off, v[46:49], off offset:176
	s_waitcnt vmcnt(25)
	scratch_store_dwordx4 off, v[50:53], off offset:192
	s_waitcnt vmcnt(25)
	scratch_store_dwordx4 off, v[54:57], off offset:208
	s_waitcnt vmcnt(25)
	scratch_store_dwordx4 off, v[58:61], off offset:224
	s_waitcnt vmcnt(25)
	scratch_store_dwordx4 off, v[62:65], off offset:240
	s_waitcnt vmcnt(25)
	scratch_store_dwordx4 off, v[66:69], off offset:256
	s_waitcnt vmcnt(25)
	scratch_store_dwordx4 off, v[70:73], off offset:272
	s_waitcnt vmcnt(25)
	scratch_store_dwordx4 off, v[74:77], off offset:288
	s_waitcnt vmcnt(25)
	scratch_store_dwordx4 off, v[78:81], off offset:304
	s_waitcnt vmcnt(25)
	scratch_store_dwordx4 off, v[82:85], off offset:320
	s_waitcnt vmcnt(25)
	scratch_store_dwordx4 off, v[86:89], off offset:336
	s_waitcnt vmcnt(25)
	scratch_store_dwordx4 off, v[90:93], off offset:352
	s_waitcnt vmcnt(25)
	scratch_store_dwordx4 off, v[94:97], off offset:368
	s_waitcnt vmcnt(25)
	scratch_store_dwordx4 off, v[98:101], off offset:384
	v_lshl_add_u64 v[12:13], v[160:161], 4, s[0:1]
	v_ashrrev_i32_e32 v163, 31, v162
	v_lshl_add_u64 v[16:17], v[164:165], 4, s[0:1]
	v_ashrrev_i32_e32 v167, 31, v166
	;; [unrolled: 2-line block ×16, first 2 shown]
	v_lshl_add_u64 v[14:15], v[162:163], 4, s[0:1]
	global_load_dwordx4 v[2:5], v[12:13], off
	global_load_dwordx4 v[6:9], v[14:15], off
	v_lshl_add_u64 v[18:19], v[166:167], 4, s[0:1]
	global_load_dwordx4 v[76:79], v[16:17], off
	global_load_dwordx4 v[80:83], v[18:19], off
	;; [unrolled: 3-line block ×16, first 2 shown]
	s_cmpk_lg_i32 s5, 0x84
	s_cselect_b64 s[6:7], -1, 0
	s_cmpk_eq_i32 s5, 0x84
	s_waitcnt vmcnt(31)
	scratch_store_dwordx4 off, v[2:5], off offset:400
	s_waitcnt vmcnt(31)
	scratch_store_dwordx4 off, v[6:9], off offset:416
	;; [unrolled: 2-line block ×32, first 2 shown]
	scratch_store_dwordx4 off, v[102:105], off offset:912
	s_cbranch_scc1 .LBB57_7
; %bb.2:
	scratch_load_dwordx4 v[8:11], v152, off
                                        ; implicit-def: $vgpr6_vgpr7
	s_waitcnt vmcnt(0)
	v_xor_b32_e32 v3, 0x80000000, v9
	v_cmp_gt_f64_e32 vcc, 0, v[8:9]
	v_xor_b32_e32 v4, 0x80000000, v11
	v_mov_b32_e32 v2, v8
	v_cndmask_b32_e32 v3, v9, v3, vcc
	v_cmp_gt_f64_e32 vcc, 0, v[10:11]
	s_nop 1
	v_cndmask_b32_e32 v5, v11, v4, vcc
	v_mov_b32_e32 v4, v10
	v_cmp_ngt_f64_e32 vcc, v[2:3], v[4:5]
                                        ; implicit-def: $vgpr2_vgpr3
	s_and_saveexec_b64 s[0:1], vcc
	s_xor_b64 s[0:1], exec, s[0:1]
	s_cbranch_execz .LBB57_4
; %bb.3:
	v_div_scale_f64 v[2:3], s[2:3], v[10:11], v[10:11], v[8:9]
	v_rcp_f64_e32 v[4:5], v[2:3]
	v_div_scale_f64 v[6:7], vcc, v[8:9], v[10:11], v[8:9]
	v_fma_f64 v[76:77], -v[2:3], v[4:5], 1.0
	v_fmac_f64_e32 v[4:5], v[4:5], v[76:77]
	v_fma_f64 v[76:77], -v[2:3], v[4:5], 1.0
	v_fmac_f64_e32 v[4:5], v[4:5], v[76:77]
	v_mul_f64 v[76:77], v[6:7], v[4:5]
	v_fma_f64 v[2:3], -v[2:3], v[76:77], v[6:7]
	v_div_fmas_f64 v[2:3], v[2:3], v[4:5], v[76:77]
	v_div_fixup_f64 v[2:3], v[2:3], v[10:11], v[8:9]
	v_fmac_f64_e32 v[10:11], v[8:9], v[2:3]
	v_div_scale_f64 v[4:5], s[2:3], v[10:11], v[10:11], 1.0
	v_rcp_f64_e32 v[6:7], v[4:5]
	s_nop 0
	v_fma_f64 v[8:9], -v[4:5], v[6:7], 1.0
	v_fmac_f64_e32 v[6:7], v[6:7], v[8:9]
	v_fma_f64 v[8:9], -v[4:5], v[6:7], 1.0
	v_fmac_f64_e32 v[6:7], v[6:7], v[8:9]
	v_div_scale_f64 v[8:9], vcc, 1.0, v[10:11], 1.0
	v_mul_f64 v[76:77], v[8:9], v[6:7]
	v_fma_f64 v[4:5], -v[4:5], v[76:77], v[8:9]
                                        ; implicit-def: $vgpr8_vgpr9
	s_nop 1
	v_div_fmas_f64 v[4:5], v[4:5], v[6:7], v[76:77]
	v_div_fixup_f64 v[4:5], v[4:5], v[10:11], 1.0
	v_mul_f64 v[2:3], v[2:3], v[4:5]
	v_xor_b32_e32 v5, 0x80000000, v5
	v_xor_b32_e32 v7, 0x80000000, v3
	v_mov_b32_e32 v6, v2
.LBB57_4:
	s_or_saveexec_b64 s[0:1], s[0:1]
	v_add_u32_e32 v76, 0, v152
	s_xor_b64 exec, exec, s[0:1]
	s_cbranch_execz .LBB57_6
; %bb.5:
	v_div_scale_f64 v[2:3], s[2:3], v[8:9], v[8:9], v[10:11]
	v_rcp_f64_e32 v[4:5], v[2:3]
	v_div_scale_f64 v[6:7], vcc, v[10:11], v[8:9], v[10:11]
	v_fma_f64 v[78:79], -v[2:3], v[4:5], 1.0
	v_fmac_f64_e32 v[4:5], v[4:5], v[78:79]
	v_fma_f64 v[78:79], -v[2:3], v[4:5], 1.0
	v_fmac_f64_e32 v[4:5], v[4:5], v[78:79]
	v_mul_f64 v[78:79], v[6:7], v[4:5]
	v_fma_f64 v[2:3], -v[2:3], v[78:79], v[6:7]
	v_div_fmas_f64 v[2:3], v[2:3], v[4:5], v[78:79]
	v_div_fixup_f64 v[4:5], v[2:3], v[8:9], v[10:11]
	v_fmac_f64_e32 v[8:9], v[10:11], v[4:5]
	v_div_scale_f64 v[2:3], s[2:3], v[8:9], v[8:9], 1.0
	v_rcp_f64_e32 v[6:7], v[2:3]
	s_nop 0
	v_fma_f64 v[10:11], -v[2:3], v[6:7], 1.0
	v_fmac_f64_e32 v[6:7], v[6:7], v[10:11]
	v_fma_f64 v[10:11], -v[2:3], v[6:7], 1.0
	v_fmac_f64_e32 v[6:7], v[6:7], v[10:11]
	v_div_scale_f64 v[10:11], vcc, 1.0, v[8:9], 1.0
	v_mul_f64 v[78:79], v[10:11], v[6:7]
	v_fma_f64 v[2:3], -v[2:3], v[78:79], v[10:11]
	s_nop 1
	v_div_fmas_f64 v[2:3], v[2:3], v[6:7], v[78:79]
	v_div_fixup_f64 v[2:3], v[2:3], v[8:9], 1.0
	v_xor_b32_e32 v7, 0x80000000, v3
	v_mov_b32_e32 v6, v2
	v_mul_f64 v[4:5], v[4:5], -v[2:3]
.LBB57_6:
	s_or_b64 exec, exec, s[0:1]
	scratch_store_dwordx4 v76, v[2:5], off
	s_nop 1
	v_xor_b32_e32 v5, 0x80000000, v5
	s_branch .LBB57_8
.LBB57_7:
	v_mov_b64_e32 v[4:5], 0
	v_mov_b64_e32 v[6:7], -1.0
.LBB57_8:
	v_mov_b32_e32 v8, v4
	v_mov_b32_e32 v9, v5
	v_add_u32_e32 v182, 16, v1
	v_add_u32_e32 v181, 32, v1
	;; [unrolled: 1-line block ×57, first 2 shown]
	ds_write_b128 v152, v[6:9]
	s_cmpk_eq_i32 s4, 0x79
	v_add_u32_e32 v9, 0x3a0, v152
	v_add_u32_e32 v8, 0, v152
	s_cbranch_scc1 .LBB57_460
; %bb.9:
	scratch_load_dwordx4 v[2:5], v140, off
	v_cmp_eq_u32_e64 s[0:1], 57, v0
	s_waitcnt vmcnt(0)
	ds_write_b128 v9, v[2:5]
	s_waitcnt lgkmcnt(0)
	; wave barrier
	s_waitcnt lgkmcnt(0)
	s_and_saveexec_b64 s[2:3], s[0:1]
	s_cbranch_execz .LBB57_13
; %bb.10:
	ds_read_b128 v[2:5], v9
	s_andn2_b64 vcc, exec, s[6:7]
	s_cbranch_vccnz .LBB57_12
; %bb.11:
	scratch_load_dwordx4 v[184:187], v8, off
	s_waitcnt vmcnt(0) lgkmcnt(0)
	v_mul_f64 v[76:77], v[2:3], v[186:187]
	v_mul_f64 v[6:7], v[4:5], v[186:187]
	v_fmac_f64_e32 v[76:77], v[4:5], v[184:185]
	v_fma_f64 v[2:3], v[2:3], v[184:185], -v[6:7]
	v_mov_b64_e32 v[4:5], v[76:77]
.LBB57_12:
	v_mov_b32_e32 v6, 0
	ds_read_b128 v[184:187], v6 offset:896
	s_waitcnt lgkmcnt(0)
	v_mul_f64 v[6:7], v[4:5], v[186:187]
	v_mul_f64 v[188:189], v[2:3], v[186:187]
	v_fma_f64 v[186:187], v[2:3], v[184:185], -v[6:7]
	v_fmac_f64_e32 v[188:189], v[4:5], v[184:185]
	scratch_store_dwordx4 off, v[186:189], off offset:896
.LBB57_13:
	s_or_b64 exec, exec, s[2:3]
	scratch_load_dwordx4 v[2:5], v136, off
	v_cmp_lt_u32_e64 s[2:3], 55, v0
	s_waitcnt vmcnt(0)
	ds_write_b128 v9, v[2:5]
	s_waitcnt lgkmcnt(0)
	; wave barrier
	s_waitcnt lgkmcnt(0)
	s_and_saveexec_b64 s[4:5], s[2:3]
	s_cbranch_execz .LBB57_19
; %bb.14:
	ds_read_b128 v[2:5], v9
	s_andn2_b64 vcc, exec, s[6:7]
	s_cbranch_vccnz .LBB57_16
; %bb.15:
	scratch_load_dwordx4 v[184:187], v8, off
	s_waitcnt vmcnt(0) lgkmcnt(0)
	v_mul_f64 v[76:77], v[2:3], v[186:187]
	v_mul_f64 v[6:7], v[4:5], v[186:187]
	v_fmac_f64_e32 v[76:77], v[4:5], v[184:185]
	v_fma_f64 v[2:3], v[2:3], v[184:185], -v[6:7]
	v_mov_b64_e32 v[4:5], v[76:77]
.LBB57_16:
	s_and_saveexec_b64 s[8:9], s[0:1]
	s_cbranch_execz .LBB57_18
; %bb.17:
	scratch_load_dwordx4 v[184:187], off, off offset:896
	v_mov_b32_e32 v6, 0
	ds_read_b128 v[188:191], v6 offset:1824
	s_waitcnt vmcnt(0) lgkmcnt(0)
	v_mul_f64 v[6:7], v[188:189], v[186:187]
	v_mul_f64 v[76:77], v[190:191], v[186:187]
	v_fmac_f64_e32 v[6:7], v[190:191], v[184:185]
	v_fma_f64 v[76:77], v[188:189], v[184:185], -v[76:77]
	v_add_f64 v[4:5], v[4:5], v[6:7]
	v_add_f64 v[2:3], v[2:3], v[76:77]
.LBB57_18:
	s_or_b64 exec, exec, s[8:9]
	v_mov_b32_e32 v6, 0
	ds_read_b128 v[184:187], v6 offset:880
	s_waitcnt lgkmcnt(0)
	v_mul_f64 v[6:7], v[4:5], v[186:187]
	v_mul_f64 v[188:189], v[2:3], v[186:187]
	v_fma_f64 v[186:187], v[2:3], v[184:185], -v[6:7]
	v_fmac_f64_e32 v[188:189], v[4:5], v[184:185]
	scratch_store_dwordx4 off, v[186:189], off offset:880
.LBB57_19:
	s_or_b64 exec, exec, s[4:5]
	scratch_load_dwordx4 v[2:5], v137, off
	v_cmp_lt_u32_e64 s[0:1], 54, v0
	s_waitcnt vmcnt(0)
	ds_write_b128 v9, v[2:5]
	s_waitcnt lgkmcnt(0)
	; wave barrier
	s_waitcnt lgkmcnt(0)
	s_and_saveexec_b64 s[4:5], s[0:1]
	s_cbranch_execz .LBB57_27
; %bb.20:
	ds_read_b128 v[2:5], v9
	s_andn2_b64 vcc, exec, s[6:7]
	s_cbranch_vccnz .LBB57_22
; %bb.21:
	scratch_load_dwordx4 v[184:187], v8, off
	s_waitcnt vmcnt(0) lgkmcnt(0)
	v_mul_f64 v[76:77], v[2:3], v[186:187]
	v_mul_f64 v[6:7], v[4:5], v[186:187]
	v_fmac_f64_e32 v[76:77], v[4:5], v[184:185]
	v_fma_f64 v[2:3], v[2:3], v[184:185], -v[6:7]
	v_mov_b64_e32 v[4:5], v[76:77]
.LBB57_22:
	s_and_saveexec_b64 s[8:9], s[2:3]
	s_cbranch_execz .LBB57_26
; %bb.23:
	v_mov_b32_e32 v7, 0
	v_subrev_u32_e32 v6, 55, v0
	v_add_u32_e32 v7, 0x378, v7
	s_movk_i32 s10, 0x710
	s_mov_b64 s[2:3], 0
.LBB57_24:                              ; =>This Inner Loop Header: Depth=1
	v_add_u32_e32 v76, -8, v7
	scratch_load_dwordx4 v[184:187], v76, off
	v_mov_b32_e32 v76, s10
	ds_read_b128 v[188:191], v76
	v_add_u32_e32 v6, -1, v6
	s_add_i32 s10, s10, 16
	v_cmp_eq_u32_e32 vcc, 0, v6
	v_add_u32_e32 v7, 16, v7
	s_or_b64 s[2:3], vcc, s[2:3]
	s_waitcnt vmcnt(0) lgkmcnt(0)
	v_mul_f64 v[76:77], v[190:191], v[186:187]
	v_mul_f64 v[78:79], v[188:189], v[186:187]
	v_fma_f64 v[76:77], v[188:189], v[184:185], -v[76:77]
	v_fmac_f64_e32 v[78:79], v[190:191], v[184:185]
	v_add_f64 v[2:3], v[2:3], v[76:77]
	v_add_f64 v[4:5], v[4:5], v[78:79]
	s_andn2_b64 exec, exec, s[2:3]
	s_cbranch_execnz .LBB57_24
; %bb.25:
	s_or_b64 exec, exec, s[2:3]
.LBB57_26:
	s_or_b64 exec, exec, s[8:9]
	v_mov_b32_e32 v6, 0
	ds_read_b128 v[184:187], v6 offset:864
	s_waitcnt lgkmcnt(0)
	v_mul_f64 v[6:7], v[4:5], v[186:187]
	v_mul_f64 v[188:189], v[2:3], v[186:187]
	v_fma_f64 v[186:187], v[2:3], v[184:185], -v[6:7]
	v_fmac_f64_e32 v[188:189], v[4:5], v[184:185]
	scratch_store_dwordx4 off, v[186:189], off offset:864
.LBB57_27:
	s_or_b64 exec, exec, s[4:5]
	scratch_load_dwordx4 v[2:5], v134, off
	v_cmp_lt_u32_e64 s[2:3], 53, v0
	s_waitcnt vmcnt(0)
	ds_write_b128 v9, v[2:5]
	s_waitcnt lgkmcnt(0)
	; wave barrier
	s_waitcnt lgkmcnt(0)
	s_and_saveexec_b64 s[4:5], s[2:3]
	s_cbranch_execz .LBB57_35
; %bb.28:
	ds_read_b128 v[2:5], v9
	s_andn2_b64 vcc, exec, s[6:7]
	s_cbranch_vccnz .LBB57_30
; %bb.29:
	scratch_load_dwordx4 v[184:187], v8, off
	s_waitcnt vmcnt(0) lgkmcnt(0)
	v_mul_f64 v[76:77], v[2:3], v[186:187]
	v_mul_f64 v[6:7], v[4:5], v[186:187]
	v_fmac_f64_e32 v[76:77], v[4:5], v[184:185]
	v_fma_f64 v[2:3], v[2:3], v[184:185], -v[6:7]
	v_mov_b64_e32 v[4:5], v[76:77]
.LBB57_30:
	s_and_saveexec_b64 s[8:9], s[0:1]
	s_cbranch_execz .LBB57_34
; %bb.31:
	v_mov_b32_e32 v7, 0
	v_subrev_u32_e32 v6, 54, v0
	v_add_u32_e32 v7, 0x368, v7
	s_movk_i32 s10, 0x700
	s_mov_b64 s[0:1], 0
.LBB57_32:                              ; =>This Inner Loop Header: Depth=1
	v_add_u32_e32 v76, -8, v7
	scratch_load_dwordx4 v[184:187], v76, off
	v_mov_b32_e32 v76, s10
	ds_read_b128 v[188:191], v76
	v_add_u32_e32 v6, -1, v6
	s_add_i32 s10, s10, 16
	v_cmp_eq_u32_e32 vcc, 0, v6
	v_add_u32_e32 v7, 16, v7
	s_or_b64 s[0:1], vcc, s[0:1]
	s_waitcnt vmcnt(0) lgkmcnt(0)
	v_mul_f64 v[76:77], v[190:191], v[186:187]
	v_mul_f64 v[78:79], v[188:189], v[186:187]
	v_fma_f64 v[76:77], v[188:189], v[184:185], -v[76:77]
	v_fmac_f64_e32 v[78:79], v[190:191], v[184:185]
	v_add_f64 v[2:3], v[2:3], v[76:77]
	v_add_f64 v[4:5], v[4:5], v[78:79]
	s_andn2_b64 exec, exec, s[0:1]
	s_cbranch_execnz .LBB57_32
; %bb.33:
	s_or_b64 exec, exec, s[0:1]
.LBB57_34:
	s_or_b64 exec, exec, s[8:9]
	v_mov_b32_e32 v6, 0
	ds_read_b128 v[184:187], v6 offset:848
	s_waitcnt lgkmcnt(0)
	v_mul_f64 v[6:7], v[4:5], v[186:187]
	v_mul_f64 v[188:189], v[2:3], v[186:187]
	v_fma_f64 v[186:187], v[2:3], v[184:185], -v[6:7]
	v_fmac_f64_e32 v[188:189], v[4:5], v[184:185]
	scratch_store_dwordx4 off, v[186:189], off offset:848
.LBB57_35:
	;; [unrolled: 63-line block ×10, first 2 shown]
	s_or_b64 exec, exec, s[4:5]
	scratch_load_dwordx4 v[2:5], v86, off
	v_cmp_lt_u32_e64 s[0:1], 44, v0
	s_waitcnt vmcnt(0)
	ds_write_b128 v9, v[2:5]
	s_waitcnt lgkmcnt(0)
	; wave barrier
	s_waitcnt lgkmcnt(0)
	s_and_saveexec_b64 s[4:5], s[0:1]
	s_cbranch_execz .LBB57_107
; %bb.100:
	ds_read_b128 v[2:5], v9
	s_andn2_b64 vcc, exec, s[6:7]
	s_cbranch_vccnz .LBB57_102
; %bb.101:
	scratch_load_dwordx4 v[184:187], v8, off
	s_waitcnt vmcnt(0) lgkmcnt(0)
	v_mul_f64 v[76:77], v[2:3], v[186:187]
	v_mul_f64 v[6:7], v[4:5], v[186:187]
	v_fmac_f64_e32 v[76:77], v[4:5], v[184:185]
	v_fma_f64 v[2:3], v[2:3], v[184:185], -v[6:7]
	v_mov_b64_e32 v[4:5], v[76:77]
.LBB57_102:
	s_and_saveexec_b64 s[8:9], s[2:3]
	s_cbranch_execz .LBB57_106
; %bb.103:
	v_mov_b32_e32 v7, 0
	v_subrev_u32_e32 v6, 45, v0
	v_add_u32_e32 v7, 0x2d8, v7
	s_movk_i32 s10, 0x670
	s_mov_b64 s[2:3], 0
.LBB57_104:                             ; =>This Inner Loop Header: Depth=1
	v_add_u32_e32 v76, -8, v7
	scratch_load_dwordx4 v[184:187], v76, off
	v_mov_b32_e32 v76, s10
	ds_read_b128 v[188:191], v76
	v_add_u32_e32 v6, -1, v6
	s_add_i32 s10, s10, 16
	v_cmp_eq_u32_e32 vcc, 0, v6
	v_add_u32_e32 v7, 16, v7
	s_or_b64 s[2:3], vcc, s[2:3]
	s_waitcnt vmcnt(0) lgkmcnt(0)
	v_mul_f64 v[76:77], v[190:191], v[186:187]
	v_mul_f64 v[78:79], v[188:189], v[186:187]
	v_fma_f64 v[76:77], v[188:189], v[184:185], -v[76:77]
	v_fmac_f64_e32 v[78:79], v[190:191], v[184:185]
	v_add_f64 v[2:3], v[2:3], v[76:77]
	v_add_f64 v[4:5], v[4:5], v[78:79]
	s_andn2_b64 exec, exec, s[2:3]
	s_cbranch_execnz .LBB57_104
; %bb.105:
	s_or_b64 exec, exec, s[2:3]
.LBB57_106:
	s_or_b64 exec, exec, s[8:9]
	v_mov_b32_e32 v6, 0
	ds_read_b128 v[184:187], v6 offset:704
	s_waitcnt lgkmcnt(0)
	v_mul_f64 v[6:7], v[4:5], v[186:187]
	v_mul_f64 v[188:189], v[2:3], v[186:187]
	v_fma_f64 v[186:187], v[2:3], v[184:185], -v[6:7]
	v_fmac_f64_e32 v[188:189], v[4:5], v[184:185]
	scratch_store_dwordx4 off, v[186:189], off offset:704
.LBB57_107:
	s_or_b64 exec, exec, s[4:5]
	scratch_load_dwordx4 v[2:5], v87, off
	v_cmp_lt_u32_e64 s[2:3], 43, v0
	s_waitcnt vmcnt(0)
	ds_write_b128 v9, v[2:5]
	s_waitcnt lgkmcnt(0)
	; wave barrier
	s_waitcnt lgkmcnt(0)
	s_and_saveexec_b64 s[4:5], s[2:3]
	s_cbranch_execz .LBB57_115
; %bb.108:
	ds_read_b128 v[2:5], v9
	s_andn2_b64 vcc, exec, s[6:7]
	s_cbranch_vccnz .LBB57_110
; %bb.109:
	scratch_load_dwordx4 v[184:187], v8, off
	s_waitcnt vmcnt(0) lgkmcnt(0)
	v_mul_f64 v[76:77], v[2:3], v[186:187]
	v_mul_f64 v[6:7], v[4:5], v[186:187]
	v_fmac_f64_e32 v[76:77], v[4:5], v[184:185]
	v_fma_f64 v[2:3], v[2:3], v[184:185], -v[6:7]
	v_mov_b64_e32 v[4:5], v[76:77]
.LBB57_110:
	s_and_saveexec_b64 s[8:9], s[0:1]
	s_cbranch_execz .LBB57_114
; %bb.111:
	v_mov_b32_e32 v7, 0
	v_subrev_u32_e32 v6, 44, v0
	v_add_u32_e32 v7, 0x2c8, v7
	s_movk_i32 s10, 0x660
	s_mov_b64 s[0:1], 0
.LBB57_112:                             ; =>This Inner Loop Header: Depth=1
	v_add_u32_e32 v76, -8, v7
	scratch_load_dwordx4 v[184:187], v76, off
	v_mov_b32_e32 v76, s10
	ds_read_b128 v[188:191], v76
	v_add_u32_e32 v6, -1, v6
	s_add_i32 s10, s10, 16
	v_cmp_eq_u32_e32 vcc, 0, v6
	v_add_u32_e32 v7, 16, v7
	s_or_b64 s[0:1], vcc, s[0:1]
	s_waitcnt vmcnt(0) lgkmcnt(0)
	v_mul_f64 v[76:77], v[190:191], v[186:187]
	v_mul_f64 v[78:79], v[188:189], v[186:187]
	v_fma_f64 v[76:77], v[188:189], v[184:185], -v[76:77]
	v_fmac_f64_e32 v[78:79], v[190:191], v[184:185]
	v_add_f64 v[2:3], v[2:3], v[76:77]
	v_add_f64 v[4:5], v[4:5], v[78:79]
	s_andn2_b64 exec, exec, s[0:1]
	s_cbranch_execnz .LBB57_112
; %bb.113:
	s_or_b64 exec, exec, s[0:1]
.LBB57_114:
	s_or_b64 exec, exec, s[8:9]
	v_mov_b32_e32 v6, 0
	ds_read_b128 v[184:187], v6 offset:688
	s_waitcnt lgkmcnt(0)
	v_mul_f64 v[6:7], v[4:5], v[186:187]
	v_mul_f64 v[188:189], v[2:3], v[186:187]
	v_fma_f64 v[186:187], v[2:3], v[184:185], -v[6:7]
	v_fmac_f64_e32 v[188:189], v[4:5], v[184:185]
	scratch_store_dwordx4 off, v[186:189], off offset:688
.LBB57_115:
	;; [unrolled: 63-line block ×29, first 2 shown]
	s_or_b64 exec, exec, s[4:5]
	scratch_load_dwordx4 v[2:5], v168, off
	v_cmp_lt_u32_e64 s[2:3], 15, v0
	s_waitcnt vmcnt(0)
	ds_write_b128 v9, v[2:5]
	s_waitcnt lgkmcnt(0)
	; wave barrier
	s_waitcnt lgkmcnt(0)
	s_and_saveexec_b64 s[4:5], s[2:3]
	s_cbranch_execz .LBB57_339
; %bb.332:
	ds_read_b128 v[2:5], v9
	s_andn2_b64 vcc, exec, s[6:7]
	s_cbranch_vccnz .LBB57_334
; %bb.333:
	scratch_load_dwordx4 v[184:187], v8, off
	s_waitcnt vmcnt(0) lgkmcnt(0)
	v_mul_f64 v[76:77], v[2:3], v[186:187]
	v_mul_f64 v[6:7], v[4:5], v[186:187]
	v_fmac_f64_e32 v[76:77], v[4:5], v[184:185]
	v_fma_f64 v[2:3], v[2:3], v[184:185], -v[6:7]
	v_mov_b64_e32 v[4:5], v[76:77]
.LBB57_334:
	s_and_saveexec_b64 s[8:9], s[0:1]
	s_cbranch_execz .LBB57_338
; %bb.335:
	v_mov_b32_e32 v7, 0
	v_add_u32_e32 v6, -16, v0
	v_add_u32_e32 v7, 0x108, v7
	s_movk_i32 s10, 0x4a0
	s_mov_b64 s[0:1], 0
.LBB57_336:                             ; =>This Inner Loop Header: Depth=1
	v_add_u32_e32 v76, -8, v7
	scratch_load_dwordx4 v[184:187], v76, off
	v_mov_b32_e32 v76, s10
	ds_read_b128 v[188:191], v76
	v_add_u32_e32 v6, -1, v6
	s_add_i32 s10, s10, 16
	v_cmp_eq_u32_e32 vcc, 0, v6
	v_add_u32_e32 v7, 16, v7
	s_or_b64 s[0:1], vcc, s[0:1]
	s_waitcnt vmcnt(0) lgkmcnt(0)
	v_mul_f64 v[76:77], v[190:191], v[186:187]
	v_mul_f64 v[78:79], v[188:189], v[186:187]
	v_fma_f64 v[76:77], v[188:189], v[184:185], -v[76:77]
	v_fmac_f64_e32 v[78:79], v[190:191], v[184:185]
	v_add_f64 v[2:3], v[2:3], v[76:77]
	v_add_f64 v[4:5], v[4:5], v[78:79]
	s_andn2_b64 exec, exec, s[0:1]
	s_cbranch_execnz .LBB57_336
; %bb.337:
	s_or_b64 exec, exec, s[0:1]
.LBB57_338:
	s_or_b64 exec, exec, s[8:9]
	v_mov_b32_e32 v6, 0
	ds_read_b128 v[184:187], v6 offset:240
	s_waitcnt lgkmcnt(0)
	v_mul_f64 v[6:7], v[4:5], v[186:187]
	v_mul_f64 v[188:189], v[2:3], v[186:187]
	v_fma_f64 v[186:187], v[2:3], v[184:185], -v[6:7]
	v_fmac_f64_e32 v[188:189], v[4:5], v[184:185]
	scratch_store_dwordx4 off, v[186:189], off offset:240
.LBB57_339:
	s_or_b64 exec, exec, s[4:5]
	scratch_load_dwordx4 v[2:5], v169, off
	v_cmp_lt_u32_e64 s[0:1], 14, v0
	s_waitcnt vmcnt(0)
	ds_write_b128 v9, v[2:5]
	s_waitcnt lgkmcnt(0)
	; wave barrier
	s_waitcnt lgkmcnt(0)
	s_and_saveexec_b64 s[4:5], s[0:1]
	s_cbranch_execz .LBB57_347
; %bb.340:
	ds_read_b128 v[2:5], v9
	s_andn2_b64 vcc, exec, s[6:7]
	s_cbranch_vccnz .LBB57_342
; %bb.341:
	scratch_load_dwordx4 v[184:187], v8, off
	s_waitcnt vmcnt(0) lgkmcnt(0)
	v_mul_f64 v[76:77], v[2:3], v[186:187]
	v_mul_f64 v[6:7], v[4:5], v[186:187]
	v_fmac_f64_e32 v[76:77], v[4:5], v[184:185]
	v_fma_f64 v[2:3], v[2:3], v[184:185], -v[6:7]
	v_mov_b64_e32 v[4:5], v[76:77]
.LBB57_342:
	s_and_saveexec_b64 s[8:9], s[2:3]
	s_cbranch_execz .LBB57_346
; %bb.343:
	v_mov_b32_e32 v7, 0
	v_add_u32_e32 v6, -15, v0
	v_add_u32_e32 v7, 0xf8, v7
	s_movk_i32 s10, 0x490
	s_mov_b64 s[2:3], 0
.LBB57_344:                             ; =>This Inner Loop Header: Depth=1
	v_add_u32_e32 v76, -8, v7
	scratch_load_dwordx4 v[184:187], v76, off
	v_mov_b32_e32 v76, s10
	ds_read_b128 v[188:191], v76
	v_add_u32_e32 v6, -1, v6
	s_add_i32 s10, s10, 16
	v_cmp_eq_u32_e32 vcc, 0, v6
	v_add_u32_e32 v7, 16, v7
	s_or_b64 s[2:3], vcc, s[2:3]
	s_waitcnt vmcnt(0) lgkmcnt(0)
	v_mul_f64 v[76:77], v[190:191], v[186:187]
	v_mul_f64 v[78:79], v[188:189], v[186:187]
	v_fma_f64 v[76:77], v[188:189], v[184:185], -v[76:77]
	v_fmac_f64_e32 v[78:79], v[190:191], v[184:185]
	v_add_f64 v[2:3], v[2:3], v[76:77]
	v_add_f64 v[4:5], v[4:5], v[78:79]
	s_andn2_b64 exec, exec, s[2:3]
	s_cbranch_execnz .LBB57_344
; %bb.345:
	s_or_b64 exec, exec, s[2:3]
.LBB57_346:
	s_or_b64 exec, exec, s[8:9]
	v_mov_b32_e32 v6, 0
	ds_read_b128 v[184:187], v6 offset:224
	s_waitcnt lgkmcnt(0)
	v_mul_f64 v[6:7], v[4:5], v[186:187]
	v_mul_f64 v[188:189], v[2:3], v[186:187]
	v_fma_f64 v[186:187], v[2:3], v[184:185], -v[6:7]
	v_fmac_f64_e32 v[188:189], v[4:5], v[184:185]
	scratch_store_dwordx4 off, v[186:189], off offset:224
.LBB57_347:
	;; [unrolled: 63-line block ×15, first 2 shown]
	s_or_b64 exec, exec, s[2:3]
	scratch_load_dwordx4 v[2:5], off, off
	v_cmp_ne_u32_e32 vcc, 0, v0
	s_mov_b64 s[2:3], 0
	s_mov_b64 s[4:5], 0
                                        ; implicit-def: $vgpr6_vgpr7
                                        ; implicit-def: $vgpr183
	s_waitcnt vmcnt(0)
	ds_write_b128 v9, v[2:5]
	s_waitcnt lgkmcnt(0)
	; wave barrier
	s_waitcnt lgkmcnt(0)
	s_and_saveexec_b64 s[8:9], vcc
	s_cbranch_execz .LBB57_459
; %bb.452:
	ds_read_b128 v[2:5], v9
	s_andn2_b64 vcc, exec, s[6:7]
	s_cbranch_vccnz .LBB57_454
; %bb.453:
	scratch_load_dwordx4 v[184:187], v8, off
	s_waitcnt vmcnt(0) lgkmcnt(0)
	v_mul_f64 v[76:77], v[2:3], v[186:187]
	v_mul_f64 v[6:7], v[4:5], v[186:187]
	v_fmac_f64_e32 v[76:77], v[4:5], v[184:185]
	v_fma_f64 v[2:3], v[2:3], v[184:185], -v[6:7]
	v_mov_b64_e32 v[4:5], v[76:77]
.LBB57_454:
	s_and_saveexec_b64 s[4:5], s[0:1]
	s_cbranch_execz .LBB57_458
; %bb.455:
	v_mov_b32_e32 v7, 0
	v_add_u32_e32 v6, -1, v0
	v_add_u32_e32 v7, 24, v7
	s_movk_i32 s10, 0x3b0
	s_mov_b64 s[0:1], 0
.LBB57_456:                             ; =>This Inner Loop Header: Depth=1
	v_add_u32_e32 v76, -8, v7
	scratch_load_dwordx4 v[184:187], v76, off
	v_mov_b32_e32 v76, s10
	ds_read_b128 v[188:191], v76
	v_add_u32_e32 v6, -1, v6
	s_add_i32 s10, s10, 16
	v_cmp_eq_u32_e32 vcc, 0, v6
	v_add_u32_e32 v7, 16, v7
	s_or_b64 s[0:1], vcc, s[0:1]
	s_waitcnt vmcnt(0) lgkmcnt(0)
	v_mul_f64 v[76:77], v[190:191], v[186:187]
	v_mul_f64 v[78:79], v[188:189], v[186:187]
	v_fma_f64 v[76:77], v[188:189], v[184:185], -v[76:77]
	v_fmac_f64_e32 v[78:79], v[190:191], v[184:185]
	v_add_f64 v[2:3], v[2:3], v[76:77]
	v_add_f64 v[4:5], v[4:5], v[78:79]
	s_andn2_b64 exec, exec, s[0:1]
	s_cbranch_execnz .LBB57_456
; %bb.457:
	s_or_b64 exec, exec, s[0:1]
.LBB57_458:
	s_or_b64 exec, exec, s[4:5]
	v_mov_b32_e32 v6, 0
	ds_read_b128 v[184:187], v6
	v_mov_b32_e32 v6, 0
	v_or_b32_e32 v183, 8, v6
	s_mov_b64 s[4:5], exec
	s_waitcnt lgkmcnt(0)
	v_mul_f64 v[76:77], v[4:5], v[186:187]
	v_mul_f64 v[6:7], v[2:3], v[186:187]
	v_fma_f64 v[2:3], v[2:3], v[184:185], -v[76:77]
	v_fmac_f64_e32 v[6:7], v[4:5], v[184:185]
	scratch_store_dwordx2 off, v[2:3], off
.LBB57_459:
	s_or_b64 exec, exec, s[8:9]
	s_and_b64 vcc, exec, s[2:3]
	s_cbranch_vccnz .LBB57_461
	s_branch .LBB57_912
.LBB57_460:
	s_mov_b64 s[4:5], 0
                                        ; implicit-def: $vgpr6_vgpr7
                                        ; implicit-def: $vgpr183
	s_cbranch_execz .LBB57_912
.LBB57_461:
	scratch_load_dwordx4 v[2:5], v182, off
	v_cndmask_b32_e64 v6, 0, 1, s[6:7]
	v_cmp_eq_u32_e64 s[2:3], 0, v0
	v_cmp_ne_u32_e64 s[0:1], 1, v6
	s_waitcnt vmcnt(0)
	ds_write_b128 v9, v[2:5]
	s_waitcnt lgkmcnt(0)
	; wave barrier
	s_waitcnt lgkmcnt(0)
	s_and_saveexec_b64 s[6:7], s[2:3]
	s_cbranch_execz .LBB57_465
; %bb.462:
	ds_read_b128 v[2:5], v9
	s_and_b64 vcc, exec, s[0:1]
	s_cbranch_vccnz .LBB57_464
; %bb.463:
	scratch_load_dwordx4 v[184:187], v8, off
	s_waitcnt vmcnt(0) lgkmcnt(0)
	v_mul_f64 v[76:77], v[2:3], v[186:187]
	v_mul_f64 v[6:7], v[4:5], v[186:187]
	v_fmac_f64_e32 v[76:77], v[4:5], v[184:185]
	v_fma_f64 v[2:3], v[2:3], v[184:185], -v[6:7]
	v_mov_b64_e32 v[4:5], v[76:77]
.LBB57_464:
	v_mov_b32_e32 v6, 0
	ds_read_b128 v[184:187], v6 offset:16
	s_waitcnt lgkmcnt(0)
	v_mul_f64 v[6:7], v[4:5], v[186:187]
	v_mul_f64 v[188:189], v[2:3], v[186:187]
	v_fma_f64 v[186:187], v[2:3], v[184:185], -v[6:7]
	v_fmac_f64_e32 v[188:189], v[4:5], v[184:185]
	scratch_store_dwordx4 off, v[186:189], off offset:16
.LBB57_465:
	s_or_b64 exec, exec, s[6:7]
	scratch_load_dwordx4 v[2:5], v181, off
	v_cmp_gt_u32_e32 vcc, 2, v0
	s_waitcnt vmcnt(0)
	ds_write_b128 v9, v[2:5]
	s_waitcnt lgkmcnt(0)
	; wave barrier
	s_waitcnt lgkmcnt(0)
	s_and_saveexec_b64 s[6:7], vcc
	s_cbranch_execz .LBB57_471
; %bb.466:
	ds_read_b128 v[2:5], v9
	s_and_b64 vcc, exec, s[0:1]
	s_cbranch_vccnz .LBB57_468
; %bb.467:
	scratch_load_dwordx4 v[184:187], v8, off
	s_waitcnt vmcnt(0) lgkmcnt(0)
	v_mul_f64 v[76:77], v[2:3], v[186:187]
	v_mul_f64 v[6:7], v[4:5], v[186:187]
	v_fmac_f64_e32 v[76:77], v[4:5], v[184:185]
	v_fma_f64 v[2:3], v[2:3], v[184:185], -v[6:7]
	v_mov_b64_e32 v[4:5], v[76:77]
.LBB57_468:
	s_and_saveexec_b64 s[8:9], s[2:3]
	s_cbranch_execz .LBB57_470
; %bb.469:
	scratch_load_dwordx4 v[184:187], v8, off offset:16
	ds_read_b128 v[188:191], v9 offset:16
	s_waitcnt vmcnt(0) lgkmcnt(0)
	v_mul_f64 v[6:7], v[190:191], v[186:187]
	v_mul_f64 v[76:77], v[188:189], v[186:187]
	v_fma_f64 v[6:7], v[188:189], v[184:185], -v[6:7]
	v_fmac_f64_e32 v[76:77], v[190:191], v[184:185]
	v_add_f64 v[2:3], v[2:3], v[6:7]
	v_add_f64 v[4:5], v[4:5], v[76:77]
.LBB57_470:
	s_or_b64 exec, exec, s[8:9]
	v_mov_b32_e32 v6, 0
	ds_read_b128 v[184:187], v6 offset:32
	s_waitcnt lgkmcnt(0)
	v_mul_f64 v[6:7], v[4:5], v[186:187]
	v_mul_f64 v[188:189], v[2:3], v[186:187]
	v_fma_f64 v[186:187], v[2:3], v[184:185], -v[6:7]
	v_fmac_f64_e32 v[188:189], v[4:5], v[184:185]
	scratch_store_dwordx4 off, v[186:189], off offset:32
.LBB57_471:
	s_or_b64 exec, exec, s[6:7]
	scratch_load_dwordx4 v[2:5], v180, off
	v_cmp_gt_u32_e32 vcc, 3, v0
	s_waitcnt vmcnt(0)
	ds_write_b128 v9, v[2:5]
	s_waitcnt lgkmcnt(0)
	; wave barrier
	s_waitcnt lgkmcnt(0)
	s_and_saveexec_b64 s[6:7], vcc
	s_cbranch_execz .LBB57_479
; %bb.472:
	ds_read_b128 v[2:5], v9
	s_and_b64 vcc, exec, s[0:1]
	s_cbranch_vccnz .LBB57_474
; %bb.473:
	scratch_load_dwordx4 v[184:187], v8, off
	s_waitcnt vmcnt(0) lgkmcnt(0)
	v_mul_f64 v[76:77], v[2:3], v[186:187]
	v_mul_f64 v[6:7], v[4:5], v[186:187]
	v_fmac_f64_e32 v[76:77], v[4:5], v[184:185]
	v_fma_f64 v[2:3], v[2:3], v[184:185], -v[6:7]
	v_mov_b64_e32 v[4:5], v[76:77]
.LBB57_474:
	v_cmp_ne_u32_e32 vcc, 2, v0
	s_and_saveexec_b64 s[8:9], vcc
	s_cbranch_execz .LBB57_478
; %bb.475:
	scratch_load_dwordx4 v[184:187], v8, off offset:16
	ds_read_b128 v[188:191], v9 offset:16
	s_waitcnt vmcnt(0) lgkmcnt(0)
	v_mul_f64 v[6:7], v[190:191], v[186:187]
	v_mul_f64 v[76:77], v[188:189], v[186:187]
	v_fma_f64 v[6:7], v[188:189], v[184:185], -v[6:7]
	v_fmac_f64_e32 v[76:77], v[190:191], v[184:185]
	v_add_f64 v[2:3], v[2:3], v[6:7]
	v_add_f64 v[4:5], v[4:5], v[76:77]
	s_and_saveexec_b64 s[10:11], s[2:3]
	s_cbranch_execz .LBB57_477
; %bb.476:
	scratch_load_dwordx4 v[184:187], off, off offset:32
	v_mov_b32_e32 v6, 0
	ds_read_b128 v[188:191], v6 offset:960
	s_waitcnt vmcnt(0) lgkmcnt(0)
	v_mul_f64 v[6:7], v[188:189], v[186:187]
	v_mul_f64 v[76:77], v[190:191], v[186:187]
	v_fmac_f64_e32 v[6:7], v[190:191], v[184:185]
	v_fma_f64 v[76:77], v[188:189], v[184:185], -v[76:77]
	v_add_f64 v[4:5], v[4:5], v[6:7]
	v_add_f64 v[2:3], v[2:3], v[76:77]
.LBB57_477:
	s_or_b64 exec, exec, s[10:11]
.LBB57_478:
	s_or_b64 exec, exec, s[8:9]
	v_mov_b32_e32 v6, 0
	ds_read_b128 v[184:187], v6 offset:48
	s_waitcnt lgkmcnt(0)
	v_mul_f64 v[6:7], v[4:5], v[186:187]
	v_mul_f64 v[188:189], v[2:3], v[186:187]
	v_fma_f64 v[186:187], v[2:3], v[184:185], -v[6:7]
	v_fmac_f64_e32 v[188:189], v[4:5], v[184:185]
	scratch_store_dwordx4 off, v[186:189], off offset:48
.LBB57_479:
	s_or_b64 exec, exec, s[6:7]
	scratch_load_dwordx4 v[2:5], v179, off
	v_cmp_gt_u32_e32 vcc, 4, v0
	s_waitcnt vmcnt(0)
	ds_write_b128 v9, v[2:5]
	s_waitcnt lgkmcnt(0)
	; wave barrier
	s_waitcnt lgkmcnt(0)
	s_and_saveexec_b64 s[2:3], vcc
	s_cbranch_execz .LBB57_487
; %bb.480:
	ds_read_b128 v[2:5], v9
	s_and_b64 vcc, exec, s[0:1]
	s_cbranch_vccnz .LBB57_482
; %bb.481:
	scratch_load_dwordx4 v[184:187], v8, off
	s_waitcnt vmcnt(0) lgkmcnt(0)
	v_mul_f64 v[76:77], v[2:3], v[186:187]
	v_mul_f64 v[6:7], v[4:5], v[186:187]
	v_fmac_f64_e32 v[76:77], v[4:5], v[184:185]
	v_fma_f64 v[2:3], v[2:3], v[184:185], -v[6:7]
	v_mov_b64_e32 v[4:5], v[76:77]
.LBB57_482:
	v_cmp_ne_u32_e32 vcc, 3, v0
	s_and_saveexec_b64 s[6:7], vcc
	s_cbranch_execz .LBB57_486
; %bb.483:
	v_mov_b32_e32 v7, 0
	v_add_u32_e32 v6, 0x3b0, v152
	v_add3_u32 v7, v152, v7, 24
	s_mov_b64 s[8:9], 0
	v_mov_b32_e32 v183, v0
.LBB57_484:                             ; =>This Inner Loop Header: Depth=1
	v_add_u32_e32 v76, -8, v7
	scratch_load_dwordx4 v[184:187], v76, off
	ds_read_b128 v[188:191], v6
	v_add_u32_e32 v183, 1, v183
	v_cmp_lt_u32_e32 vcc, 2, v183
	v_add_u32_e32 v6, 16, v6
	v_add_u32_e32 v7, 16, v7
	s_or_b64 s[8:9], vcc, s[8:9]
	s_waitcnt vmcnt(0) lgkmcnt(0)
	v_mul_f64 v[76:77], v[190:191], v[186:187]
	v_mul_f64 v[78:79], v[188:189], v[186:187]
	v_fma_f64 v[76:77], v[188:189], v[184:185], -v[76:77]
	v_fmac_f64_e32 v[78:79], v[190:191], v[184:185]
	v_add_f64 v[2:3], v[2:3], v[76:77]
	v_add_f64 v[4:5], v[4:5], v[78:79]
	s_andn2_b64 exec, exec, s[8:9]
	s_cbranch_execnz .LBB57_484
; %bb.485:
	s_or_b64 exec, exec, s[8:9]
.LBB57_486:
	s_or_b64 exec, exec, s[6:7]
	v_mov_b32_e32 v6, 0
	ds_read_b128 v[184:187], v6 offset:64
	s_waitcnt lgkmcnt(0)
	v_mul_f64 v[6:7], v[4:5], v[186:187]
	v_mul_f64 v[188:189], v[2:3], v[186:187]
	v_fma_f64 v[186:187], v[2:3], v[184:185], -v[6:7]
	v_fmac_f64_e32 v[188:189], v[4:5], v[184:185]
	scratch_store_dwordx4 off, v[186:189], off offset:64
.LBB57_487:
	s_or_b64 exec, exec, s[2:3]
	scratch_load_dwordx4 v[2:5], v178, off
	v_cmp_gt_u32_e32 vcc, 5, v0
	s_waitcnt vmcnt(0)
	ds_write_b128 v9, v[2:5]
	s_waitcnt lgkmcnt(0)
	; wave barrier
	s_waitcnt lgkmcnt(0)
	s_and_saveexec_b64 s[2:3], vcc
	s_cbranch_execz .LBB57_495
; %bb.488:
	ds_read_b128 v[2:5], v9
	s_and_b64 vcc, exec, s[0:1]
	s_cbranch_vccnz .LBB57_490
; %bb.489:
	scratch_load_dwordx4 v[184:187], v8, off
	s_waitcnt vmcnt(0) lgkmcnt(0)
	v_mul_f64 v[76:77], v[2:3], v[186:187]
	v_mul_f64 v[6:7], v[4:5], v[186:187]
	v_fmac_f64_e32 v[76:77], v[4:5], v[184:185]
	v_fma_f64 v[2:3], v[2:3], v[184:185], -v[6:7]
	v_mov_b64_e32 v[4:5], v[76:77]
.LBB57_490:
	v_cmp_ne_u32_e32 vcc, 4, v0
	s_and_saveexec_b64 s[6:7], vcc
	s_cbranch_execz .LBB57_494
; %bb.491:
	v_mov_b32_e32 v7, 0
	v_add_u32_e32 v6, 0x3b0, v152
	v_add3_u32 v7, v152, v7, 24
	s_mov_b64 s[8:9], 0
	v_mov_b32_e32 v183, v0
.LBB57_492:                             ; =>This Inner Loop Header: Depth=1
	v_add_u32_e32 v76, -8, v7
	scratch_load_dwordx4 v[184:187], v76, off
	ds_read_b128 v[188:191], v6
	v_add_u32_e32 v183, 1, v183
	v_cmp_lt_u32_e32 vcc, 3, v183
	v_add_u32_e32 v6, 16, v6
	v_add_u32_e32 v7, 16, v7
	s_or_b64 s[8:9], vcc, s[8:9]
	s_waitcnt vmcnt(0) lgkmcnt(0)
	v_mul_f64 v[76:77], v[190:191], v[186:187]
	v_mul_f64 v[78:79], v[188:189], v[186:187]
	v_fma_f64 v[76:77], v[188:189], v[184:185], -v[76:77]
	v_fmac_f64_e32 v[78:79], v[190:191], v[184:185]
	v_add_f64 v[2:3], v[2:3], v[76:77]
	v_add_f64 v[4:5], v[4:5], v[78:79]
	s_andn2_b64 exec, exec, s[8:9]
	s_cbranch_execnz .LBB57_492
; %bb.493:
	s_or_b64 exec, exec, s[8:9]
.LBB57_494:
	s_or_b64 exec, exec, s[6:7]
	v_mov_b32_e32 v6, 0
	ds_read_b128 v[184:187], v6 offset:80
	s_waitcnt lgkmcnt(0)
	v_mul_f64 v[6:7], v[4:5], v[186:187]
	v_mul_f64 v[188:189], v[2:3], v[186:187]
	v_fma_f64 v[186:187], v[2:3], v[184:185], -v[6:7]
	v_fmac_f64_e32 v[188:189], v[4:5], v[184:185]
	scratch_store_dwordx4 off, v[186:189], off offset:80
.LBB57_495:
	;; [unrolled: 63-line block ×52, first 2 shown]
	s_or_b64 exec, exec, s[2:3]
	scratch_load_dwordx4 v[2:5], v140, off
	v_cmp_gt_u32_e64 s[2:3], 56, v0
	s_waitcnt vmcnt(0)
	ds_write_b128 v9, v[2:5]
	s_waitcnt lgkmcnt(0)
	; wave barrier
	s_waitcnt lgkmcnt(0)
	s_and_saveexec_b64 s[6:7], s[2:3]
	s_cbranch_execz .LBB57_903
; %bb.896:
	ds_read_b128 v[2:5], v9
	s_and_b64 vcc, exec, s[0:1]
	s_cbranch_vccnz .LBB57_898
; %bb.897:
	scratch_load_dwordx4 v[184:187], v8, off
	s_waitcnt vmcnt(0) lgkmcnt(0)
	v_mul_f64 v[76:77], v[2:3], v[186:187]
	v_mul_f64 v[6:7], v[4:5], v[186:187]
	v_fmac_f64_e32 v[76:77], v[4:5], v[184:185]
	v_fma_f64 v[2:3], v[2:3], v[184:185], -v[6:7]
	v_mov_b64_e32 v[4:5], v[76:77]
.LBB57_898:
	v_cmp_ne_u32_e32 vcc, 55, v0
	s_and_saveexec_b64 s[8:9], vcc
	s_cbranch_execz .LBB57_902
; %bb.899:
	v_mov_b32_e32 v7, 0
	v_add_u32_e32 v6, 0x3b0, v152
	v_add3_u32 v7, v152, v7, 24
	s_mov_b64 s[10:11], 0
	v_mov_b32_e32 v183, v0
.LBB57_900:                             ; =>This Inner Loop Header: Depth=1
	v_add_u32_e32 v76, -8, v7
	scratch_load_dwordx4 v[184:187], v76, off
	ds_read_b128 v[188:191], v6
	v_add_u32_e32 v183, 1, v183
	v_cmp_lt_u32_e32 vcc, 54, v183
	v_add_u32_e32 v6, 16, v6
	v_add_u32_e32 v7, 16, v7
	s_or_b64 s[10:11], vcc, s[10:11]
	s_waitcnt vmcnt(0) lgkmcnt(0)
	v_mul_f64 v[76:77], v[190:191], v[186:187]
	v_mul_f64 v[78:79], v[188:189], v[186:187]
	v_fma_f64 v[76:77], v[188:189], v[184:185], -v[76:77]
	v_fmac_f64_e32 v[78:79], v[190:191], v[184:185]
	v_add_f64 v[2:3], v[2:3], v[76:77]
	v_add_f64 v[4:5], v[4:5], v[78:79]
	s_andn2_b64 exec, exec, s[10:11]
	s_cbranch_execnz .LBB57_900
; %bb.901:
	s_or_b64 exec, exec, s[10:11]
.LBB57_902:
	s_or_b64 exec, exec, s[8:9]
	v_mov_b32_e32 v6, 0
	ds_read_b128 v[184:187], v6 offset:896
	s_waitcnt lgkmcnt(0)
	v_mul_f64 v[6:7], v[4:5], v[186:187]
	v_mul_f64 v[188:189], v[2:3], v[186:187]
	v_fma_f64 v[186:187], v[2:3], v[184:185], -v[6:7]
	v_fmac_f64_e32 v[188:189], v[4:5], v[184:185]
	scratch_store_dwordx4 off, v[186:189], off offset:896
.LBB57_903:
	s_or_b64 exec, exec, s[6:7]
	scratch_load_dwordx4 v[2:5], v1, off
	v_cmp_ne_u32_e32 vcc, 57, v0
                                        ; implicit-def: $vgpr6_vgpr7
                                        ; implicit-def: $vgpr183
	s_waitcnt vmcnt(0)
	ds_write_b128 v9, v[2:5]
	s_waitcnt lgkmcnt(0)
	; wave barrier
	s_waitcnt lgkmcnt(0)
	s_and_saveexec_b64 s[6:7], vcc
	s_cbranch_execz .LBB57_911
; %bb.904:
	ds_read_b128 v[2:5], v9
	s_and_b64 vcc, exec, s[0:1]
	s_cbranch_vccnz .LBB57_906
; %bb.905:
	scratch_load_dwordx4 v[6:9], v8, off
	s_waitcnt vmcnt(0) lgkmcnt(0)
	v_mul_f64 v[76:77], v[4:5], v[8:9]
	v_mul_f64 v[8:9], v[2:3], v[8:9]
	v_fmac_f64_e32 v[8:9], v[4:5], v[6:7]
	v_fma_f64 v[2:3], v[2:3], v[6:7], -v[76:77]
	v_mov_b64_e32 v[4:5], v[8:9]
.LBB57_906:
	s_and_saveexec_b64 s[0:1], s[2:3]
	s_cbranch_execz .LBB57_910
; %bb.907:
	v_mov_b32_e32 v7, 0
	v_add_u32_e32 v6, 0x3b0, v152
	v_add3_u32 v7, v152, v7, 24
	s_mov_b64 s[2:3], 0
.LBB57_908:                             ; =>This Inner Loop Header: Depth=1
	v_add_u32_e32 v8, -8, v7
	scratch_load_dwordx4 v[184:187], v8, off
	ds_read_b128 v[188:191], v6
	v_add_u32_e32 v0, 1, v0
	v_cmp_lt_u32_e32 vcc, 55, v0
	v_add_u32_e32 v6, 16, v6
	v_add_u32_e32 v7, 16, v7
	s_or_b64 s[2:3], vcc, s[2:3]
	s_waitcnt vmcnt(0) lgkmcnt(0)
	v_mul_f64 v[8:9], v[190:191], v[186:187]
	v_mul_f64 v[76:77], v[188:189], v[186:187]
	v_fma_f64 v[8:9], v[188:189], v[184:185], -v[8:9]
	v_fmac_f64_e32 v[76:77], v[190:191], v[184:185]
	v_add_f64 v[2:3], v[2:3], v[8:9]
	v_add_f64 v[4:5], v[4:5], v[76:77]
	s_andn2_b64 exec, exec, s[2:3]
	s_cbranch_execnz .LBB57_908
; %bb.909:
	s_or_b64 exec, exec, s[2:3]
.LBB57_910:
	s_or_b64 exec, exec, s[0:1]
	v_mov_b32_e32 v0, 0
	ds_read_b128 v[184:187], v0 offset:912
	v_mov_b32_e32 v0, 0
	v_add_u32_e32 v183, 0x398, v0
	s_or_b64 s[4:5], s[4:5], exec
	s_waitcnt lgkmcnt(0)
	v_mul_f64 v[8:9], v[4:5], v[186:187]
	v_mul_f64 v[6:7], v[2:3], v[186:187]
	v_fma_f64 v[2:3], v[2:3], v[184:185], -v[8:9]
	v_fmac_f64_e32 v[6:7], v[4:5], v[184:185]
	scratch_store_dwordx2 off, v[2:3], off offset:912
.LBB57_911:
	s_or_b64 exec, exec, s[6:7]
.LBB57_912:
	s_and_saveexec_b64 s[0:1], s[4:5]
	s_cbranch_execz .LBB57_914
; %bb.913:
	scratch_store_dwordx2 v183, v[6:7], off
.LBB57_914:
	s_or_b64 exec, exec, s[0:1]
	scratch_load_dwordx4 v[2:5], off, off
	scratch_load_dwordx4 v[6:9], v182, off
	s_nop 0
	scratch_load_dwordx4 v[182:185], v181, off
	scratch_load_dwordx4 v[186:189], v180, off
	scratch_load_dwordx4 v[190:193], v179, off
	s_nop 0
	scratch_load_dwordx4 v[178:181], v178, off
	s_nop 0
	scratch_load_dwordx4 v[194:197], v177, off
	scratch_load_dwordx4 v[198:201], v176, off
	scratch_load_dwordx4 v[202:205], v175, off
	s_nop 0
	;; [unrolled: 6-line block ×5, first 2 shown]
	scratch_load_dwordx4 v[162:165], v162, off
	s_nop 0
	scratch_load_dwordx4 v[242:245], v161, off
	scratch_load_dwordx4 v[246:249], v160, off
	;; [unrolled: 1-line block ×4, first 2 shown]
	s_waitcnt vmcnt(25)
	global_store_dwordx4 v[106:107], v[2:5], off
	scratch_load_dwordx4 v[2:5], v104, off
	s_nop 0
	scratch_load_dwordx4 v[104:107], v103, off
	s_waitcnt vmcnt(27)
	global_store_dwordx4 v[108:109], v[6:9], off
	scratch_load_dwordx4 v[6:9], v102, off
	s_nop 0
	scratch_load_dwordx4 v[80:83], v101, off
	;; [unrolled: 5-line block ×12, first 2 shown]
	v_accvgpr_read_b32 v11, a1
	s_waitcnt vmcnt(49)
	global_store_dwordx4 v[130:131], v[214:217], off
	scratch_load_dwordx4 v[128:131], v254, off
	s_nop 0
	scratch_load_dwordx4 v[214:217], v138, off
	v_accvgpr_read_b32 v10, a0
	s_waitcnt vmcnt(51)
	global_store_dwordx4 v[132:133], v[170:173], off
	scratch_load_dwordx4 v[170:173], v135, off
	s_nop 0
	scratch_load_dwordx4 v[132:135], v134, off
	s_waitcnt vmcnt(53)
	global_store_dwordx4 v[10:11], v[218:221], off
	v_accvgpr_read_b32 v11, a3
	v_accvgpr_read_b32 v10, a2
	scratch_load_dwordx4 v[218:221], v137, off
	s_nop 0
	scratch_load_dwordx4 v[136:139], v136, off
	s_waitcnt vmcnt(55)
	global_store_dwordx4 v[10:11], v[222:225], off
	scratch_load_dwordx4 v[222:225], v140, off
	s_nop 0
	scratch_load_dwordx4 v[140:143], v1, off
	v_accvgpr_read_b32 v0, a4
	v_accvgpr_read_b32 v1, a5
	s_waitcnt vmcnt(57)
	global_store_dwordx4 v[0:1], v[226:229], off
	v_accvgpr_read_b32 v0, a6
	v_accvgpr_read_b32 v1, a7
	s_waitcnt vmcnt(57)
	global_store_dwordx4 v[0:1], v[166:169], off
	;; [unrolled: 4-line block ×3, first 2 shown]
	s_waitcnt vmcnt(57)
	global_store_dwordx4 v[144:145], v[234:237], off
	s_waitcnt vmcnt(57)
	global_store_dwordx4 v[146:147], v[238:241], off
	;; [unrolled: 2-line block ×39, first 2 shown]
.LBB57_915:
	s_endpgm
	.section	.rodata,"a",@progbits
	.p2align	6, 0x0
	.amdhsa_kernel _ZN9rocsolver6v33100L18trti2_kernel_smallILi58E19rocblas_complex_numIdEPS3_EEv13rocblas_fill_17rocblas_diagonal_T1_iil
		.amdhsa_group_segment_fixed_size 1856
		.amdhsa_private_segment_fixed_size 944
		.amdhsa_kernarg_size 32
		.amdhsa_user_sgpr_count 2
		.amdhsa_user_sgpr_dispatch_ptr 0
		.amdhsa_user_sgpr_queue_ptr 0
		.amdhsa_user_sgpr_kernarg_segment_ptr 1
		.amdhsa_user_sgpr_dispatch_id 0
		.amdhsa_user_sgpr_kernarg_preload_length 0
		.amdhsa_user_sgpr_kernarg_preload_offset 0
		.amdhsa_user_sgpr_private_segment_size 0
		.amdhsa_uses_dynamic_stack 0
		.amdhsa_enable_private_segment 1
		.amdhsa_system_sgpr_workgroup_id_x 1
		.amdhsa_system_sgpr_workgroup_id_y 0
		.amdhsa_system_sgpr_workgroup_id_z 0
		.amdhsa_system_sgpr_workgroup_info 0
		.amdhsa_system_vgpr_workitem_id 0
		.amdhsa_next_free_vgpr 266
		.amdhsa_next_free_sgpr 12
		.amdhsa_accum_offset 256
		.amdhsa_reserve_vcc 1
		.amdhsa_float_round_mode_32 0
		.amdhsa_float_round_mode_16_64 0
		.amdhsa_float_denorm_mode_32 3
		.amdhsa_float_denorm_mode_16_64 3
		.amdhsa_dx10_clamp 1
		.amdhsa_ieee_mode 1
		.amdhsa_fp16_overflow 0
		.amdhsa_tg_split 0
		.amdhsa_exception_fp_ieee_invalid_op 0
		.amdhsa_exception_fp_denorm_src 0
		.amdhsa_exception_fp_ieee_div_zero 0
		.amdhsa_exception_fp_ieee_overflow 0
		.amdhsa_exception_fp_ieee_underflow 0
		.amdhsa_exception_fp_ieee_inexact 0
		.amdhsa_exception_int_div_zero 0
	.end_amdhsa_kernel
	.section	.text._ZN9rocsolver6v33100L18trti2_kernel_smallILi58E19rocblas_complex_numIdEPS3_EEv13rocblas_fill_17rocblas_diagonal_T1_iil,"axG",@progbits,_ZN9rocsolver6v33100L18trti2_kernel_smallILi58E19rocblas_complex_numIdEPS3_EEv13rocblas_fill_17rocblas_diagonal_T1_iil,comdat
.Lfunc_end57:
	.size	_ZN9rocsolver6v33100L18trti2_kernel_smallILi58E19rocblas_complex_numIdEPS3_EEv13rocblas_fill_17rocblas_diagonal_T1_iil, .Lfunc_end57-_ZN9rocsolver6v33100L18trti2_kernel_smallILi58E19rocblas_complex_numIdEPS3_EEv13rocblas_fill_17rocblas_diagonal_T1_iil
                                        ; -- End function
	.section	.AMDGPU.csdata,"",@progbits
; Kernel info:
; codeLenInByte = 38484
; NumSgprs: 18
; NumVgprs: 256
; NumAgprs: 10
; TotalNumVgprs: 266
; ScratchSize: 944
; MemoryBound: 0
; FloatMode: 240
; IeeeMode: 1
; LDSByteSize: 1856 bytes/workgroup (compile time only)
; SGPRBlocks: 2
; VGPRBlocks: 33
; NumSGPRsForWavesPerEU: 18
; NumVGPRsForWavesPerEU: 266
; AccumOffset: 256
; Occupancy: 1
; WaveLimiterHint : 0
; COMPUTE_PGM_RSRC2:SCRATCH_EN: 1
; COMPUTE_PGM_RSRC2:USER_SGPR: 2
; COMPUTE_PGM_RSRC2:TRAP_HANDLER: 0
; COMPUTE_PGM_RSRC2:TGID_X_EN: 1
; COMPUTE_PGM_RSRC2:TGID_Y_EN: 0
; COMPUTE_PGM_RSRC2:TGID_Z_EN: 0
; COMPUTE_PGM_RSRC2:TIDIG_COMP_CNT: 0
; COMPUTE_PGM_RSRC3_GFX90A:ACCUM_OFFSET: 63
; COMPUTE_PGM_RSRC3_GFX90A:TG_SPLIT: 0
	.section	.text._ZN9rocsolver6v33100L18trti2_kernel_smallILi59E19rocblas_complex_numIdEPS3_EEv13rocblas_fill_17rocblas_diagonal_T1_iil,"axG",@progbits,_ZN9rocsolver6v33100L18trti2_kernel_smallILi59E19rocblas_complex_numIdEPS3_EEv13rocblas_fill_17rocblas_diagonal_T1_iil,comdat
	.globl	_ZN9rocsolver6v33100L18trti2_kernel_smallILi59E19rocblas_complex_numIdEPS3_EEv13rocblas_fill_17rocblas_diagonal_T1_iil ; -- Begin function _ZN9rocsolver6v33100L18trti2_kernel_smallILi59E19rocblas_complex_numIdEPS3_EEv13rocblas_fill_17rocblas_diagonal_T1_iil
	.p2align	8
	.type	_ZN9rocsolver6v33100L18trti2_kernel_smallILi59E19rocblas_complex_numIdEPS3_EEv13rocblas_fill_17rocblas_diagonal_T1_iil,@function
_ZN9rocsolver6v33100L18trti2_kernel_smallILi59E19rocblas_complex_numIdEPS3_EEv13rocblas_fill_17rocblas_diagonal_T1_iil: ; @_ZN9rocsolver6v33100L18trti2_kernel_smallILi59E19rocblas_complex_numIdEPS3_EEv13rocblas_fill_17rocblas_diagonal_T1_iil
; %bb.0:
	v_cmp_gt_u32_e32 vcc, 59, v0
	s_and_saveexec_b64 s[4:5], vcc
	s_cbranch_execz .LBB58_931
; %bb.1:
	s_load_dwordx8 s[4:11], s[0:1], 0x0
	s_ashr_i32 s3, s2, 31
	v_lshlrev_b32_e32 v68, 4, v0
	v_mov_b32_e32 v69, 0
	v_mov_b32_e32 v1, 0
	s_waitcnt lgkmcnt(0)
	s_ashr_i32 s1, s8, 31
	s_mov_b32 s0, s8
	s_mul_i32 s8, s2, s11
	s_mul_hi_u32 s11, s2, s10
	s_add_i32 s8, s11, s8
	s_mul_i32 s3, s3, s10
	s_add_i32 s3, s8, s3
	s_mul_i32 s2, s2, s10
	s_lshl_b64 s[2:3], s[2:3], 4
	s_add_u32 s2, s6, s2
	s_addc_u32 s3, s7, s3
	s_lshl_b64 s[0:1], s[0:1], 4
	s_add_u32 s0, s2, s0
	s_addc_u32 s1, s3, s1
	v_lshl_add_u64 v[12:13], s[0:1], 0, v[68:69]
	s_ashr_i32 s3, s9, 31
	s_mov_b32 s2, s9
	v_lshl_add_u64 v[14:15], s[2:3], 4, v[12:13]
	s_add_i32 s2, s9, s9
	v_add_u32_e32 v10, s2, v0
	v_ashrrev_i32_e32 v11, 31, v10
	v_lshl_add_u64 v[16:17], v[10:11], 4, s[0:1]
	v_add_u32_e32 v10, s9, v10
	v_ashrrev_i32_e32 v11, 31, v10
	v_lshl_add_u64 v[18:19], v[10:11], 4, s[0:1]
	;; [unrolled: 3-line block ×6, first 2 shown]
	v_add_u32_e32 v10, s9, v10
	v_ashrrev_i32_e32 v11, 31, v10
	v_add_u32_e32 v30, s9, v10
	v_lshl_add_u64 v[28:29], v[10:11], 4, s[0:1]
	v_add_u32_e32 v10, s9, v30
	v_ashrrev_i32_e32 v11, 31, v10
	v_add_u32_e32 v34, s9, v10
	v_lshl_add_u64 v[32:33], v[10:11], 4, s[0:1]
	;; [unrolled: 4-line block ×3, first 2 shown]
	v_add_u32_e32 v10, s9, v40
	v_ashrrev_i32_e32 v41, 31, v40
	v_ashrrev_i32_e32 v11, 31, v10
	v_add_u32_e32 v42, s9, v10
	v_lshl_add_u64 v[38:39], v[40:41], 4, s[0:1]
	v_lshl_add_u64 v[40:41], v[10:11], 4, s[0:1]
	v_add_u32_e32 v10, s9, v42
	v_ashrrev_i32_e32 v11, 31, v10
	v_add_u32_e32 v46, s9, v10
	v_lshl_add_u64 v[44:45], v[10:11], 4, s[0:1]
	v_ashrrev_i32_e32 v47, 31, v46
	v_add_u32_e32 v10, s9, v46
	v_lshl_add_u64 v[50:51], v[46:47], 4, s[0:1]
	;; [unrolled: 3-line block ×3, first 2 shown]
	v_add_u32_e32 v10, s9, v46
	v_ashrrev_i32_e32 v11, 31, v10
	v_lshl_add_u64 v[52:53], v[10:11], 4, s[0:1]
	v_add_u32_e32 v10, s9, v10
	v_ashrrev_i32_e32 v11, 31, v10
	v_lshl_add_u64 v[54:55], v[10:11], 4, s[0:1]
	;; [unrolled: 3-line block ×5, first 2 shown]
	v_add_u32_e32 v10, s9, v10
	v_ashrrev_i32_e32 v31, 31, v30
	v_ashrrev_i32_e32 v35, 31, v34
	v_ashrrev_i32_e32 v43, 31, v42
	v_ashrrev_i32_e32 v11, 31, v10
	v_lshl_add_u64 v[30:31], v[30:31], 4, s[0:1]
	v_lshl_add_u64 v[34:35], v[34:35], 4, s[0:1]
	;; [unrolled: 1-line block ×3, first 2 shown]
	v_accvgpr_write_b32 a0, v50
	v_ashrrev_i32_e32 v47, 31, v46
	v_lshl_add_u64 v[62:63], v[10:11], 4, s[0:1]
	v_add_u32_e32 v10, s9, v10
	global_load_dwordx4 v[2:5], v68, s[0:1]
	global_load_dwordx4 v[6:9], v[14:15], off
	global_load_dwordx4 v[70:73], v[16:17], off
	global_load_dwordx4 v[74:77], v[18:19], off
	global_load_dwordx4 v[78:81], v[20:21], off
	global_load_dwordx4 v[82:85], v[22:23], off
	global_load_dwordx4 v[86:89], v[24:25], off
	global_load_dwordx4 v[90:93], v[26:27], off
	global_load_dwordx4 v[94:97], v[28:29], off
	global_load_dwordx4 v[98:101], v[30:31], off
	global_load_dwordx4 v[102:105], v[32:33], off
	global_load_dwordx4 v[106:109], v[34:35], off
	global_load_dwordx4 v[110:113], v[36:37], off
	global_load_dwordx4 v[114:117], v[38:39], off
	global_load_dwordx4 v[118:121], v[40:41], off
	global_load_dwordx4 v[122:125], v[42:43], off
	global_load_dwordx4 v[126:129], v[44:45], off
	v_accvgpr_write_b32 a1, v51
	global_load_dwordx4 v[130:133], v[50:51], off
	global_load_dwordx4 v[134:137], v[48:49], off
	v_lshl_add_u64 v[50:51], v[46:47], 4, s[0:1]
	v_ashrrev_i32_e32 v11, 31, v10
	global_load_dwordx4 v[138:141], v[50:51], off
	global_load_dwordx4 v[142:145], v[52:53], off
	;; [unrolled: 1-line block ×6, first 2 shown]
	v_lshl_add_u64 v[64:65], v[10:11], 4, s[0:1]
	global_load_dwordx4 v[162:165], v[62:63], off
	global_load_dwordx4 v[166:169], v[64:65], off
	s_cmpk_lg_i32 s5, 0x84
	s_cselect_b64 s[6:7], -1, 0
	s_cmpk_eq_i32 s5, 0x84
	s_waitcnt vmcnt(26)
	scratch_store_dwordx4 off, v[2:5], off
	s_waitcnt vmcnt(26)
	scratch_store_dwordx4 off, v[6:9], off offset:16
	s_waitcnt vmcnt(26)
	scratch_store_dwordx4 off, v[70:73], off offset:32
	;; [unrolled: 2-line block ×26, first 2 shown]
	v_add_u32_e32 v2, s9, v10
	v_add_u32_e32 v10, s9, v2
	v_ashrrev_i32_e32 v11, 31, v10
	v_lshl_add_u64 v[70:71], v[10:11], 4, s[0:1]
	v_add_u32_e32 v10, s9, v10
	v_ashrrev_i32_e32 v11, 31, v10
	v_lshl_add_u64 v[72:73], v[10:11], 4, s[0:1]
	;; [unrolled: 3-line block ×29, first 2 shown]
	v_add_u32_e32 v10, s9, v10
	v_ashrrev_i32_e32 v11, 31, v10
	v_ashrrev_i32_e32 v3, 31, v2
	v_lshl_add_u64 v[128:129], v[10:11], 4, s[0:1]
	v_add_u32_e32 v10, s9, v10
	v_lshl_add_u64 v[66:67], v[2:3], 4, s[0:1]
	v_ashrrev_i32_e32 v11, 31, v10
	global_load_dwordx4 v[2:5], v[66:67], off
	global_load_dwordx4 v[6:9], v[70:71], off
	;; [unrolled: 1-line block ×30, first 2 shown]
	v_lshl_add_u64 v[130:131], v[10:11], 4, s[0:1]
	global_load_dwordx4 v[244:247], v[128:129], off
	global_load_dwordx4 v[248:251], v[130:131], off
	s_waitcnt vmcnt(31)
	scratch_store_dwordx4 off, v[2:5], off offset:432
	s_waitcnt vmcnt(31)
	scratch_store_dwordx4 off, v[6:9], off offset:448
	;; [unrolled: 2-line block ×32, first 2 shown]
	s_cbranch_scc1 .LBB58_7
; %bb.2:
	scratch_load_dwordx4 v[8:11], v68, off
                                        ; implicit-def: $vgpr6_vgpr7
	s_waitcnt vmcnt(0)
	v_xor_b32_e32 v3, 0x80000000, v9
	v_cmp_gt_f64_e32 vcc, 0, v[8:9]
	v_xor_b32_e32 v4, 0x80000000, v11
	v_mov_b32_e32 v2, v8
	v_cndmask_b32_e32 v3, v9, v3, vcc
	v_cmp_gt_f64_e32 vcc, 0, v[10:11]
	s_nop 1
	v_cndmask_b32_e32 v5, v11, v4, vcc
	v_mov_b32_e32 v4, v10
	v_cmp_ngt_f64_e32 vcc, v[2:3], v[4:5]
                                        ; implicit-def: $vgpr2_vgpr3
	s_and_saveexec_b64 s[0:1], vcc
	s_xor_b64 s[0:1], exec, s[0:1]
	s_cbranch_execz .LBB58_4
; %bb.3:
	v_div_scale_f64 v[2:3], s[2:3], v[10:11], v[10:11], v[8:9]
	v_rcp_f64_e32 v[4:5], v[2:3]
	v_div_scale_f64 v[6:7], vcc, v[8:9], v[10:11], v[8:9]
	v_fma_f64 v[46:47], -v[2:3], v[4:5], 1.0
	v_fmac_f64_e32 v[4:5], v[4:5], v[46:47]
	v_fma_f64 v[46:47], -v[2:3], v[4:5], 1.0
	v_fmac_f64_e32 v[4:5], v[4:5], v[46:47]
	v_mul_f64 v[46:47], v[6:7], v[4:5]
	v_fma_f64 v[2:3], -v[2:3], v[46:47], v[6:7]
	v_div_fmas_f64 v[2:3], v[2:3], v[4:5], v[46:47]
	v_div_fixup_f64 v[2:3], v[2:3], v[10:11], v[8:9]
	v_fmac_f64_e32 v[10:11], v[8:9], v[2:3]
	v_div_scale_f64 v[4:5], s[2:3], v[10:11], v[10:11], 1.0
	v_rcp_f64_e32 v[6:7], v[4:5]
	s_nop 0
	v_fma_f64 v[8:9], -v[4:5], v[6:7], 1.0
	v_fmac_f64_e32 v[6:7], v[6:7], v[8:9]
	v_fma_f64 v[8:9], -v[4:5], v[6:7], 1.0
	v_fmac_f64_e32 v[6:7], v[6:7], v[8:9]
	v_div_scale_f64 v[8:9], vcc, 1.0, v[10:11], 1.0
	v_mul_f64 v[46:47], v[8:9], v[6:7]
	v_fma_f64 v[4:5], -v[4:5], v[46:47], v[8:9]
                                        ; implicit-def: $vgpr8_vgpr9
	s_nop 1
	v_div_fmas_f64 v[4:5], v[4:5], v[6:7], v[46:47]
	v_div_fixup_f64 v[4:5], v[4:5], v[10:11], 1.0
	v_mul_f64 v[2:3], v[2:3], v[4:5]
	v_xor_b32_e32 v5, 0x80000000, v5
	v_xor_b32_e32 v7, 0x80000000, v3
	v_mov_b32_e32 v6, v2
.LBB58_4:
	s_or_saveexec_b64 s[0:1], s[0:1]
	v_add_u32_e32 v69, 0, v68
	s_xor_b64 exec, exec, s[0:1]
	s_cbranch_execz .LBB58_6
; %bb.5:
	v_div_scale_f64 v[2:3], s[2:3], v[8:9], v[8:9], v[10:11]
	v_rcp_f64_e32 v[4:5], v[2:3]
	v_div_scale_f64 v[6:7], vcc, v[10:11], v[8:9], v[10:11]
	v_fma_f64 v[46:47], -v[2:3], v[4:5], 1.0
	v_fmac_f64_e32 v[4:5], v[4:5], v[46:47]
	v_fma_f64 v[46:47], -v[2:3], v[4:5], 1.0
	v_fmac_f64_e32 v[4:5], v[4:5], v[46:47]
	v_mul_f64 v[46:47], v[6:7], v[4:5]
	v_fma_f64 v[2:3], -v[2:3], v[46:47], v[6:7]
	v_div_fmas_f64 v[2:3], v[2:3], v[4:5], v[46:47]
	v_div_fixup_f64 v[4:5], v[2:3], v[8:9], v[10:11]
	v_fmac_f64_e32 v[8:9], v[10:11], v[4:5]
	v_div_scale_f64 v[2:3], s[2:3], v[8:9], v[8:9], 1.0
	v_rcp_f64_e32 v[6:7], v[2:3]
	s_nop 0
	v_fma_f64 v[10:11], -v[2:3], v[6:7], 1.0
	v_fmac_f64_e32 v[6:7], v[6:7], v[10:11]
	v_fma_f64 v[10:11], -v[2:3], v[6:7], 1.0
	v_fmac_f64_e32 v[6:7], v[6:7], v[10:11]
	v_div_scale_f64 v[10:11], vcc, 1.0, v[8:9], 1.0
	v_mul_f64 v[46:47], v[10:11], v[6:7]
	v_fma_f64 v[2:3], -v[2:3], v[46:47], v[10:11]
	s_nop 1
	v_div_fmas_f64 v[2:3], v[2:3], v[6:7], v[46:47]
	v_div_fixup_f64 v[2:3], v[2:3], v[8:9], 1.0
	v_xor_b32_e32 v7, 0x80000000, v3
	v_mov_b32_e32 v6, v2
	v_mul_f64 v[4:5], v[4:5], -v[2:3]
.LBB58_6:
	s_or_b64 exec, exec, s[0:1]
	scratch_store_dwordx4 v69, v[2:5], off
	s_nop 1
	v_xor_b32_e32 v5, 0x80000000, v5
	s_branch .LBB58_8
.LBB58_7:
	v_mov_b64_e32 v[4:5], 0
	v_mov_b64_e32 v[6:7], -1.0
.LBB58_8:
	v_mov_b32_e32 v8, v4
	v_mov_b32_e32 v9, v5
	v_add_u32_e32 v185, 16, v1
	v_add_u32_e32 v184, 32, v1
	;; [unrolled: 1-line block ×58, first 2 shown]
	ds_write_b128 v68, v[6:9]
	s_cmpk_eq_i32 s4, 0x79
	v_add_u32_e32 v9, 0x3b0, v68
	v_add_u32_e32 v8, 0, v68
	s_cbranch_scc1 .LBB58_468
; %bb.9:
	scratch_load_dwordx4 v[2:5], v10, off
	v_cmp_eq_u32_e64 s[0:1], 58, v0
	s_waitcnt vmcnt(0)
	ds_write_b128 v9, v[2:5]
	s_waitcnt lgkmcnt(0)
	; wave barrier
	s_waitcnt lgkmcnt(0)
	s_and_saveexec_b64 s[2:3], s[0:1]
	s_cbranch_execz .LBB58_13
; %bb.10:
	ds_read_b128 v[2:5], v9
	s_andn2_b64 vcc, exec, s[6:7]
	s_cbranch_vccnz .LBB58_12
; %bb.11:
	scratch_load_dwordx4 v[186:189], v8, off
	s_waitcnt vmcnt(0) lgkmcnt(0)
	v_mul_f64 v[46:47], v[2:3], v[188:189]
	v_mul_f64 v[6:7], v[4:5], v[188:189]
	v_fmac_f64_e32 v[46:47], v[4:5], v[186:187]
	v_fma_f64 v[2:3], v[2:3], v[186:187], -v[6:7]
	v_mov_b64_e32 v[4:5], v[46:47]
.LBB58_12:
	v_mov_b32_e32 v6, 0
	ds_read_b128 v[186:189], v6 offset:912
	s_waitcnt lgkmcnt(0)
	v_mul_f64 v[6:7], v[4:5], v[188:189]
	v_mul_f64 v[190:191], v[2:3], v[188:189]
	v_fma_f64 v[188:189], v[2:3], v[186:187], -v[6:7]
	v_fmac_f64_e32 v[190:191], v[4:5], v[186:187]
	scratch_store_dwordx4 off, v[188:191], off offset:912
.LBB58_13:
	s_or_b64 exec, exec, s[2:3]
	scratch_load_dwordx4 v[2:5], v11, off
	v_cmp_lt_u32_e64 s[2:3], 56, v0
	s_waitcnt vmcnt(0)
	ds_write_b128 v9, v[2:5]
	s_waitcnt lgkmcnt(0)
	; wave barrier
	s_waitcnt lgkmcnt(0)
	s_and_saveexec_b64 s[4:5], s[2:3]
	s_cbranch_execz .LBB58_19
; %bb.14:
	ds_read_b128 v[2:5], v9
	s_andn2_b64 vcc, exec, s[6:7]
	s_cbranch_vccnz .LBB58_16
; %bb.15:
	scratch_load_dwordx4 v[186:189], v8, off
	s_waitcnt vmcnt(0) lgkmcnt(0)
	v_mul_f64 v[46:47], v[2:3], v[188:189]
	v_mul_f64 v[6:7], v[4:5], v[188:189]
	v_fmac_f64_e32 v[46:47], v[4:5], v[186:187]
	v_fma_f64 v[2:3], v[2:3], v[186:187], -v[6:7]
	v_mov_b64_e32 v[4:5], v[46:47]
.LBB58_16:
	s_and_saveexec_b64 s[8:9], s[0:1]
	s_cbranch_execz .LBB58_18
; %bb.17:
	scratch_load_dwordx4 v[186:189], off, off offset:912
	v_mov_b32_e32 v6, 0
	ds_read_b128 v[190:193], v6 offset:1856
	s_waitcnt vmcnt(0) lgkmcnt(0)
	v_mul_f64 v[6:7], v[190:191], v[188:189]
	v_mul_f64 v[46:47], v[192:193], v[188:189]
	v_fmac_f64_e32 v[6:7], v[192:193], v[186:187]
	v_fma_f64 v[46:47], v[190:191], v[186:187], -v[46:47]
	v_add_f64 v[4:5], v[4:5], v[6:7]
	v_add_f64 v[2:3], v[2:3], v[46:47]
.LBB58_18:
	s_or_b64 exec, exec, s[8:9]
	v_mov_b32_e32 v6, 0
	ds_read_b128 v[186:189], v6 offset:896
	s_waitcnt lgkmcnt(0)
	v_mul_f64 v[6:7], v[4:5], v[188:189]
	v_mul_f64 v[190:191], v[2:3], v[188:189]
	v_fma_f64 v[188:189], v[2:3], v[186:187], -v[6:7]
	v_fmac_f64_e32 v[190:191], v[4:5], v[186:187]
	scratch_store_dwordx4 off, v[188:191], off offset:896
.LBB58_19:
	s_or_b64 exec, exec, s[4:5]
	scratch_load_dwordx4 v[2:5], v69, off
	v_cmp_lt_u32_e64 s[0:1], 55, v0
	s_waitcnt vmcnt(0)
	ds_write_b128 v9, v[2:5]
	s_waitcnt lgkmcnt(0)
	; wave barrier
	s_waitcnt lgkmcnt(0)
	s_and_saveexec_b64 s[4:5], s[0:1]
	s_cbranch_execz .LBB58_27
; %bb.20:
	ds_read_b128 v[2:5], v9
	s_andn2_b64 vcc, exec, s[6:7]
	s_cbranch_vccnz .LBB58_22
; %bb.21:
	scratch_load_dwordx4 v[186:189], v8, off
	s_waitcnt vmcnt(0) lgkmcnt(0)
	v_mul_f64 v[46:47], v[2:3], v[188:189]
	v_mul_f64 v[6:7], v[4:5], v[188:189]
	v_fmac_f64_e32 v[46:47], v[4:5], v[186:187]
	v_fma_f64 v[2:3], v[2:3], v[186:187], -v[6:7]
	v_mov_b64_e32 v[4:5], v[46:47]
.LBB58_22:
	s_and_saveexec_b64 s[8:9], s[2:3]
	s_cbranch_execz .LBB58_26
; %bb.23:
	v_mov_b32_e32 v7, 0
	v_subrev_u32_e32 v6, 56, v0
	v_add_u32_e32 v7, 0x388, v7
	s_movk_i32 s10, 0x730
	s_mov_b64 s[2:3], 0
.LBB58_24:                              ; =>This Inner Loop Header: Depth=1
	v_add_u32_e32 v46, -8, v7
	scratch_load_dwordx4 v[186:189], v46, off
	v_mov_b32_e32 v46, s10
	ds_read_b128 v[190:193], v46
	v_add_u32_e32 v6, -1, v6
	s_add_i32 s10, s10, 16
	v_cmp_eq_u32_e32 vcc, 0, v6
	v_add_u32_e32 v7, 16, v7
	s_or_b64 s[2:3], vcc, s[2:3]
	s_waitcnt vmcnt(0) lgkmcnt(0)
	v_mul_f64 v[46:47], v[192:193], v[188:189]
	v_mul_f64 v[188:189], v[190:191], v[188:189]
	v_fma_f64 v[46:47], v[190:191], v[186:187], -v[46:47]
	v_fmac_f64_e32 v[188:189], v[192:193], v[186:187]
	v_add_f64 v[2:3], v[2:3], v[46:47]
	v_add_f64 v[4:5], v[4:5], v[188:189]
	s_andn2_b64 exec, exec, s[2:3]
	s_cbranch_execnz .LBB58_24
; %bb.25:
	s_or_b64 exec, exec, s[2:3]
.LBB58_26:
	s_or_b64 exec, exec, s[8:9]
	v_mov_b32_e32 v6, 0
	ds_read_b128 v[186:189], v6 offset:880
	s_waitcnt lgkmcnt(0)
	v_mul_f64 v[6:7], v[4:5], v[188:189]
	v_mul_f64 v[190:191], v[2:3], v[188:189]
	v_fma_f64 v[188:189], v[2:3], v[186:187], -v[6:7]
	v_fmac_f64_e32 v[190:191], v[4:5], v[186:187]
	scratch_store_dwordx4 off, v[188:191], off offset:880
.LBB58_27:
	s_or_b64 exec, exec, s[4:5]
	scratch_load_dwordx4 v[2:5], v132, off
	v_cmp_lt_u32_e64 s[2:3], 54, v0
	s_waitcnt vmcnt(0)
	ds_write_b128 v9, v[2:5]
	s_waitcnt lgkmcnt(0)
	; wave barrier
	s_waitcnt lgkmcnt(0)
	s_and_saveexec_b64 s[4:5], s[2:3]
	s_cbranch_execz .LBB58_35
; %bb.28:
	ds_read_b128 v[2:5], v9
	s_andn2_b64 vcc, exec, s[6:7]
	s_cbranch_vccnz .LBB58_30
; %bb.29:
	scratch_load_dwordx4 v[186:189], v8, off
	s_waitcnt vmcnt(0) lgkmcnt(0)
	v_mul_f64 v[46:47], v[2:3], v[188:189]
	v_mul_f64 v[6:7], v[4:5], v[188:189]
	v_fmac_f64_e32 v[46:47], v[4:5], v[186:187]
	v_fma_f64 v[2:3], v[2:3], v[186:187], -v[6:7]
	v_mov_b64_e32 v[4:5], v[46:47]
.LBB58_30:
	s_and_saveexec_b64 s[8:9], s[0:1]
	s_cbranch_execz .LBB58_34
; %bb.31:
	v_mov_b32_e32 v7, 0
	v_subrev_u32_e32 v6, 55, v0
	v_add_u32_e32 v7, 0x378, v7
	s_movk_i32 s10, 0x720
	s_mov_b64 s[0:1], 0
.LBB58_32:                              ; =>This Inner Loop Header: Depth=1
	v_add_u32_e32 v46, -8, v7
	scratch_load_dwordx4 v[186:189], v46, off
	v_mov_b32_e32 v46, s10
	ds_read_b128 v[190:193], v46
	v_add_u32_e32 v6, -1, v6
	s_add_i32 s10, s10, 16
	v_cmp_eq_u32_e32 vcc, 0, v6
	v_add_u32_e32 v7, 16, v7
	s_or_b64 s[0:1], vcc, s[0:1]
	s_waitcnt vmcnt(0) lgkmcnt(0)
	v_mul_f64 v[46:47], v[192:193], v[188:189]
	v_mul_f64 v[188:189], v[190:191], v[188:189]
	v_fma_f64 v[46:47], v[190:191], v[186:187], -v[46:47]
	v_fmac_f64_e32 v[188:189], v[192:193], v[186:187]
	v_add_f64 v[2:3], v[2:3], v[46:47]
	v_add_f64 v[4:5], v[4:5], v[188:189]
	s_andn2_b64 exec, exec, s[0:1]
	s_cbranch_execnz .LBB58_32
; %bb.33:
	s_or_b64 exec, exec, s[0:1]
.LBB58_34:
	s_or_b64 exec, exec, s[8:9]
	v_mov_b32_e32 v6, 0
	ds_read_b128 v[186:189], v6 offset:864
	s_waitcnt lgkmcnt(0)
	v_mul_f64 v[6:7], v[4:5], v[188:189]
	v_mul_f64 v[190:191], v[2:3], v[188:189]
	v_fma_f64 v[188:189], v[2:3], v[186:187], -v[6:7]
	v_fmac_f64_e32 v[190:191], v[4:5], v[186:187]
	scratch_store_dwordx4 off, v[188:191], off offset:864
.LBB58_35:
	;; [unrolled: 63-line block ×10, first 2 shown]
	s_or_b64 exec, exec, s[4:5]
	scratch_load_dwordx4 v[2:5], v141, off
	v_cmp_lt_u32_e64 s[0:1], 45, v0
	s_waitcnt vmcnt(0)
	ds_write_b128 v9, v[2:5]
	s_waitcnt lgkmcnt(0)
	; wave barrier
	s_waitcnt lgkmcnt(0)
	s_and_saveexec_b64 s[4:5], s[0:1]
	s_cbranch_execz .LBB58_107
; %bb.100:
	ds_read_b128 v[2:5], v9
	s_andn2_b64 vcc, exec, s[6:7]
	s_cbranch_vccnz .LBB58_102
; %bb.101:
	scratch_load_dwordx4 v[186:189], v8, off
	s_waitcnt vmcnt(0) lgkmcnt(0)
	v_mul_f64 v[46:47], v[2:3], v[188:189]
	v_mul_f64 v[6:7], v[4:5], v[188:189]
	v_fmac_f64_e32 v[46:47], v[4:5], v[186:187]
	v_fma_f64 v[2:3], v[2:3], v[186:187], -v[6:7]
	v_mov_b64_e32 v[4:5], v[46:47]
.LBB58_102:
	s_and_saveexec_b64 s[8:9], s[2:3]
	s_cbranch_execz .LBB58_106
; %bb.103:
	v_mov_b32_e32 v7, 0
	v_subrev_u32_e32 v6, 46, v0
	v_add_u32_e32 v7, 0x2e8, v7
	s_movk_i32 s10, 0x690
	s_mov_b64 s[2:3], 0
.LBB58_104:                             ; =>This Inner Loop Header: Depth=1
	v_add_u32_e32 v46, -8, v7
	scratch_load_dwordx4 v[186:189], v46, off
	v_mov_b32_e32 v46, s10
	ds_read_b128 v[190:193], v46
	v_add_u32_e32 v6, -1, v6
	s_add_i32 s10, s10, 16
	v_cmp_eq_u32_e32 vcc, 0, v6
	v_add_u32_e32 v7, 16, v7
	s_or_b64 s[2:3], vcc, s[2:3]
	s_waitcnt vmcnt(0) lgkmcnt(0)
	v_mul_f64 v[46:47], v[192:193], v[188:189]
	v_mul_f64 v[188:189], v[190:191], v[188:189]
	v_fma_f64 v[46:47], v[190:191], v[186:187], -v[46:47]
	v_fmac_f64_e32 v[188:189], v[192:193], v[186:187]
	v_add_f64 v[2:3], v[2:3], v[46:47]
	v_add_f64 v[4:5], v[4:5], v[188:189]
	s_andn2_b64 exec, exec, s[2:3]
	s_cbranch_execnz .LBB58_104
; %bb.105:
	s_or_b64 exec, exec, s[2:3]
.LBB58_106:
	s_or_b64 exec, exec, s[8:9]
	v_mov_b32_e32 v6, 0
	ds_read_b128 v[186:189], v6 offset:720
	s_waitcnt lgkmcnt(0)
	v_mul_f64 v[6:7], v[4:5], v[188:189]
	v_mul_f64 v[190:191], v[2:3], v[188:189]
	v_fma_f64 v[188:189], v[2:3], v[186:187], -v[6:7]
	v_fmac_f64_e32 v[190:191], v[4:5], v[186:187]
	scratch_store_dwordx4 off, v[188:191], off offset:720
.LBB58_107:
	s_or_b64 exec, exec, s[4:5]
	scratch_load_dwordx4 v[2:5], v142, off
	v_cmp_lt_u32_e64 s[2:3], 44, v0
	s_waitcnt vmcnt(0)
	ds_write_b128 v9, v[2:5]
	s_waitcnt lgkmcnt(0)
	; wave barrier
	s_waitcnt lgkmcnt(0)
	s_and_saveexec_b64 s[4:5], s[2:3]
	s_cbranch_execz .LBB58_115
; %bb.108:
	ds_read_b128 v[2:5], v9
	s_andn2_b64 vcc, exec, s[6:7]
	s_cbranch_vccnz .LBB58_110
; %bb.109:
	scratch_load_dwordx4 v[186:189], v8, off
	s_waitcnt vmcnt(0) lgkmcnt(0)
	v_mul_f64 v[46:47], v[2:3], v[188:189]
	v_mul_f64 v[6:7], v[4:5], v[188:189]
	v_fmac_f64_e32 v[46:47], v[4:5], v[186:187]
	v_fma_f64 v[2:3], v[2:3], v[186:187], -v[6:7]
	v_mov_b64_e32 v[4:5], v[46:47]
.LBB58_110:
	s_and_saveexec_b64 s[8:9], s[0:1]
	s_cbranch_execz .LBB58_114
; %bb.111:
	v_mov_b32_e32 v7, 0
	v_subrev_u32_e32 v6, 45, v0
	v_add_u32_e32 v7, 0x2d8, v7
	s_movk_i32 s10, 0x680
	s_mov_b64 s[0:1], 0
.LBB58_112:                             ; =>This Inner Loop Header: Depth=1
	v_add_u32_e32 v46, -8, v7
	scratch_load_dwordx4 v[186:189], v46, off
	v_mov_b32_e32 v46, s10
	ds_read_b128 v[190:193], v46
	v_add_u32_e32 v6, -1, v6
	s_add_i32 s10, s10, 16
	v_cmp_eq_u32_e32 vcc, 0, v6
	v_add_u32_e32 v7, 16, v7
	s_or_b64 s[0:1], vcc, s[0:1]
	s_waitcnt vmcnt(0) lgkmcnt(0)
	v_mul_f64 v[46:47], v[192:193], v[188:189]
	v_mul_f64 v[188:189], v[190:191], v[188:189]
	v_fma_f64 v[46:47], v[190:191], v[186:187], -v[46:47]
	v_fmac_f64_e32 v[188:189], v[192:193], v[186:187]
	v_add_f64 v[2:3], v[2:3], v[46:47]
	v_add_f64 v[4:5], v[4:5], v[188:189]
	s_andn2_b64 exec, exec, s[0:1]
	s_cbranch_execnz .LBB58_112
; %bb.113:
	s_or_b64 exec, exec, s[0:1]
.LBB58_114:
	s_or_b64 exec, exec, s[8:9]
	v_mov_b32_e32 v6, 0
	ds_read_b128 v[186:189], v6 offset:704
	s_waitcnt lgkmcnt(0)
	v_mul_f64 v[6:7], v[4:5], v[188:189]
	v_mul_f64 v[190:191], v[2:3], v[188:189]
	v_fma_f64 v[188:189], v[2:3], v[186:187], -v[6:7]
	v_fmac_f64_e32 v[190:191], v[4:5], v[186:187]
	scratch_store_dwordx4 off, v[188:191], off offset:704
.LBB58_115:
	;; [unrolled: 63-line block ×30, first 2 shown]
	s_or_b64 exec, exec, s[4:5]
	scratch_load_dwordx4 v[2:5], v171, off
	v_cmp_lt_u32_e64 s[0:1], 15, v0
	s_waitcnt vmcnt(0)
	ds_write_b128 v9, v[2:5]
	s_waitcnt lgkmcnt(0)
	; wave barrier
	s_waitcnt lgkmcnt(0)
	s_and_saveexec_b64 s[4:5], s[0:1]
	s_cbranch_execz .LBB58_347
; %bb.340:
	ds_read_b128 v[2:5], v9
	s_andn2_b64 vcc, exec, s[6:7]
	s_cbranch_vccnz .LBB58_342
; %bb.341:
	scratch_load_dwordx4 v[186:189], v8, off
	s_waitcnt vmcnt(0) lgkmcnt(0)
	v_mul_f64 v[46:47], v[2:3], v[188:189]
	v_mul_f64 v[6:7], v[4:5], v[188:189]
	v_fmac_f64_e32 v[46:47], v[4:5], v[186:187]
	v_fma_f64 v[2:3], v[2:3], v[186:187], -v[6:7]
	v_mov_b64_e32 v[4:5], v[46:47]
.LBB58_342:
	s_and_saveexec_b64 s[8:9], s[2:3]
	s_cbranch_execz .LBB58_346
; %bb.343:
	v_mov_b32_e32 v7, 0
	v_add_u32_e32 v6, -16, v0
	v_add_u32_e32 v7, 0x108, v7
	s_movk_i32 s10, 0x4b0
	s_mov_b64 s[2:3], 0
.LBB58_344:                             ; =>This Inner Loop Header: Depth=1
	v_add_u32_e32 v46, -8, v7
	scratch_load_dwordx4 v[186:189], v46, off
	v_mov_b32_e32 v46, s10
	ds_read_b128 v[190:193], v46
	v_add_u32_e32 v6, -1, v6
	s_add_i32 s10, s10, 16
	v_cmp_eq_u32_e32 vcc, 0, v6
	v_add_u32_e32 v7, 16, v7
	s_or_b64 s[2:3], vcc, s[2:3]
	s_waitcnt vmcnt(0) lgkmcnt(0)
	v_mul_f64 v[46:47], v[192:193], v[188:189]
	v_mul_f64 v[188:189], v[190:191], v[188:189]
	v_fma_f64 v[46:47], v[190:191], v[186:187], -v[46:47]
	v_fmac_f64_e32 v[188:189], v[192:193], v[186:187]
	v_add_f64 v[2:3], v[2:3], v[46:47]
	v_add_f64 v[4:5], v[4:5], v[188:189]
	s_andn2_b64 exec, exec, s[2:3]
	s_cbranch_execnz .LBB58_344
; %bb.345:
	s_or_b64 exec, exec, s[2:3]
.LBB58_346:
	s_or_b64 exec, exec, s[8:9]
	v_mov_b32_e32 v6, 0
	ds_read_b128 v[186:189], v6 offset:240
	s_waitcnt lgkmcnt(0)
	v_mul_f64 v[6:7], v[4:5], v[188:189]
	v_mul_f64 v[190:191], v[2:3], v[188:189]
	v_fma_f64 v[188:189], v[2:3], v[186:187], -v[6:7]
	v_fmac_f64_e32 v[190:191], v[4:5], v[186:187]
	scratch_store_dwordx4 off, v[188:191], off offset:240
.LBB58_347:
	s_or_b64 exec, exec, s[4:5]
	scratch_load_dwordx4 v[2:5], v172, off
	v_cmp_lt_u32_e64 s[2:3], 14, v0
	s_waitcnt vmcnt(0)
	ds_write_b128 v9, v[2:5]
	s_waitcnt lgkmcnt(0)
	; wave barrier
	s_waitcnt lgkmcnt(0)
	s_and_saveexec_b64 s[4:5], s[2:3]
	s_cbranch_execz .LBB58_355
; %bb.348:
	ds_read_b128 v[2:5], v9
	s_andn2_b64 vcc, exec, s[6:7]
	s_cbranch_vccnz .LBB58_350
; %bb.349:
	scratch_load_dwordx4 v[186:189], v8, off
	s_waitcnt vmcnt(0) lgkmcnt(0)
	v_mul_f64 v[46:47], v[2:3], v[188:189]
	v_mul_f64 v[6:7], v[4:5], v[188:189]
	v_fmac_f64_e32 v[46:47], v[4:5], v[186:187]
	v_fma_f64 v[2:3], v[2:3], v[186:187], -v[6:7]
	v_mov_b64_e32 v[4:5], v[46:47]
.LBB58_350:
	s_and_saveexec_b64 s[8:9], s[0:1]
	s_cbranch_execz .LBB58_354
; %bb.351:
	v_mov_b32_e32 v7, 0
	v_add_u32_e32 v6, -15, v0
	v_add_u32_e32 v7, 0xf8, v7
	s_movk_i32 s10, 0x4a0
	s_mov_b64 s[0:1], 0
.LBB58_352:                             ; =>This Inner Loop Header: Depth=1
	v_add_u32_e32 v46, -8, v7
	scratch_load_dwordx4 v[186:189], v46, off
	v_mov_b32_e32 v46, s10
	ds_read_b128 v[190:193], v46
	v_add_u32_e32 v6, -1, v6
	s_add_i32 s10, s10, 16
	v_cmp_eq_u32_e32 vcc, 0, v6
	v_add_u32_e32 v7, 16, v7
	s_or_b64 s[0:1], vcc, s[0:1]
	s_waitcnt vmcnt(0) lgkmcnt(0)
	v_mul_f64 v[46:47], v[192:193], v[188:189]
	v_mul_f64 v[188:189], v[190:191], v[188:189]
	v_fma_f64 v[46:47], v[190:191], v[186:187], -v[46:47]
	v_fmac_f64_e32 v[188:189], v[192:193], v[186:187]
	v_add_f64 v[2:3], v[2:3], v[46:47]
	v_add_f64 v[4:5], v[4:5], v[188:189]
	s_andn2_b64 exec, exec, s[0:1]
	s_cbranch_execnz .LBB58_352
; %bb.353:
	s_or_b64 exec, exec, s[0:1]
.LBB58_354:
	s_or_b64 exec, exec, s[8:9]
	v_mov_b32_e32 v6, 0
	ds_read_b128 v[186:189], v6 offset:224
	s_waitcnt lgkmcnt(0)
	v_mul_f64 v[6:7], v[4:5], v[188:189]
	v_mul_f64 v[190:191], v[2:3], v[188:189]
	v_fma_f64 v[188:189], v[2:3], v[186:187], -v[6:7]
	v_fmac_f64_e32 v[190:191], v[4:5], v[186:187]
	scratch_store_dwordx4 off, v[188:191], off offset:224
.LBB58_355:
	;; [unrolled: 63-line block ×15, first 2 shown]
	s_or_b64 exec, exec, s[4:5]
	scratch_load_dwordx4 v[2:5], off, off
	v_cmp_ne_u32_e32 vcc, 0, v0
	s_mov_b64 s[2:3], 0
	s_mov_b64 s[4:5], 0
                                        ; implicit-def: $vgpr6_vgpr7
                                        ; implicit-def: $vgpr186
	s_waitcnt vmcnt(0)
	ds_write_b128 v9, v[2:5]
	s_waitcnt lgkmcnt(0)
	; wave barrier
	s_waitcnt lgkmcnt(0)
	s_and_saveexec_b64 s[8:9], vcc
	s_cbranch_execz .LBB58_467
; %bb.460:
	ds_read_b128 v[2:5], v9
	s_andn2_b64 vcc, exec, s[6:7]
	s_cbranch_vccnz .LBB58_462
; %bb.461:
	scratch_load_dwordx4 v[186:189], v8, off
	s_waitcnt vmcnt(0) lgkmcnt(0)
	v_mul_f64 v[46:47], v[2:3], v[188:189]
	v_mul_f64 v[6:7], v[4:5], v[188:189]
	v_fmac_f64_e32 v[46:47], v[4:5], v[186:187]
	v_fma_f64 v[2:3], v[2:3], v[186:187], -v[6:7]
	v_mov_b64_e32 v[4:5], v[46:47]
.LBB58_462:
	s_and_saveexec_b64 s[4:5], s[0:1]
	s_cbranch_execz .LBB58_466
; %bb.463:
	v_mov_b32_e32 v7, 0
	v_add_u32_e32 v6, -1, v0
	v_add_u32_e32 v7, 24, v7
	s_movk_i32 s10, 0x3c0
	s_mov_b64 s[0:1], 0
.LBB58_464:                             ; =>This Inner Loop Header: Depth=1
	v_add_u32_e32 v46, -8, v7
	scratch_load_dwordx4 v[186:189], v46, off
	v_mov_b32_e32 v46, s10
	ds_read_b128 v[190:193], v46
	v_add_u32_e32 v6, -1, v6
	s_add_i32 s10, s10, 16
	v_cmp_eq_u32_e32 vcc, 0, v6
	v_add_u32_e32 v7, 16, v7
	s_or_b64 s[0:1], vcc, s[0:1]
	s_waitcnt vmcnt(0) lgkmcnt(0)
	v_mul_f64 v[46:47], v[192:193], v[188:189]
	v_mul_f64 v[188:189], v[190:191], v[188:189]
	v_fma_f64 v[46:47], v[190:191], v[186:187], -v[46:47]
	v_fmac_f64_e32 v[188:189], v[192:193], v[186:187]
	v_add_f64 v[2:3], v[2:3], v[46:47]
	v_add_f64 v[4:5], v[4:5], v[188:189]
	s_andn2_b64 exec, exec, s[0:1]
	s_cbranch_execnz .LBB58_464
; %bb.465:
	s_or_b64 exec, exec, s[0:1]
.LBB58_466:
	s_or_b64 exec, exec, s[4:5]
	v_mov_b32_e32 v6, 0
	ds_read_b128 v[188:191], v6
	v_mov_b32_e32 v6, 0
	v_or_b32_e32 v186, 8, v6
	s_mov_b64 s[4:5], exec
	s_waitcnt lgkmcnt(0)
	v_mul_f64 v[46:47], v[4:5], v[190:191]
	v_mul_f64 v[6:7], v[2:3], v[190:191]
	v_fma_f64 v[2:3], v[2:3], v[188:189], -v[46:47]
	v_fmac_f64_e32 v[6:7], v[4:5], v[188:189]
	scratch_store_dwordx2 off, v[2:3], off
.LBB58_467:
	s_or_b64 exec, exec, s[8:9]
	s_and_b64 vcc, exec, s[2:3]
	s_cbranch_vccnz .LBB58_469
	s_branch .LBB58_928
.LBB58_468:
	s_mov_b64 s[4:5], 0
                                        ; implicit-def: $vgpr6_vgpr7
                                        ; implicit-def: $vgpr186
	s_cbranch_execz .LBB58_928
.LBB58_469:
	scratch_load_dwordx4 v[2:5], v185, off
	v_cndmask_b32_e64 v6, 0, 1, s[6:7]
	v_cmp_eq_u32_e64 s[2:3], 0, v0
	v_cmp_ne_u32_e64 s[0:1], 1, v6
	s_waitcnt vmcnt(0)
	ds_write_b128 v9, v[2:5]
	s_waitcnt lgkmcnt(0)
	; wave barrier
	s_waitcnt lgkmcnt(0)
	s_and_saveexec_b64 s[6:7], s[2:3]
	s_cbranch_execz .LBB58_473
; %bb.470:
	ds_read_b128 v[2:5], v9
	s_and_b64 vcc, exec, s[0:1]
	s_cbranch_vccnz .LBB58_472
; %bb.471:
	scratch_load_dwordx4 v[186:189], v8, off
	s_waitcnt vmcnt(0) lgkmcnt(0)
	v_mul_f64 v[46:47], v[2:3], v[188:189]
	v_mul_f64 v[6:7], v[4:5], v[188:189]
	v_fmac_f64_e32 v[46:47], v[4:5], v[186:187]
	v_fma_f64 v[2:3], v[2:3], v[186:187], -v[6:7]
	v_mov_b64_e32 v[4:5], v[46:47]
.LBB58_472:
	v_mov_b32_e32 v6, 0
	ds_read_b128 v[186:189], v6 offset:16
	s_waitcnt lgkmcnt(0)
	v_mul_f64 v[6:7], v[4:5], v[188:189]
	v_mul_f64 v[190:191], v[2:3], v[188:189]
	v_fma_f64 v[188:189], v[2:3], v[186:187], -v[6:7]
	v_fmac_f64_e32 v[190:191], v[4:5], v[186:187]
	scratch_store_dwordx4 off, v[188:191], off offset:16
.LBB58_473:
	s_or_b64 exec, exec, s[6:7]
	scratch_load_dwordx4 v[2:5], v184, off
	v_cmp_gt_u32_e32 vcc, 2, v0
	s_waitcnt vmcnt(0)
	ds_write_b128 v9, v[2:5]
	s_waitcnt lgkmcnt(0)
	; wave barrier
	s_waitcnt lgkmcnt(0)
	s_and_saveexec_b64 s[6:7], vcc
	s_cbranch_execz .LBB58_479
; %bb.474:
	ds_read_b128 v[2:5], v9
	s_and_b64 vcc, exec, s[0:1]
	s_cbranch_vccnz .LBB58_476
; %bb.475:
	scratch_load_dwordx4 v[186:189], v8, off
	s_waitcnt vmcnt(0) lgkmcnt(0)
	v_mul_f64 v[46:47], v[2:3], v[188:189]
	v_mul_f64 v[6:7], v[4:5], v[188:189]
	v_fmac_f64_e32 v[46:47], v[4:5], v[186:187]
	v_fma_f64 v[2:3], v[2:3], v[186:187], -v[6:7]
	v_mov_b64_e32 v[4:5], v[46:47]
.LBB58_476:
	s_and_saveexec_b64 s[8:9], s[2:3]
	s_cbranch_execz .LBB58_478
; %bb.477:
	scratch_load_dwordx4 v[186:189], v8, off offset:16
	ds_read_b128 v[190:193], v9 offset:16
	s_waitcnt vmcnt(0) lgkmcnt(0)
	v_mul_f64 v[6:7], v[192:193], v[188:189]
	v_mul_f64 v[46:47], v[190:191], v[188:189]
	v_fma_f64 v[6:7], v[190:191], v[186:187], -v[6:7]
	v_fmac_f64_e32 v[46:47], v[192:193], v[186:187]
	v_add_f64 v[2:3], v[2:3], v[6:7]
	v_add_f64 v[4:5], v[4:5], v[46:47]
.LBB58_478:
	s_or_b64 exec, exec, s[8:9]
	v_mov_b32_e32 v6, 0
	ds_read_b128 v[186:189], v6 offset:32
	s_waitcnt lgkmcnt(0)
	v_mul_f64 v[6:7], v[4:5], v[188:189]
	v_mul_f64 v[190:191], v[2:3], v[188:189]
	v_fma_f64 v[188:189], v[2:3], v[186:187], -v[6:7]
	v_fmac_f64_e32 v[190:191], v[4:5], v[186:187]
	scratch_store_dwordx4 off, v[188:191], off offset:32
.LBB58_479:
	s_or_b64 exec, exec, s[6:7]
	scratch_load_dwordx4 v[2:5], v183, off
	v_cmp_gt_u32_e32 vcc, 3, v0
	s_waitcnt vmcnt(0)
	ds_write_b128 v9, v[2:5]
	s_waitcnt lgkmcnt(0)
	; wave barrier
	s_waitcnt lgkmcnt(0)
	s_and_saveexec_b64 s[6:7], vcc
	s_cbranch_execz .LBB58_487
; %bb.480:
	ds_read_b128 v[2:5], v9
	s_and_b64 vcc, exec, s[0:1]
	s_cbranch_vccnz .LBB58_482
; %bb.481:
	scratch_load_dwordx4 v[186:189], v8, off
	s_waitcnt vmcnt(0) lgkmcnt(0)
	v_mul_f64 v[46:47], v[2:3], v[188:189]
	v_mul_f64 v[6:7], v[4:5], v[188:189]
	v_fmac_f64_e32 v[46:47], v[4:5], v[186:187]
	v_fma_f64 v[2:3], v[2:3], v[186:187], -v[6:7]
	v_mov_b64_e32 v[4:5], v[46:47]
.LBB58_482:
	v_cmp_ne_u32_e32 vcc, 2, v0
	s_and_saveexec_b64 s[8:9], vcc
	s_cbranch_execz .LBB58_486
; %bb.483:
	scratch_load_dwordx4 v[186:189], v8, off offset:16
	ds_read_b128 v[190:193], v9 offset:16
	s_waitcnt vmcnt(0) lgkmcnt(0)
	v_mul_f64 v[6:7], v[192:193], v[188:189]
	v_mul_f64 v[46:47], v[190:191], v[188:189]
	v_fma_f64 v[6:7], v[190:191], v[186:187], -v[6:7]
	v_fmac_f64_e32 v[46:47], v[192:193], v[186:187]
	v_add_f64 v[2:3], v[2:3], v[6:7]
	v_add_f64 v[4:5], v[4:5], v[46:47]
	s_and_saveexec_b64 s[10:11], s[2:3]
	s_cbranch_execz .LBB58_485
; %bb.484:
	scratch_load_dwordx4 v[186:189], off, off offset:32
	v_mov_b32_e32 v6, 0
	ds_read_b128 v[190:193], v6 offset:976
	s_waitcnt vmcnt(0) lgkmcnt(0)
	v_mul_f64 v[6:7], v[190:191], v[188:189]
	v_mul_f64 v[46:47], v[192:193], v[188:189]
	v_fmac_f64_e32 v[6:7], v[192:193], v[186:187]
	v_fma_f64 v[46:47], v[190:191], v[186:187], -v[46:47]
	v_add_f64 v[4:5], v[4:5], v[6:7]
	v_add_f64 v[2:3], v[2:3], v[46:47]
.LBB58_485:
	s_or_b64 exec, exec, s[10:11]
.LBB58_486:
	s_or_b64 exec, exec, s[8:9]
	v_mov_b32_e32 v6, 0
	ds_read_b128 v[186:189], v6 offset:48
	s_waitcnt lgkmcnt(0)
	v_mul_f64 v[6:7], v[4:5], v[188:189]
	v_mul_f64 v[190:191], v[2:3], v[188:189]
	v_fma_f64 v[188:189], v[2:3], v[186:187], -v[6:7]
	v_fmac_f64_e32 v[190:191], v[4:5], v[186:187]
	scratch_store_dwordx4 off, v[188:191], off offset:48
.LBB58_487:
	s_or_b64 exec, exec, s[6:7]
	scratch_load_dwordx4 v[2:5], v182, off
	v_cmp_gt_u32_e32 vcc, 4, v0
	s_waitcnt vmcnt(0)
	ds_write_b128 v9, v[2:5]
	s_waitcnt lgkmcnt(0)
	; wave barrier
	s_waitcnt lgkmcnt(0)
	s_and_saveexec_b64 s[2:3], vcc
	s_cbranch_execz .LBB58_495
; %bb.488:
	ds_read_b128 v[2:5], v9
	s_and_b64 vcc, exec, s[0:1]
	s_cbranch_vccnz .LBB58_490
; %bb.489:
	scratch_load_dwordx4 v[186:189], v8, off
	s_waitcnt vmcnt(0) lgkmcnt(0)
	v_mul_f64 v[46:47], v[2:3], v[188:189]
	v_mul_f64 v[6:7], v[4:5], v[188:189]
	v_fmac_f64_e32 v[46:47], v[4:5], v[186:187]
	v_fma_f64 v[2:3], v[2:3], v[186:187], -v[6:7]
	v_mov_b64_e32 v[4:5], v[46:47]
.LBB58_490:
	v_cmp_ne_u32_e32 vcc, 3, v0
	s_and_saveexec_b64 s[6:7], vcc
	s_cbranch_execz .LBB58_494
; %bb.491:
	v_mov_b32_e32 v7, 0
	v_add_u32_e32 v6, 0x3c0, v68
	v_add3_u32 v7, v68, v7, 24
	s_mov_b64 s[8:9], 0
	v_mov_b32_e32 v186, v0
.LBB58_492:                             ; =>This Inner Loop Header: Depth=1
	v_add_u32_e32 v46, -8, v7
	scratch_load_dwordx4 v[188:191], v46, off
	ds_read_b128 v[192:195], v6
	v_add_u32_e32 v186, 1, v186
	v_cmp_lt_u32_e32 vcc, 2, v186
	v_add_u32_e32 v6, 16, v6
	v_add_u32_e32 v7, 16, v7
	s_or_b64 s[8:9], vcc, s[8:9]
	s_waitcnt vmcnt(0) lgkmcnt(0)
	v_mul_f64 v[46:47], v[194:195], v[190:191]
	v_mul_f64 v[190:191], v[192:193], v[190:191]
	v_fma_f64 v[46:47], v[192:193], v[188:189], -v[46:47]
	v_fmac_f64_e32 v[190:191], v[194:195], v[188:189]
	v_add_f64 v[2:3], v[2:3], v[46:47]
	v_add_f64 v[4:5], v[4:5], v[190:191]
	s_andn2_b64 exec, exec, s[8:9]
	s_cbranch_execnz .LBB58_492
; %bb.493:
	s_or_b64 exec, exec, s[8:9]
.LBB58_494:
	s_or_b64 exec, exec, s[6:7]
	v_mov_b32_e32 v6, 0
	ds_read_b128 v[186:189], v6 offset:64
	s_waitcnt lgkmcnt(0)
	v_mul_f64 v[6:7], v[4:5], v[188:189]
	v_mul_f64 v[190:191], v[2:3], v[188:189]
	v_fma_f64 v[188:189], v[2:3], v[186:187], -v[6:7]
	v_fmac_f64_e32 v[190:191], v[4:5], v[186:187]
	scratch_store_dwordx4 off, v[188:191], off offset:64
.LBB58_495:
	s_or_b64 exec, exec, s[2:3]
	scratch_load_dwordx4 v[2:5], v181, off
	v_cmp_gt_u32_e32 vcc, 5, v0
	s_waitcnt vmcnt(0)
	ds_write_b128 v9, v[2:5]
	s_waitcnt lgkmcnt(0)
	; wave barrier
	s_waitcnt lgkmcnt(0)
	s_and_saveexec_b64 s[2:3], vcc
	s_cbranch_execz .LBB58_503
; %bb.496:
	ds_read_b128 v[2:5], v9
	s_and_b64 vcc, exec, s[0:1]
	s_cbranch_vccnz .LBB58_498
; %bb.497:
	scratch_load_dwordx4 v[186:189], v8, off
	s_waitcnt vmcnt(0) lgkmcnt(0)
	v_mul_f64 v[46:47], v[2:3], v[188:189]
	v_mul_f64 v[6:7], v[4:5], v[188:189]
	v_fmac_f64_e32 v[46:47], v[4:5], v[186:187]
	v_fma_f64 v[2:3], v[2:3], v[186:187], -v[6:7]
	v_mov_b64_e32 v[4:5], v[46:47]
.LBB58_498:
	v_cmp_ne_u32_e32 vcc, 4, v0
	s_and_saveexec_b64 s[6:7], vcc
	s_cbranch_execz .LBB58_502
; %bb.499:
	v_mov_b32_e32 v7, 0
	v_add_u32_e32 v6, 0x3c0, v68
	v_add3_u32 v7, v68, v7, 24
	s_mov_b64 s[8:9], 0
	v_mov_b32_e32 v186, v0
.LBB58_500:                             ; =>This Inner Loop Header: Depth=1
	v_add_u32_e32 v46, -8, v7
	scratch_load_dwordx4 v[188:191], v46, off
	ds_read_b128 v[192:195], v6
	v_add_u32_e32 v186, 1, v186
	v_cmp_lt_u32_e32 vcc, 3, v186
	v_add_u32_e32 v6, 16, v6
	v_add_u32_e32 v7, 16, v7
	s_or_b64 s[8:9], vcc, s[8:9]
	s_waitcnt vmcnt(0) lgkmcnt(0)
	v_mul_f64 v[46:47], v[194:195], v[190:191]
	v_mul_f64 v[190:191], v[192:193], v[190:191]
	v_fma_f64 v[46:47], v[192:193], v[188:189], -v[46:47]
	v_fmac_f64_e32 v[190:191], v[194:195], v[188:189]
	v_add_f64 v[2:3], v[2:3], v[46:47]
	v_add_f64 v[4:5], v[4:5], v[190:191]
	s_andn2_b64 exec, exec, s[8:9]
	s_cbranch_execnz .LBB58_500
; %bb.501:
	s_or_b64 exec, exec, s[8:9]
.LBB58_502:
	s_or_b64 exec, exec, s[6:7]
	v_mov_b32_e32 v6, 0
	ds_read_b128 v[186:189], v6 offset:80
	s_waitcnt lgkmcnt(0)
	v_mul_f64 v[6:7], v[4:5], v[188:189]
	v_mul_f64 v[190:191], v[2:3], v[188:189]
	v_fma_f64 v[188:189], v[2:3], v[186:187], -v[6:7]
	v_fmac_f64_e32 v[190:191], v[4:5], v[186:187]
	scratch_store_dwordx4 off, v[188:191], off offset:80
.LBB58_503:
	;; [unrolled: 63-line block ×53, first 2 shown]
	s_or_b64 exec, exec, s[2:3]
	scratch_load_dwordx4 v[2:5], v10, off
	v_cmp_gt_u32_e64 s[2:3], 57, v0
	s_waitcnt vmcnt(0)
	ds_write_b128 v9, v[2:5]
	s_waitcnt lgkmcnt(0)
	; wave barrier
	s_waitcnt lgkmcnt(0)
	s_and_saveexec_b64 s[6:7], s[2:3]
	s_cbranch_execz .LBB58_919
; %bb.912:
	ds_read_b128 v[2:5], v9
	s_and_b64 vcc, exec, s[0:1]
	s_cbranch_vccnz .LBB58_914
; %bb.913:
	scratch_load_dwordx4 v[186:189], v8, off
	s_waitcnt vmcnt(0) lgkmcnt(0)
	v_mul_f64 v[46:47], v[2:3], v[188:189]
	v_mul_f64 v[6:7], v[4:5], v[188:189]
	v_fmac_f64_e32 v[46:47], v[4:5], v[186:187]
	v_fma_f64 v[2:3], v[2:3], v[186:187], -v[6:7]
	v_mov_b64_e32 v[4:5], v[46:47]
.LBB58_914:
	v_cmp_ne_u32_e32 vcc, 56, v0
	s_and_saveexec_b64 s[8:9], vcc
	s_cbranch_execz .LBB58_918
; %bb.915:
	v_mov_b32_e32 v7, 0
	v_add_u32_e32 v6, 0x3c0, v68
	v_add3_u32 v7, v68, v7, 24
	s_mov_b64 s[10:11], 0
	v_mov_b32_e32 v186, v0
.LBB58_916:                             ; =>This Inner Loop Header: Depth=1
	v_add_u32_e32 v46, -8, v7
	scratch_load_dwordx4 v[188:191], v46, off
	ds_read_b128 v[192:195], v6
	v_add_u32_e32 v186, 1, v186
	v_cmp_lt_u32_e32 vcc, 55, v186
	v_add_u32_e32 v6, 16, v6
	v_add_u32_e32 v7, 16, v7
	s_or_b64 s[10:11], vcc, s[10:11]
	s_waitcnt vmcnt(0) lgkmcnt(0)
	v_mul_f64 v[46:47], v[194:195], v[190:191]
	v_mul_f64 v[190:191], v[192:193], v[190:191]
	v_fma_f64 v[46:47], v[192:193], v[188:189], -v[46:47]
	v_fmac_f64_e32 v[190:191], v[194:195], v[188:189]
	v_add_f64 v[2:3], v[2:3], v[46:47]
	v_add_f64 v[4:5], v[4:5], v[190:191]
	s_andn2_b64 exec, exec, s[10:11]
	s_cbranch_execnz .LBB58_916
; %bb.917:
	s_or_b64 exec, exec, s[10:11]
.LBB58_918:
	s_or_b64 exec, exec, s[8:9]
	v_mov_b32_e32 v6, 0
	ds_read_b128 v[186:189], v6 offset:912
	s_waitcnt lgkmcnt(0)
	v_mul_f64 v[6:7], v[4:5], v[188:189]
	v_mul_f64 v[190:191], v[2:3], v[188:189]
	v_fma_f64 v[188:189], v[2:3], v[186:187], -v[6:7]
	v_fmac_f64_e32 v[190:191], v[4:5], v[186:187]
	scratch_store_dwordx4 off, v[188:191], off offset:912
.LBB58_919:
	s_or_b64 exec, exec, s[6:7]
	scratch_load_dwordx4 v[2:5], v1, off
	v_cmp_ne_u32_e32 vcc, 58, v0
                                        ; implicit-def: $vgpr6_vgpr7
                                        ; implicit-def: $vgpr186
	s_waitcnt vmcnt(0)
	ds_write_b128 v9, v[2:5]
	s_waitcnt lgkmcnt(0)
	; wave barrier
	s_waitcnt lgkmcnt(0)
	s_and_saveexec_b64 s[6:7], vcc
	s_cbranch_execz .LBB58_927
; %bb.920:
	ds_read_b128 v[2:5], v9
	s_and_b64 vcc, exec, s[0:1]
	s_cbranch_vccnz .LBB58_922
; %bb.921:
	scratch_load_dwordx4 v[6:9], v8, off
	s_waitcnt vmcnt(0) lgkmcnt(0)
	v_mul_f64 v[46:47], v[4:5], v[8:9]
	v_mul_f64 v[8:9], v[2:3], v[8:9]
	v_fmac_f64_e32 v[8:9], v[4:5], v[6:7]
	v_fma_f64 v[2:3], v[2:3], v[6:7], -v[46:47]
	v_mov_b64_e32 v[4:5], v[8:9]
.LBB58_922:
	s_and_saveexec_b64 s[0:1], s[2:3]
	s_cbranch_execz .LBB58_926
; %bb.923:
	v_mov_b32_e32 v7, 0
	v_add_u32_e32 v6, 0x3c0, v68
	v_add3_u32 v7, v68, v7, 24
	s_mov_b64 s[2:3], 0
.LBB58_924:                             ; =>This Inner Loop Header: Depth=1
	v_add_u32_e32 v8, -8, v7
	scratch_load_dwordx4 v[186:189], v8, off
	ds_read_b128 v[190:193], v6
	v_add_u32_e32 v0, 1, v0
	v_cmp_lt_u32_e32 vcc, 56, v0
	v_add_u32_e32 v6, 16, v6
	v_add_u32_e32 v7, 16, v7
	s_or_b64 s[2:3], vcc, s[2:3]
	s_waitcnt vmcnt(0) lgkmcnt(0)
	v_mul_f64 v[8:9], v[192:193], v[188:189]
	v_mul_f64 v[46:47], v[190:191], v[188:189]
	v_fma_f64 v[8:9], v[190:191], v[186:187], -v[8:9]
	v_fmac_f64_e32 v[46:47], v[192:193], v[186:187]
	v_add_f64 v[2:3], v[2:3], v[8:9]
	v_add_f64 v[4:5], v[4:5], v[46:47]
	s_andn2_b64 exec, exec, s[2:3]
	s_cbranch_execnz .LBB58_924
; %bb.925:
	s_or_b64 exec, exec, s[2:3]
.LBB58_926:
	s_or_b64 exec, exec, s[0:1]
	v_mov_b32_e32 v0, 0
	ds_read_b128 v[188:191], v0 offset:928
	v_mov_b32_e32 v0, 0
	v_add_u32_e32 v186, 0x3a8, v0
	s_or_b64 s[4:5], s[4:5], exec
	s_waitcnt lgkmcnt(0)
	v_mul_f64 v[8:9], v[4:5], v[190:191]
	v_mul_f64 v[6:7], v[2:3], v[190:191]
	v_fma_f64 v[2:3], v[2:3], v[188:189], -v[8:9]
	v_fmac_f64_e32 v[6:7], v[4:5], v[188:189]
	scratch_store_dwordx2 off, v[2:3], off offset:928
.LBB58_927:
	s_or_b64 exec, exec, s[6:7]
.LBB58_928:
	s_and_saveexec_b64 s[0:1], s[4:5]
	s_cbranch_execz .LBB58_930
; %bb.929:
	scratch_store_dwordx2 v186, v[6:7], off
.LBB58_930:
	s_or_b64 exec, exec, s[0:1]
	scratch_load_dwordx4 v[2:5], off, off
	scratch_load_dwordx4 v[6:9], v185, off
	s_nop 0
	scratch_load_dwordx4 v[184:187], v184, off
	s_nop 0
	scratch_load_dwordx4 v[188:191], v183, off
	scratch_load_dwordx4 v[192:195], v182, off
	scratch_load_dwordx4 v[196:199], v181, off
	s_nop 0
	scratch_load_dwordx4 v[180:183], v180, off
	s_nop 0
	scratch_load_dwordx4 v[200:203], v179, off
	scratch_load_dwordx4 v[204:207], v178, off
	;; [unrolled: 6-line block ×6, first 2 shown]
	s_waitcnt vmcnt(24)
	global_store_dwordx4 v[12:13], v[2:5], off
	scratch_load_dwordx4 v[2:5], v161, off
	s_nop 0
	scratch_load_dwordx4 v[160:163], v160, off
	s_waitcnt vmcnt(26)
	global_store_dwordx4 v[14:15], v[6:9], off
	scratch_load_dwordx4 v[6:9], v159, off
	s_nop 0
	scratch_load_dwordx4 v[12:15], v158, off
	s_waitcnt vmcnt(28)
	global_store_dwordx4 v[16:17], v[184:187], off
	scratch_load_dwordx4 v[184:187], v157, off
	s_nop 0
	scratch_load_dwordx4 v[156:159], v156, off
	s_waitcnt vmcnt(30)
	global_store_dwordx4 v[18:19], v[188:191], off
	scratch_load_dwordx4 v[16:19], v155, off
	s_nop 0
	scratch_load_dwordx4 v[188:191], v154, off
	s_waitcnt vmcnt(32)
	global_store_dwordx4 v[20:21], v[192:195], off
	scratch_load_dwordx4 v[192:195], v153, off
	s_nop 0
	scratch_load_dwordx4 v[152:155], v152, off
	s_waitcnt vmcnt(34)
	global_store_dwordx4 v[22:23], v[196:199], off
	scratch_load_dwordx4 v[20:23], v151, off
	s_nop 0
	scratch_load_dwordx4 v[196:199], v150, off
	s_waitcnt vmcnt(36)
	global_store_dwordx4 v[24:25], v[180:183], off
	scratch_load_dwordx4 v[180:183], v149, off
	s_nop 0
	scratch_load_dwordx4 v[148:151], v148, off
	s_waitcnt vmcnt(38)
	global_store_dwordx4 v[26:27], v[200:203], off
	scratch_load_dwordx4 v[24:27], v147, off
	s_nop 0
	scratch_load_dwordx4 v[200:203], v146, off
	s_waitcnt vmcnt(40)
	global_store_dwordx4 v[28:29], v[204:207], off
	scratch_load_dwordx4 v[204:207], v145, off
	s_nop 0
	scratch_load_dwordx4 v[144:147], v144, off
	s_waitcnt vmcnt(42)
	global_store_dwordx4 v[30:31], v[208:211], off
	scratch_load_dwordx4 v[28:31], v143, off
	s_nop 0
	scratch_load_dwordx4 v[208:211], v142, off
	s_waitcnt vmcnt(44)
	global_store_dwordx4 v[32:33], v[176:179], off
	scratch_load_dwordx4 v[176:179], v141, off
	s_nop 0
	scratch_load_dwordx4 v[140:143], v140, off
	s_waitcnt vmcnt(46)
	global_store_dwordx4 v[34:35], v[212:215], off
	scratch_load_dwordx4 v[32:35], v139, off
	s_nop 0
	scratch_load_dwordx4 v[212:215], v138, off
	s_waitcnt vmcnt(48)
	global_store_dwordx4 v[36:37], v[216:219], off
	scratch_load_dwordx4 v[216:219], v137, off
	s_nop 0
	scratch_load_dwordx4 v[136:139], v136, off
	s_waitcnt vmcnt(50)
	global_store_dwordx4 v[38:39], v[220:223], off
	scratch_load_dwordx4 v[36:39], v135, off
	s_nop 0
	scratch_load_dwordx4 v[220:223], v134, off
	s_waitcnt vmcnt(52)
	global_store_dwordx4 v[40:41], v[172:175], off
	scratch_load_dwordx4 v[172:175], v133, off
	s_nop 0
	scratch_load_dwordx4 v[132:135], v132, off
	s_waitcnt vmcnt(54)
	global_store_dwordx4 v[42:43], v[224:227], off
	scratch_load_dwordx4 v[40:43], v69, off
	s_nop 0
	scratch_load_dwordx4 v[224:227], v11, off
	s_waitcnt vmcnt(56)
	global_store_dwordx4 v[44:45], v[228:231], off
	scratch_load_dwordx4 v[228:231], v10, off
	s_nop 0
	scratch_load_dwordx4 v[44:47], v1, off
	v_accvgpr_read_b32 v0, a0
	v_accvgpr_read_b32 v1, a1
	s_waitcnt vmcnt(58)
	global_store_dwordx4 v[0:1], v[232:235], off
	s_waitcnt vmcnt(58)
	global_store_dwordx4 v[48:49], v[168:171], off
	;; [unrolled: 2-line block ×42, first 2 shown]
.LBB58_931:
	s_endpgm
	.section	.rodata,"a",@progbits
	.p2align	6, 0x0
	.amdhsa_kernel _ZN9rocsolver6v33100L18trti2_kernel_smallILi59E19rocblas_complex_numIdEPS3_EEv13rocblas_fill_17rocblas_diagonal_T1_iil
		.amdhsa_group_segment_fixed_size 1888
		.amdhsa_private_segment_fixed_size 960
		.amdhsa_kernarg_size 32
		.amdhsa_user_sgpr_count 2
		.amdhsa_user_sgpr_dispatch_ptr 0
		.amdhsa_user_sgpr_queue_ptr 0
		.amdhsa_user_sgpr_kernarg_segment_ptr 1
		.amdhsa_user_sgpr_dispatch_id 0
		.amdhsa_user_sgpr_kernarg_preload_length 0
		.amdhsa_user_sgpr_kernarg_preload_offset 0
		.amdhsa_user_sgpr_private_segment_size 0
		.amdhsa_uses_dynamic_stack 0
		.amdhsa_enable_private_segment 1
		.amdhsa_system_sgpr_workgroup_id_x 1
		.amdhsa_system_sgpr_workgroup_id_y 0
		.amdhsa_system_sgpr_workgroup_id_z 0
		.amdhsa_system_sgpr_workgroup_info 0
		.amdhsa_system_vgpr_workitem_id 0
		.amdhsa_next_free_vgpr 258
		.amdhsa_next_free_sgpr 12
		.amdhsa_accum_offset 256
		.amdhsa_reserve_vcc 1
		.amdhsa_float_round_mode_32 0
		.amdhsa_float_round_mode_16_64 0
		.amdhsa_float_denorm_mode_32 3
		.amdhsa_float_denorm_mode_16_64 3
		.amdhsa_dx10_clamp 1
		.amdhsa_ieee_mode 1
		.amdhsa_fp16_overflow 0
		.amdhsa_tg_split 0
		.amdhsa_exception_fp_ieee_invalid_op 0
		.amdhsa_exception_fp_denorm_src 0
		.amdhsa_exception_fp_ieee_div_zero 0
		.amdhsa_exception_fp_ieee_overflow 0
		.amdhsa_exception_fp_ieee_underflow 0
		.amdhsa_exception_fp_ieee_inexact 0
		.amdhsa_exception_int_div_zero 0
	.end_amdhsa_kernel
	.section	.text._ZN9rocsolver6v33100L18trti2_kernel_smallILi59E19rocblas_complex_numIdEPS3_EEv13rocblas_fill_17rocblas_diagonal_T1_iil,"axG",@progbits,_ZN9rocsolver6v33100L18trti2_kernel_smallILi59E19rocblas_complex_numIdEPS3_EEv13rocblas_fill_17rocblas_diagonal_T1_iil,comdat
.Lfunc_end58:
	.size	_ZN9rocsolver6v33100L18trti2_kernel_smallILi59E19rocblas_complex_numIdEPS3_EEv13rocblas_fill_17rocblas_diagonal_T1_iil, .Lfunc_end58-_ZN9rocsolver6v33100L18trti2_kernel_smallILi59E19rocblas_complex_numIdEPS3_EEv13rocblas_fill_17rocblas_diagonal_T1_iil
                                        ; -- End function
	.section	.AMDGPU.csdata,"",@progbits
; Kernel info:
; codeLenInByte = 39028
; NumSgprs: 18
; NumVgprs: 256
; NumAgprs: 2
; TotalNumVgprs: 258
; ScratchSize: 960
; MemoryBound: 0
; FloatMode: 240
; IeeeMode: 1
; LDSByteSize: 1888 bytes/workgroup (compile time only)
; SGPRBlocks: 2
; VGPRBlocks: 32
; NumSGPRsForWavesPerEU: 18
; NumVGPRsForWavesPerEU: 258
; AccumOffset: 256
; Occupancy: 1
; WaveLimiterHint : 0
; COMPUTE_PGM_RSRC2:SCRATCH_EN: 1
; COMPUTE_PGM_RSRC2:USER_SGPR: 2
; COMPUTE_PGM_RSRC2:TRAP_HANDLER: 0
; COMPUTE_PGM_RSRC2:TGID_X_EN: 1
; COMPUTE_PGM_RSRC2:TGID_Y_EN: 0
; COMPUTE_PGM_RSRC2:TGID_Z_EN: 0
; COMPUTE_PGM_RSRC2:TIDIG_COMP_CNT: 0
; COMPUTE_PGM_RSRC3_GFX90A:ACCUM_OFFSET: 63
; COMPUTE_PGM_RSRC3_GFX90A:TG_SPLIT: 0
	.section	.text._ZN9rocsolver6v33100L18trti2_kernel_smallILi60E19rocblas_complex_numIdEPS3_EEv13rocblas_fill_17rocblas_diagonal_T1_iil,"axG",@progbits,_ZN9rocsolver6v33100L18trti2_kernel_smallILi60E19rocblas_complex_numIdEPS3_EEv13rocblas_fill_17rocblas_diagonal_T1_iil,comdat
	.globl	_ZN9rocsolver6v33100L18trti2_kernel_smallILi60E19rocblas_complex_numIdEPS3_EEv13rocblas_fill_17rocblas_diagonal_T1_iil ; -- Begin function _ZN9rocsolver6v33100L18trti2_kernel_smallILi60E19rocblas_complex_numIdEPS3_EEv13rocblas_fill_17rocblas_diagonal_T1_iil
	.p2align	8
	.type	_ZN9rocsolver6v33100L18trti2_kernel_smallILi60E19rocblas_complex_numIdEPS3_EEv13rocblas_fill_17rocblas_diagonal_T1_iil,@function
_ZN9rocsolver6v33100L18trti2_kernel_smallILi60E19rocblas_complex_numIdEPS3_EEv13rocblas_fill_17rocblas_diagonal_T1_iil: ; @_ZN9rocsolver6v33100L18trti2_kernel_smallILi60E19rocblas_complex_numIdEPS3_EEv13rocblas_fill_17rocblas_diagonal_T1_iil
; %bb.0:
	v_cmp_gt_u32_e32 vcc, 60, v0
	s_and_saveexec_b64 s[4:5], vcc
	s_cbranch_execz .LBB59_947
; %bb.1:
	s_load_dwordx8 s[4:11], s[0:1], 0x0
	s_ashr_i32 s3, s2, 31
	v_lshlrev_b32_e32 v164, 4, v0
	v_mov_b32_e32 v165, 0
	v_mov_b32_e32 v1, 0
	s_waitcnt lgkmcnt(0)
	s_ashr_i32 s1, s8, 31
	s_mov_b32 s0, s8
	s_mul_i32 s8, s2, s11
	s_mul_hi_u32 s11, s2, s10
	s_add_i32 s8, s11, s8
	s_mul_i32 s3, s3, s10
	s_add_i32 s3, s8, s3
	s_mul_i32 s2, s2, s10
	s_lshl_b64 s[2:3], s[2:3], 4
	s_add_u32 s2, s6, s2
	s_addc_u32 s3, s7, s3
	s_lshl_b64 s[0:1], s[0:1], 4
	s_add_u32 s0, s2, s0
	s_addc_u32 s1, s3, s1
	v_lshl_add_u64 v[118:119], s[0:1], 0, v[164:165]
	s_ashr_i32 s3, s9, 31
	s_mov_b32 s2, s9
	v_lshl_add_u64 v[120:121], s[2:3], 4, v[118:119]
	s_add_i32 s2, s9, s9
	v_add_u32_e32 v14, s2, v0
	v_ashrrev_i32_e32 v15, 31, v14
	v_lshl_add_u64 v[122:123], v[14:15], 4, s[0:1]
	v_add_u32_e32 v14, s9, v14
	v_add_u32_e32 v22, s9, v14
	v_ashrrev_i32_e32 v23, 31, v22
	v_lshl_add_u64 v[126:127], v[22:23], 4, s[0:1]
	v_add_u32_e32 v22, s9, v22
	;; [unrolled: 4-line block ×12, first 2 shown]
	v_add_u32_e32 v110, s9, v102
	v_ashrrev_i32_e32 v111, 31, v110
	v_ashrrev_i32_e32 v71, 31, v70
	;; [unrolled: 1-line block ×3, first 2 shown]
	v_lshl_add_u64 v[172:173], v[110:111], 4, s[0:1]
	v_add_u32_e32 v110, s9, v110
	v_ashrrev_i32_e32 v15, 31, v14
	v_ashrrev_i32_e32 v23, 31, v22
	;; [unrolled: 1-line block ×7, first 2 shown]
	v_lshl_add_u64 v[72:73], v[70:71], 4, s[0:1]
	v_lshl_add_u64 v[80:81], v[78:79], 4, s[0:1]
	v_ashrrev_i32_e32 v87, 31, v86
	v_ashrrev_i32_e32 v95, 31, v94
	;; [unrolled: 1-line block ×4, first 2 shown]
	v_lshl_add_u64 v[124:125], v[14:15], 4, s[0:1]
	v_lshl_add_u64 v[128:129], v[22:23], 4, s[0:1]
	;; [unrolled: 1-line block ×7, first 2 shown]
	v_accvgpr_write_b32 a0, v72
	v_accvgpr_write_b32 a2, v74
	;; [unrolled: 1-line block ×3, first 2 shown]
	v_lshl_add_u64 v[160:161], v[86:87], 4, s[0:1]
	v_lshl_add_u64 v[166:167], v[94:95], 4, s[0:1]
	;; [unrolled: 1-line block ×4, first 2 shown]
	global_load_dwordx4 v[2:5], v164, s[0:1]
	global_load_dwordx4 v[6:9], v[120:121], off
	global_load_dwordx4 v[10:13], v[122:123], off
	;; [unrolled: 1-line block ×16, first 2 shown]
	v_accvgpr_write_b32 a1, v73
	global_load_dwordx4 v[70:73], v[72:73], off
	v_accvgpr_write_b32 a3, v75
	global_load_dwordx4 v[74:77], v[74:75], off
	;; [unrolled: 2-line block ×3, first 2 shown]
	s_nop 0
	global_load_dwordx4 v[82:85], v[158:159], off
	global_load_dwordx4 v[86:89], v[160:161], off
	;; [unrolled: 1-line block ×8, first 2 shown]
	v_add_u32_e32 v178, s9, v110
	v_add_u32_e32 v180, s9, v178
	;; [unrolled: 1-line block ×32, first 2 shown]
	v_ashrrev_i32_e32 v111, 31, v110
	v_lshl_add_u64 v[176:177], v[110:111], 4, s[0:1]
	global_load_dwordx4 v[110:113], v[176:177], off
	v_ashrrev_i32_e32 v179, 31, v178
	v_ashrrev_i32_e32 v181, 31, v180
	;; [unrolled: 1-line block ×16, first 2 shown]
	s_waitcnt vmcnt(28)
	scratch_store_dwordx4 off, v[2:5], off
	s_waitcnt vmcnt(28)
	scratch_store_dwordx4 off, v[6:9], off offset:16
	s_waitcnt vmcnt(28)
	scratch_store_dwordx4 off, v[10:13], off offset:32
	;; [unrolled: 2-line block ×26, first 2 shown]
	v_lshl_add_u64 v[12:13], v[178:179], 4, s[0:1]
	s_waitcnt vmcnt(28)
	scratch_store_dwordx4 off, v[114:117], off offset:432
	v_lshl_add_u64 v[14:15], v[180:181], 4, s[0:1]
	v_ashrrev_i32_e32 v183, 31, v182
	v_lshl_add_u64 v[18:19], v[184:185], 4, s[0:1]
	v_ashrrev_i32_e32 v187, 31, v186
	;; [unrolled: 2-line block ×15, first 2 shown]
	global_load_dwordx4 v[2:5], v[12:13], off
	v_lshl_add_u64 v[16:17], v[182:183], 4, s[0:1]
	global_load_dwordx4 v[6:9], v[14:15], off
	global_load_dwordx4 v[74:77], v[16:17], off
	v_lshl_add_u64 v[20:21], v[186:187], 4, s[0:1]
	global_load_dwordx4 v[78:81], v[18:19], off
	;; [unrolled: 3-line block ×15, first 2 shown]
	global_load_dwordx4 v[250:253], v[72:73], off
	s_cmpk_lg_i32 s5, 0x84
	s_cselect_b64 s[6:7], -1, 0
	s_cmpk_eq_i32 s5, 0x84
	s_waitcnt vmcnt(30)
	scratch_store_dwordx4 off, v[2:5], off offset:448
	s_waitcnt vmcnt(30)
	scratch_store_dwordx4 off, v[6:9], off offset:464
	;; [unrolled: 2-line block ×31, first 2 shown]
	scratch_store_dwordx4 off, v[110:113], off offset:944
	s_cbranch_scc1 .LBB59_7
; %bb.2:
	scratch_load_dwordx4 v[8:11], v164, off
                                        ; implicit-def: $vgpr6_vgpr7
	s_waitcnt vmcnt(0)
	v_xor_b32_e32 v3, 0x80000000, v9
	v_cmp_gt_f64_e32 vcc, 0, v[8:9]
	v_xor_b32_e32 v4, 0x80000000, v11
	v_mov_b32_e32 v2, v8
	v_cndmask_b32_e32 v3, v9, v3, vcc
	v_cmp_gt_f64_e32 vcc, 0, v[10:11]
	s_nop 1
	v_cndmask_b32_e32 v5, v11, v4, vcc
	v_mov_b32_e32 v4, v10
	v_cmp_ngt_f64_e32 vcc, v[2:3], v[4:5]
                                        ; implicit-def: $vgpr2_vgpr3
	s_and_saveexec_b64 s[0:1], vcc
	s_xor_b64 s[0:1], exec, s[0:1]
	s_cbranch_execz .LBB59_4
; %bb.3:
	v_div_scale_f64 v[2:3], s[2:3], v[10:11], v[10:11], v[8:9]
	v_rcp_f64_e32 v[4:5], v[2:3]
	v_div_scale_f64 v[6:7], vcc, v[8:9], v[10:11], v[8:9]
	v_fma_f64 v[74:75], -v[2:3], v[4:5], 1.0
	v_fmac_f64_e32 v[4:5], v[4:5], v[74:75]
	v_fma_f64 v[74:75], -v[2:3], v[4:5], 1.0
	v_fmac_f64_e32 v[4:5], v[4:5], v[74:75]
	v_mul_f64 v[74:75], v[6:7], v[4:5]
	v_fma_f64 v[2:3], -v[2:3], v[74:75], v[6:7]
	v_div_fmas_f64 v[2:3], v[2:3], v[4:5], v[74:75]
	v_div_fixup_f64 v[2:3], v[2:3], v[10:11], v[8:9]
	v_fmac_f64_e32 v[10:11], v[8:9], v[2:3]
	v_div_scale_f64 v[4:5], s[2:3], v[10:11], v[10:11], 1.0
	v_rcp_f64_e32 v[6:7], v[4:5]
	s_nop 0
	v_fma_f64 v[8:9], -v[4:5], v[6:7], 1.0
	v_fmac_f64_e32 v[6:7], v[6:7], v[8:9]
	v_fma_f64 v[8:9], -v[4:5], v[6:7], 1.0
	v_fmac_f64_e32 v[6:7], v[6:7], v[8:9]
	v_div_scale_f64 v[8:9], vcc, 1.0, v[10:11], 1.0
	v_mul_f64 v[74:75], v[8:9], v[6:7]
	v_fma_f64 v[4:5], -v[4:5], v[74:75], v[8:9]
                                        ; implicit-def: $vgpr8_vgpr9
	s_nop 1
	v_div_fmas_f64 v[4:5], v[4:5], v[6:7], v[74:75]
	v_div_fixup_f64 v[4:5], v[4:5], v[10:11], 1.0
	v_mul_f64 v[2:3], v[2:3], v[4:5]
	v_xor_b32_e32 v5, 0x80000000, v5
	v_xor_b32_e32 v7, 0x80000000, v3
	v_mov_b32_e32 v6, v2
.LBB59_4:
	s_or_saveexec_b64 s[0:1], s[0:1]
	v_add_u32_e32 v74, 0, v164
	s_xor_b64 exec, exec, s[0:1]
	s_cbranch_execz .LBB59_6
; %bb.5:
	v_div_scale_f64 v[2:3], s[2:3], v[8:9], v[8:9], v[10:11]
	v_rcp_f64_e32 v[4:5], v[2:3]
	v_div_scale_f64 v[6:7], vcc, v[10:11], v[8:9], v[10:11]
	v_fma_f64 v[76:77], -v[2:3], v[4:5], 1.0
	v_fmac_f64_e32 v[4:5], v[4:5], v[76:77]
	v_fma_f64 v[76:77], -v[2:3], v[4:5], 1.0
	v_fmac_f64_e32 v[4:5], v[4:5], v[76:77]
	v_mul_f64 v[76:77], v[6:7], v[4:5]
	v_fma_f64 v[2:3], -v[2:3], v[76:77], v[6:7]
	v_div_fmas_f64 v[2:3], v[2:3], v[4:5], v[76:77]
	v_div_fixup_f64 v[4:5], v[2:3], v[8:9], v[10:11]
	v_fmac_f64_e32 v[8:9], v[10:11], v[4:5]
	v_div_scale_f64 v[2:3], s[2:3], v[8:9], v[8:9], 1.0
	v_rcp_f64_e32 v[6:7], v[2:3]
	s_nop 0
	v_fma_f64 v[10:11], -v[2:3], v[6:7], 1.0
	v_fmac_f64_e32 v[6:7], v[6:7], v[10:11]
	v_fma_f64 v[10:11], -v[2:3], v[6:7], 1.0
	v_fmac_f64_e32 v[6:7], v[6:7], v[10:11]
	v_div_scale_f64 v[10:11], vcc, 1.0, v[8:9], 1.0
	v_mul_f64 v[76:77], v[10:11], v[6:7]
	v_fma_f64 v[2:3], -v[2:3], v[76:77], v[10:11]
	s_nop 1
	v_div_fmas_f64 v[2:3], v[2:3], v[6:7], v[76:77]
	v_div_fixup_f64 v[2:3], v[2:3], v[8:9], 1.0
	v_xor_b32_e32 v7, 0x80000000, v3
	v_mov_b32_e32 v6, v2
	v_mul_f64 v[4:5], v[4:5], -v[2:3]
.LBB59_6:
	s_or_b64 exec, exec, s[0:1]
	scratch_store_dwordx4 v74, v[2:5], off
	s_nop 1
	v_xor_b32_e32 v5, 0x80000000, v5
	s_branch .LBB59_8
.LBB59_7:
	v_mov_b64_e32 v[4:5], 0
	v_mov_b64_e32 v[6:7], -1.0
.LBB59_8:
	v_mov_b32_e32 v8, v4
	v_mov_b32_e32 v9, v5
	v_add_u32_e32 v188, 16, v1
	v_add_u32_e32 v187, 32, v1
	;; [unrolled: 1-line block ×59, first 2 shown]
	ds_write_b128 v164, v[6:9]
	s_cmpk_eq_i32 s4, 0x79
	v_add_u32_e32 v9, 0x3c0, v164
	v_add_u32_e32 v8, 0, v164
	s_cbranch_scc1 .LBB59_476
; %bb.9:
	scratch_load_dwordx4 v[2:5], v154, off
	v_cmp_eq_u32_e64 s[0:1], 59, v0
	s_waitcnt vmcnt(0)
	ds_write_b128 v9, v[2:5]
	s_waitcnt lgkmcnt(0)
	; wave barrier
	s_waitcnt lgkmcnt(0)
	s_and_saveexec_b64 s[2:3], s[0:1]
	s_cbranch_execz .LBB59_13
; %bb.10:
	ds_read_b128 v[2:5], v9
	s_andn2_b64 vcc, exec, s[6:7]
	s_cbranch_vccnz .LBB59_12
; %bb.11:
	scratch_load_dwordx4 v[190:193], v8, off
	s_waitcnt vmcnt(0) lgkmcnt(0)
	v_mul_f64 v[74:75], v[2:3], v[192:193]
	v_mul_f64 v[6:7], v[4:5], v[192:193]
	v_fmac_f64_e32 v[74:75], v[4:5], v[190:191]
	v_fma_f64 v[2:3], v[2:3], v[190:191], -v[6:7]
	v_mov_b64_e32 v[4:5], v[74:75]
.LBB59_12:
	v_mov_b32_e32 v6, 0
	ds_read_b128 v[190:193], v6 offset:928
	s_waitcnt lgkmcnt(0)
	v_mul_f64 v[6:7], v[4:5], v[192:193]
	v_mul_f64 v[194:195], v[2:3], v[192:193]
	v_fma_f64 v[192:193], v[2:3], v[190:191], -v[6:7]
	v_fmac_f64_e32 v[194:195], v[4:5], v[190:191]
	scratch_store_dwordx4 off, v[192:195], off offset:928
.LBB59_13:
	s_or_b64 exec, exec, s[2:3]
	scratch_load_dwordx4 v[2:5], v152, off
	v_cmp_lt_u32_e64 s[2:3], 57, v0
	s_waitcnt vmcnt(0)
	ds_write_b128 v9, v[2:5]
	s_waitcnt lgkmcnt(0)
	; wave barrier
	s_waitcnt lgkmcnt(0)
	s_and_saveexec_b64 s[4:5], s[2:3]
	s_cbranch_execz .LBB59_19
; %bb.14:
	ds_read_b128 v[2:5], v9
	s_andn2_b64 vcc, exec, s[6:7]
	s_cbranch_vccnz .LBB59_16
; %bb.15:
	scratch_load_dwordx4 v[190:193], v8, off
	s_waitcnt vmcnt(0) lgkmcnt(0)
	v_mul_f64 v[74:75], v[2:3], v[192:193]
	v_mul_f64 v[6:7], v[4:5], v[192:193]
	v_fmac_f64_e32 v[74:75], v[4:5], v[190:191]
	v_fma_f64 v[2:3], v[2:3], v[190:191], -v[6:7]
	v_mov_b64_e32 v[4:5], v[74:75]
.LBB59_16:
	s_and_saveexec_b64 s[8:9], s[0:1]
	s_cbranch_execz .LBB59_18
; %bb.17:
	scratch_load_dwordx4 v[190:193], off, off offset:928
	v_mov_b32_e32 v6, 0
	ds_read_b128 v[194:197], v6 offset:1888
	s_waitcnt vmcnt(0) lgkmcnt(0)
	v_mul_f64 v[6:7], v[194:195], v[192:193]
	v_mul_f64 v[74:75], v[196:197], v[192:193]
	v_fmac_f64_e32 v[6:7], v[196:197], v[190:191]
	v_fma_f64 v[74:75], v[194:195], v[190:191], -v[74:75]
	v_add_f64 v[4:5], v[4:5], v[6:7]
	v_add_f64 v[2:3], v[2:3], v[74:75]
.LBB59_18:
	s_or_b64 exec, exec, s[8:9]
	v_mov_b32_e32 v6, 0
	ds_read_b128 v[190:193], v6 offset:912
	s_waitcnt lgkmcnt(0)
	v_mul_f64 v[6:7], v[4:5], v[192:193]
	v_mul_f64 v[194:195], v[2:3], v[192:193]
	v_fma_f64 v[192:193], v[2:3], v[190:191], -v[6:7]
	v_fmac_f64_e32 v[194:195], v[4:5], v[190:191]
	scratch_store_dwordx4 off, v[192:195], off offset:912
.LBB59_19:
	s_or_b64 exec, exec, s[4:5]
	scratch_load_dwordx4 v[2:5], v10, off
	v_cmp_lt_u32_e64 s[0:1], 56, v0
	s_waitcnt vmcnt(0)
	ds_write_b128 v9, v[2:5]
	s_waitcnt lgkmcnt(0)
	; wave barrier
	s_waitcnt lgkmcnt(0)
	s_and_saveexec_b64 s[4:5], s[0:1]
	s_cbranch_execz .LBB59_27
; %bb.20:
	ds_read_b128 v[2:5], v9
	s_andn2_b64 vcc, exec, s[6:7]
	s_cbranch_vccnz .LBB59_22
; %bb.21:
	scratch_load_dwordx4 v[190:193], v8, off
	s_waitcnt vmcnt(0) lgkmcnt(0)
	v_mul_f64 v[74:75], v[2:3], v[192:193]
	v_mul_f64 v[6:7], v[4:5], v[192:193]
	v_fmac_f64_e32 v[74:75], v[4:5], v[190:191]
	v_fma_f64 v[2:3], v[2:3], v[190:191], -v[6:7]
	v_mov_b64_e32 v[4:5], v[74:75]
.LBB59_22:
	s_and_saveexec_b64 s[8:9], s[2:3]
	s_cbranch_execz .LBB59_26
; %bb.23:
	v_mov_b32_e32 v7, 0
	v_subrev_u32_e32 v6, 57, v0
	v_add_u32_e32 v7, 0x398, v7
	s_movk_i32 s10, 0x750
	s_mov_b64 s[2:3], 0
.LBB59_24:                              ; =>This Inner Loop Header: Depth=1
	v_add_u32_e32 v74, -8, v7
	scratch_load_dwordx4 v[190:193], v74, off
	v_mov_b32_e32 v74, s10
	ds_read_b128 v[194:197], v74
	v_add_u32_e32 v6, -1, v6
	s_add_i32 s10, s10, 16
	v_cmp_eq_u32_e32 vcc, 0, v6
	v_add_u32_e32 v7, 16, v7
	s_or_b64 s[2:3], vcc, s[2:3]
	s_waitcnt vmcnt(0) lgkmcnt(0)
	v_mul_f64 v[74:75], v[196:197], v[192:193]
	v_mul_f64 v[76:77], v[194:195], v[192:193]
	v_fma_f64 v[74:75], v[194:195], v[190:191], -v[74:75]
	v_fmac_f64_e32 v[76:77], v[196:197], v[190:191]
	v_add_f64 v[2:3], v[2:3], v[74:75]
	v_add_f64 v[4:5], v[4:5], v[76:77]
	s_andn2_b64 exec, exec, s[2:3]
	s_cbranch_execnz .LBB59_24
; %bb.25:
	s_or_b64 exec, exec, s[2:3]
.LBB59_26:
	s_or_b64 exec, exec, s[8:9]
	v_mov_b32_e32 v6, 0
	ds_read_b128 v[190:193], v6 offset:896
	s_waitcnt lgkmcnt(0)
	v_mul_f64 v[6:7], v[4:5], v[192:193]
	v_mul_f64 v[194:195], v[2:3], v[192:193]
	v_fma_f64 v[192:193], v[2:3], v[190:191], -v[6:7]
	v_fmac_f64_e32 v[194:195], v[4:5], v[190:191]
	scratch_store_dwordx4 off, v[192:195], off offset:896
.LBB59_27:
	s_or_b64 exec, exec, s[4:5]
	scratch_load_dwordx4 v[2:5], v11, off
	v_cmp_lt_u32_e64 s[2:3], 55, v0
	s_waitcnt vmcnt(0)
	ds_write_b128 v9, v[2:5]
	s_waitcnt lgkmcnt(0)
	; wave barrier
	s_waitcnt lgkmcnt(0)
	s_and_saveexec_b64 s[4:5], s[2:3]
	s_cbranch_execz .LBB59_35
; %bb.28:
	ds_read_b128 v[2:5], v9
	s_andn2_b64 vcc, exec, s[6:7]
	s_cbranch_vccnz .LBB59_30
; %bb.29:
	scratch_load_dwordx4 v[190:193], v8, off
	s_waitcnt vmcnt(0) lgkmcnt(0)
	v_mul_f64 v[74:75], v[2:3], v[192:193]
	v_mul_f64 v[6:7], v[4:5], v[192:193]
	v_fmac_f64_e32 v[74:75], v[4:5], v[190:191]
	v_fma_f64 v[2:3], v[2:3], v[190:191], -v[6:7]
	v_mov_b64_e32 v[4:5], v[74:75]
.LBB59_30:
	s_and_saveexec_b64 s[8:9], s[0:1]
	s_cbranch_execz .LBB59_34
; %bb.31:
	v_mov_b32_e32 v7, 0
	v_subrev_u32_e32 v6, 56, v0
	v_add_u32_e32 v7, 0x388, v7
	s_movk_i32 s10, 0x740
	s_mov_b64 s[0:1], 0
.LBB59_32:                              ; =>This Inner Loop Header: Depth=1
	v_add_u32_e32 v74, -8, v7
	scratch_load_dwordx4 v[190:193], v74, off
	v_mov_b32_e32 v74, s10
	ds_read_b128 v[194:197], v74
	v_add_u32_e32 v6, -1, v6
	s_add_i32 s10, s10, 16
	v_cmp_eq_u32_e32 vcc, 0, v6
	v_add_u32_e32 v7, 16, v7
	s_or_b64 s[0:1], vcc, s[0:1]
	s_waitcnt vmcnt(0) lgkmcnt(0)
	v_mul_f64 v[74:75], v[196:197], v[192:193]
	v_mul_f64 v[76:77], v[194:195], v[192:193]
	v_fma_f64 v[74:75], v[194:195], v[190:191], -v[74:75]
	v_fmac_f64_e32 v[76:77], v[196:197], v[190:191]
	v_add_f64 v[2:3], v[2:3], v[74:75]
	v_add_f64 v[4:5], v[4:5], v[76:77]
	s_andn2_b64 exec, exec, s[0:1]
	s_cbranch_execnz .LBB59_32
; %bb.33:
	s_or_b64 exec, exec, s[0:1]
.LBB59_34:
	s_or_b64 exec, exec, s[8:9]
	v_mov_b32_e32 v6, 0
	ds_read_b128 v[190:193], v6 offset:880
	s_waitcnt lgkmcnt(0)
	v_mul_f64 v[6:7], v[4:5], v[192:193]
	v_mul_f64 v[194:195], v[2:3], v[192:193]
	v_fma_f64 v[192:193], v[2:3], v[190:191], -v[6:7]
	v_fmac_f64_e32 v[194:195], v[4:5], v[190:191]
	scratch_store_dwordx4 off, v[192:195], off offset:880
.LBB59_35:
	;; [unrolled: 63-line block ×10, first 2 shown]
	s_or_b64 exec, exec, s[4:5]
	scratch_load_dwordx4 v[2:5], v84, off
	v_cmp_lt_u32_e64 s[0:1], 46, v0
	s_waitcnt vmcnt(0)
	ds_write_b128 v9, v[2:5]
	s_waitcnt lgkmcnt(0)
	; wave barrier
	s_waitcnt lgkmcnt(0)
	s_and_saveexec_b64 s[4:5], s[0:1]
	s_cbranch_execz .LBB59_107
; %bb.100:
	ds_read_b128 v[2:5], v9
	s_andn2_b64 vcc, exec, s[6:7]
	s_cbranch_vccnz .LBB59_102
; %bb.101:
	scratch_load_dwordx4 v[190:193], v8, off
	s_waitcnt vmcnt(0) lgkmcnt(0)
	v_mul_f64 v[74:75], v[2:3], v[192:193]
	v_mul_f64 v[6:7], v[4:5], v[192:193]
	v_fmac_f64_e32 v[74:75], v[4:5], v[190:191]
	v_fma_f64 v[2:3], v[2:3], v[190:191], -v[6:7]
	v_mov_b64_e32 v[4:5], v[74:75]
.LBB59_102:
	s_and_saveexec_b64 s[8:9], s[2:3]
	s_cbranch_execz .LBB59_106
; %bb.103:
	v_mov_b32_e32 v7, 0
	v_subrev_u32_e32 v6, 47, v0
	v_add_u32_e32 v7, 0x2f8, v7
	s_movk_i32 s10, 0x6b0
	s_mov_b64 s[2:3], 0
.LBB59_104:                             ; =>This Inner Loop Header: Depth=1
	v_add_u32_e32 v74, -8, v7
	scratch_load_dwordx4 v[190:193], v74, off
	v_mov_b32_e32 v74, s10
	ds_read_b128 v[194:197], v74
	v_add_u32_e32 v6, -1, v6
	s_add_i32 s10, s10, 16
	v_cmp_eq_u32_e32 vcc, 0, v6
	v_add_u32_e32 v7, 16, v7
	s_or_b64 s[2:3], vcc, s[2:3]
	s_waitcnt vmcnt(0) lgkmcnt(0)
	v_mul_f64 v[74:75], v[196:197], v[192:193]
	v_mul_f64 v[76:77], v[194:195], v[192:193]
	v_fma_f64 v[74:75], v[194:195], v[190:191], -v[74:75]
	v_fmac_f64_e32 v[76:77], v[196:197], v[190:191]
	v_add_f64 v[2:3], v[2:3], v[74:75]
	v_add_f64 v[4:5], v[4:5], v[76:77]
	s_andn2_b64 exec, exec, s[2:3]
	s_cbranch_execnz .LBB59_104
; %bb.105:
	s_or_b64 exec, exec, s[2:3]
.LBB59_106:
	s_or_b64 exec, exec, s[8:9]
	v_mov_b32_e32 v6, 0
	ds_read_b128 v[190:193], v6 offset:736
	s_waitcnt lgkmcnt(0)
	v_mul_f64 v[6:7], v[4:5], v[192:193]
	v_mul_f64 v[194:195], v[2:3], v[192:193]
	v_fma_f64 v[192:193], v[2:3], v[190:191], -v[6:7]
	v_fmac_f64_e32 v[194:195], v[4:5], v[190:191]
	scratch_store_dwordx4 off, v[192:195], off offset:736
.LBB59_107:
	s_or_b64 exec, exec, s[4:5]
	scratch_load_dwordx4 v[2:5], v85, off
	v_cmp_lt_u32_e64 s[2:3], 45, v0
	s_waitcnt vmcnt(0)
	ds_write_b128 v9, v[2:5]
	s_waitcnt lgkmcnt(0)
	; wave barrier
	s_waitcnt lgkmcnt(0)
	s_and_saveexec_b64 s[4:5], s[2:3]
	s_cbranch_execz .LBB59_115
; %bb.108:
	ds_read_b128 v[2:5], v9
	s_andn2_b64 vcc, exec, s[6:7]
	s_cbranch_vccnz .LBB59_110
; %bb.109:
	scratch_load_dwordx4 v[190:193], v8, off
	s_waitcnt vmcnt(0) lgkmcnt(0)
	v_mul_f64 v[74:75], v[2:3], v[192:193]
	v_mul_f64 v[6:7], v[4:5], v[192:193]
	v_fmac_f64_e32 v[74:75], v[4:5], v[190:191]
	v_fma_f64 v[2:3], v[2:3], v[190:191], -v[6:7]
	v_mov_b64_e32 v[4:5], v[74:75]
.LBB59_110:
	s_and_saveexec_b64 s[8:9], s[0:1]
	s_cbranch_execz .LBB59_114
; %bb.111:
	v_mov_b32_e32 v7, 0
	v_subrev_u32_e32 v6, 46, v0
	v_add_u32_e32 v7, 0x2e8, v7
	s_movk_i32 s10, 0x6a0
	s_mov_b64 s[0:1], 0
.LBB59_112:                             ; =>This Inner Loop Header: Depth=1
	v_add_u32_e32 v74, -8, v7
	scratch_load_dwordx4 v[190:193], v74, off
	v_mov_b32_e32 v74, s10
	ds_read_b128 v[194:197], v74
	v_add_u32_e32 v6, -1, v6
	s_add_i32 s10, s10, 16
	v_cmp_eq_u32_e32 vcc, 0, v6
	v_add_u32_e32 v7, 16, v7
	s_or_b64 s[0:1], vcc, s[0:1]
	s_waitcnt vmcnt(0) lgkmcnt(0)
	v_mul_f64 v[74:75], v[196:197], v[192:193]
	v_mul_f64 v[76:77], v[194:195], v[192:193]
	v_fma_f64 v[74:75], v[194:195], v[190:191], -v[74:75]
	v_fmac_f64_e32 v[76:77], v[196:197], v[190:191]
	v_add_f64 v[2:3], v[2:3], v[74:75]
	v_add_f64 v[4:5], v[4:5], v[76:77]
	s_andn2_b64 exec, exec, s[0:1]
	s_cbranch_execnz .LBB59_112
; %bb.113:
	s_or_b64 exec, exec, s[0:1]
.LBB59_114:
	s_or_b64 exec, exec, s[8:9]
	v_mov_b32_e32 v6, 0
	ds_read_b128 v[190:193], v6 offset:720
	s_waitcnt lgkmcnt(0)
	v_mul_f64 v[6:7], v[4:5], v[192:193]
	v_mul_f64 v[194:195], v[2:3], v[192:193]
	v_fma_f64 v[192:193], v[2:3], v[190:191], -v[6:7]
	v_fmac_f64_e32 v[194:195], v[4:5], v[190:191]
	scratch_store_dwordx4 off, v[192:195], off offset:720
.LBB59_115:
	;; [unrolled: 63-line block ×31, first 2 shown]
	s_or_b64 exec, exec, s[4:5]
	scratch_load_dwordx4 v[2:5], v115, off
	v_cmp_lt_u32_e64 s[2:3], 15, v0
	s_waitcnt vmcnt(0)
	ds_write_b128 v9, v[2:5]
	s_waitcnt lgkmcnt(0)
	; wave barrier
	s_waitcnt lgkmcnt(0)
	s_and_saveexec_b64 s[4:5], s[2:3]
	s_cbranch_execz .LBB59_355
; %bb.348:
	ds_read_b128 v[2:5], v9
	s_andn2_b64 vcc, exec, s[6:7]
	s_cbranch_vccnz .LBB59_350
; %bb.349:
	scratch_load_dwordx4 v[190:193], v8, off
	s_waitcnt vmcnt(0) lgkmcnt(0)
	v_mul_f64 v[74:75], v[2:3], v[192:193]
	v_mul_f64 v[6:7], v[4:5], v[192:193]
	v_fmac_f64_e32 v[74:75], v[4:5], v[190:191]
	v_fma_f64 v[2:3], v[2:3], v[190:191], -v[6:7]
	v_mov_b64_e32 v[4:5], v[74:75]
.LBB59_350:
	s_and_saveexec_b64 s[8:9], s[0:1]
	s_cbranch_execz .LBB59_354
; %bb.351:
	v_mov_b32_e32 v7, 0
	v_add_u32_e32 v6, -16, v0
	v_add_u32_e32 v7, 0x108, v7
	s_movk_i32 s10, 0x4c0
	s_mov_b64 s[0:1], 0
.LBB59_352:                             ; =>This Inner Loop Header: Depth=1
	v_add_u32_e32 v74, -8, v7
	scratch_load_dwordx4 v[190:193], v74, off
	v_mov_b32_e32 v74, s10
	ds_read_b128 v[194:197], v74
	v_add_u32_e32 v6, -1, v6
	s_add_i32 s10, s10, 16
	v_cmp_eq_u32_e32 vcc, 0, v6
	v_add_u32_e32 v7, 16, v7
	s_or_b64 s[0:1], vcc, s[0:1]
	s_waitcnt vmcnt(0) lgkmcnt(0)
	v_mul_f64 v[74:75], v[196:197], v[192:193]
	v_mul_f64 v[76:77], v[194:195], v[192:193]
	v_fma_f64 v[74:75], v[194:195], v[190:191], -v[74:75]
	v_fmac_f64_e32 v[76:77], v[196:197], v[190:191]
	v_add_f64 v[2:3], v[2:3], v[74:75]
	v_add_f64 v[4:5], v[4:5], v[76:77]
	s_andn2_b64 exec, exec, s[0:1]
	s_cbranch_execnz .LBB59_352
; %bb.353:
	s_or_b64 exec, exec, s[0:1]
.LBB59_354:
	s_or_b64 exec, exec, s[8:9]
	v_mov_b32_e32 v6, 0
	ds_read_b128 v[190:193], v6 offset:240
	s_waitcnt lgkmcnt(0)
	v_mul_f64 v[6:7], v[4:5], v[192:193]
	v_mul_f64 v[194:195], v[2:3], v[192:193]
	v_fma_f64 v[192:193], v[2:3], v[190:191], -v[6:7]
	v_fmac_f64_e32 v[194:195], v[4:5], v[190:191]
	scratch_store_dwordx4 off, v[192:195], off offset:240
.LBB59_355:
	s_or_b64 exec, exec, s[4:5]
	scratch_load_dwordx4 v[2:5], v116, off
	v_cmp_lt_u32_e64 s[0:1], 14, v0
	s_waitcnt vmcnt(0)
	ds_write_b128 v9, v[2:5]
	s_waitcnt lgkmcnt(0)
	; wave barrier
	s_waitcnt lgkmcnt(0)
	s_and_saveexec_b64 s[4:5], s[0:1]
	s_cbranch_execz .LBB59_363
; %bb.356:
	ds_read_b128 v[2:5], v9
	s_andn2_b64 vcc, exec, s[6:7]
	s_cbranch_vccnz .LBB59_358
; %bb.357:
	scratch_load_dwordx4 v[190:193], v8, off
	s_waitcnt vmcnt(0) lgkmcnt(0)
	v_mul_f64 v[74:75], v[2:3], v[192:193]
	v_mul_f64 v[6:7], v[4:5], v[192:193]
	v_fmac_f64_e32 v[74:75], v[4:5], v[190:191]
	v_fma_f64 v[2:3], v[2:3], v[190:191], -v[6:7]
	v_mov_b64_e32 v[4:5], v[74:75]
.LBB59_358:
	s_and_saveexec_b64 s[8:9], s[2:3]
	s_cbranch_execz .LBB59_362
; %bb.359:
	v_mov_b32_e32 v7, 0
	v_add_u32_e32 v6, -15, v0
	v_add_u32_e32 v7, 0xf8, v7
	s_movk_i32 s10, 0x4b0
	s_mov_b64 s[2:3], 0
.LBB59_360:                             ; =>This Inner Loop Header: Depth=1
	v_add_u32_e32 v74, -8, v7
	scratch_load_dwordx4 v[190:193], v74, off
	v_mov_b32_e32 v74, s10
	ds_read_b128 v[194:197], v74
	v_add_u32_e32 v6, -1, v6
	s_add_i32 s10, s10, 16
	v_cmp_eq_u32_e32 vcc, 0, v6
	v_add_u32_e32 v7, 16, v7
	s_or_b64 s[2:3], vcc, s[2:3]
	s_waitcnt vmcnt(0) lgkmcnt(0)
	v_mul_f64 v[74:75], v[196:197], v[192:193]
	v_mul_f64 v[76:77], v[194:195], v[192:193]
	v_fma_f64 v[74:75], v[194:195], v[190:191], -v[74:75]
	v_fmac_f64_e32 v[76:77], v[196:197], v[190:191]
	v_add_f64 v[2:3], v[2:3], v[74:75]
	v_add_f64 v[4:5], v[4:5], v[76:77]
	s_andn2_b64 exec, exec, s[2:3]
	s_cbranch_execnz .LBB59_360
; %bb.361:
	s_or_b64 exec, exec, s[2:3]
.LBB59_362:
	s_or_b64 exec, exec, s[8:9]
	v_mov_b32_e32 v6, 0
	ds_read_b128 v[190:193], v6 offset:224
	s_waitcnt lgkmcnt(0)
	v_mul_f64 v[6:7], v[4:5], v[192:193]
	v_mul_f64 v[194:195], v[2:3], v[192:193]
	v_fma_f64 v[192:193], v[2:3], v[190:191], -v[6:7]
	v_fmac_f64_e32 v[194:195], v[4:5], v[190:191]
	scratch_store_dwordx4 off, v[192:195], off offset:224
.LBB59_363:
	;; [unrolled: 63-line block ×15, first 2 shown]
	s_or_b64 exec, exec, s[2:3]
	scratch_load_dwordx4 v[2:5], off, off
	v_cmp_ne_u32_e32 vcc, 0, v0
	s_mov_b64 s[2:3], 0
	s_mov_b64 s[4:5], 0
                                        ; implicit-def: $vgpr6_vgpr7
                                        ; implicit-def: $vgpr189
	s_waitcnt vmcnt(0)
	ds_write_b128 v9, v[2:5]
	s_waitcnt lgkmcnt(0)
	; wave barrier
	s_waitcnt lgkmcnt(0)
	s_and_saveexec_b64 s[8:9], vcc
	s_cbranch_execz .LBB59_475
; %bb.468:
	ds_read_b128 v[2:5], v9
	s_andn2_b64 vcc, exec, s[6:7]
	s_cbranch_vccnz .LBB59_470
; %bb.469:
	scratch_load_dwordx4 v[190:193], v8, off
	s_waitcnt vmcnt(0) lgkmcnt(0)
	v_mul_f64 v[74:75], v[2:3], v[192:193]
	v_mul_f64 v[6:7], v[4:5], v[192:193]
	v_fmac_f64_e32 v[74:75], v[4:5], v[190:191]
	v_fma_f64 v[2:3], v[2:3], v[190:191], -v[6:7]
	v_mov_b64_e32 v[4:5], v[74:75]
.LBB59_470:
	s_and_saveexec_b64 s[4:5], s[0:1]
	s_cbranch_execz .LBB59_474
; %bb.471:
	v_mov_b32_e32 v7, 0
	v_add_u32_e32 v6, -1, v0
	v_add_u32_e32 v7, 24, v7
	s_movk_i32 s10, 0x3d0
	s_mov_b64 s[0:1], 0
.LBB59_472:                             ; =>This Inner Loop Header: Depth=1
	v_add_u32_e32 v74, -8, v7
	scratch_load_dwordx4 v[190:193], v74, off
	v_mov_b32_e32 v74, s10
	ds_read_b128 v[194:197], v74
	v_add_u32_e32 v6, -1, v6
	s_add_i32 s10, s10, 16
	v_cmp_eq_u32_e32 vcc, 0, v6
	v_add_u32_e32 v7, 16, v7
	s_or_b64 s[0:1], vcc, s[0:1]
	s_waitcnt vmcnt(0) lgkmcnt(0)
	v_mul_f64 v[74:75], v[196:197], v[192:193]
	v_mul_f64 v[76:77], v[194:195], v[192:193]
	v_fma_f64 v[74:75], v[194:195], v[190:191], -v[74:75]
	v_fmac_f64_e32 v[76:77], v[196:197], v[190:191]
	v_add_f64 v[2:3], v[2:3], v[74:75]
	v_add_f64 v[4:5], v[4:5], v[76:77]
	s_andn2_b64 exec, exec, s[0:1]
	s_cbranch_execnz .LBB59_472
; %bb.473:
	s_or_b64 exec, exec, s[0:1]
.LBB59_474:
	s_or_b64 exec, exec, s[4:5]
	v_mov_b32_e32 v6, 0
	ds_read_b128 v[190:193], v6
	v_mov_b32_e32 v6, 0
	v_or_b32_e32 v189, 8, v6
	s_mov_b64 s[4:5], exec
	s_waitcnt lgkmcnt(0)
	v_mul_f64 v[74:75], v[4:5], v[192:193]
	v_mul_f64 v[6:7], v[2:3], v[192:193]
	v_fma_f64 v[2:3], v[2:3], v[190:191], -v[74:75]
	v_fmac_f64_e32 v[6:7], v[4:5], v[190:191]
	scratch_store_dwordx2 off, v[2:3], off
.LBB59_475:
	s_or_b64 exec, exec, s[8:9]
	s_and_b64 vcc, exec, s[2:3]
	s_cbranch_vccnz .LBB59_477
	s_branch .LBB59_944
.LBB59_476:
	s_mov_b64 s[4:5], 0
                                        ; implicit-def: $vgpr6_vgpr7
                                        ; implicit-def: $vgpr189
	s_cbranch_execz .LBB59_944
.LBB59_477:
	scratch_load_dwordx4 v[2:5], v188, off
	v_cndmask_b32_e64 v6, 0, 1, s[6:7]
	v_cmp_eq_u32_e64 s[2:3], 0, v0
	v_cmp_ne_u32_e64 s[0:1], 1, v6
	s_waitcnt vmcnt(0)
	ds_write_b128 v9, v[2:5]
	s_waitcnt lgkmcnt(0)
	; wave barrier
	s_waitcnt lgkmcnt(0)
	s_and_saveexec_b64 s[6:7], s[2:3]
	s_cbranch_execz .LBB59_481
; %bb.478:
	ds_read_b128 v[2:5], v9
	s_and_b64 vcc, exec, s[0:1]
	s_cbranch_vccnz .LBB59_480
; %bb.479:
	scratch_load_dwordx4 v[190:193], v8, off
	s_waitcnt vmcnt(0) lgkmcnt(0)
	v_mul_f64 v[74:75], v[2:3], v[192:193]
	v_mul_f64 v[6:7], v[4:5], v[192:193]
	v_fmac_f64_e32 v[74:75], v[4:5], v[190:191]
	v_fma_f64 v[2:3], v[2:3], v[190:191], -v[6:7]
	v_mov_b64_e32 v[4:5], v[74:75]
.LBB59_480:
	v_mov_b32_e32 v6, 0
	ds_read_b128 v[190:193], v6 offset:16
	s_waitcnt lgkmcnt(0)
	v_mul_f64 v[6:7], v[4:5], v[192:193]
	v_mul_f64 v[194:195], v[2:3], v[192:193]
	v_fma_f64 v[192:193], v[2:3], v[190:191], -v[6:7]
	v_fmac_f64_e32 v[194:195], v[4:5], v[190:191]
	scratch_store_dwordx4 off, v[192:195], off offset:16
.LBB59_481:
	s_or_b64 exec, exec, s[6:7]
	scratch_load_dwordx4 v[2:5], v187, off
	v_cmp_gt_u32_e32 vcc, 2, v0
	s_waitcnt vmcnt(0)
	ds_write_b128 v9, v[2:5]
	s_waitcnt lgkmcnt(0)
	; wave barrier
	s_waitcnt lgkmcnt(0)
	s_and_saveexec_b64 s[6:7], vcc
	s_cbranch_execz .LBB59_487
; %bb.482:
	ds_read_b128 v[2:5], v9
	s_and_b64 vcc, exec, s[0:1]
	s_cbranch_vccnz .LBB59_484
; %bb.483:
	scratch_load_dwordx4 v[190:193], v8, off
	s_waitcnt vmcnt(0) lgkmcnt(0)
	v_mul_f64 v[74:75], v[2:3], v[192:193]
	v_mul_f64 v[6:7], v[4:5], v[192:193]
	v_fmac_f64_e32 v[74:75], v[4:5], v[190:191]
	v_fma_f64 v[2:3], v[2:3], v[190:191], -v[6:7]
	v_mov_b64_e32 v[4:5], v[74:75]
.LBB59_484:
	s_and_saveexec_b64 s[8:9], s[2:3]
	s_cbranch_execz .LBB59_486
; %bb.485:
	scratch_load_dwordx4 v[190:193], v8, off offset:16
	ds_read_b128 v[194:197], v9 offset:16
	s_waitcnt vmcnt(0) lgkmcnt(0)
	v_mul_f64 v[6:7], v[196:197], v[192:193]
	v_mul_f64 v[74:75], v[194:195], v[192:193]
	v_fma_f64 v[6:7], v[194:195], v[190:191], -v[6:7]
	v_fmac_f64_e32 v[74:75], v[196:197], v[190:191]
	v_add_f64 v[2:3], v[2:3], v[6:7]
	v_add_f64 v[4:5], v[4:5], v[74:75]
.LBB59_486:
	s_or_b64 exec, exec, s[8:9]
	v_mov_b32_e32 v6, 0
	ds_read_b128 v[190:193], v6 offset:32
	s_waitcnt lgkmcnt(0)
	v_mul_f64 v[6:7], v[4:5], v[192:193]
	v_mul_f64 v[194:195], v[2:3], v[192:193]
	v_fma_f64 v[192:193], v[2:3], v[190:191], -v[6:7]
	v_fmac_f64_e32 v[194:195], v[4:5], v[190:191]
	scratch_store_dwordx4 off, v[192:195], off offset:32
.LBB59_487:
	s_or_b64 exec, exec, s[6:7]
	scratch_load_dwordx4 v[2:5], v186, off
	v_cmp_gt_u32_e32 vcc, 3, v0
	s_waitcnt vmcnt(0)
	ds_write_b128 v9, v[2:5]
	s_waitcnt lgkmcnt(0)
	; wave barrier
	s_waitcnt lgkmcnt(0)
	s_and_saveexec_b64 s[6:7], vcc
	s_cbranch_execz .LBB59_495
; %bb.488:
	ds_read_b128 v[2:5], v9
	s_and_b64 vcc, exec, s[0:1]
	s_cbranch_vccnz .LBB59_490
; %bb.489:
	scratch_load_dwordx4 v[190:193], v8, off
	s_waitcnt vmcnt(0) lgkmcnt(0)
	v_mul_f64 v[74:75], v[2:3], v[192:193]
	v_mul_f64 v[6:7], v[4:5], v[192:193]
	v_fmac_f64_e32 v[74:75], v[4:5], v[190:191]
	v_fma_f64 v[2:3], v[2:3], v[190:191], -v[6:7]
	v_mov_b64_e32 v[4:5], v[74:75]
.LBB59_490:
	v_cmp_ne_u32_e32 vcc, 2, v0
	s_and_saveexec_b64 s[8:9], vcc
	s_cbranch_execz .LBB59_494
; %bb.491:
	scratch_load_dwordx4 v[190:193], v8, off offset:16
	ds_read_b128 v[194:197], v9 offset:16
	s_waitcnt vmcnt(0) lgkmcnt(0)
	v_mul_f64 v[6:7], v[196:197], v[192:193]
	v_mul_f64 v[74:75], v[194:195], v[192:193]
	v_fma_f64 v[6:7], v[194:195], v[190:191], -v[6:7]
	v_fmac_f64_e32 v[74:75], v[196:197], v[190:191]
	v_add_f64 v[2:3], v[2:3], v[6:7]
	v_add_f64 v[4:5], v[4:5], v[74:75]
	s_and_saveexec_b64 s[10:11], s[2:3]
	s_cbranch_execz .LBB59_493
; %bb.492:
	scratch_load_dwordx4 v[190:193], off, off offset:32
	v_mov_b32_e32 v6, 0
	ds_read_b128 v[194:197], v6 offset:992
	s_waitcnt vmcnt(0) lgkmcnt(0)
	v_mul_f64 v[6:7], v[194:195], v[192:193]
	v_mul_f64 v[74:75], v[196:197], v[192:193]
	v_fmac_f64_e32 v[6:7], v[196:197], v[190:191]
	v_fma_f64 v[74:75], v[194:195], v[190:191], -v[74:75]
	v_add_f64 v[4:5], v[4:5], v[6:7]
	v_add_f64 v[2:3], v[2:3], v[74:75]
.LBB59_493:
	s_or_b64 exec, exec, s[10:11]
.LBB59_494:
	s_or_b64 exec, exec, s[8:9]
	v_mov_b32_e32 v6, 0
	ds_read_b128 v[190:193], v6 offset:48
	s_waitcnt lgkmcnt(0)
	v_mul_f64 v[6:7], v[4:5], v[192:193]
	v_mul_f64 v[194:195], v[2:3], v[192:193]
	v_fma_f64 v[192:193], v[2:3], v[190:191], -v[6:7]
	v_fmac_f64_e32 v[194:195], v[4:5], v[190:191]
	scratch_store_dwordx4 off, v[192:195], off offset:48
.LBB59_495:
	s_or_b64 exec, exec, s[6:7]
	scratch_load_dwordx4 v[2:5], v185, off
	v_cmp_gt_u32_e32 vcc, 4, v0
	s_waitcnt vmcnt(0)
	ds_write_b128 v9, v[2:5]
	s_waitcnt lgkmcnt(0)
	; wave barrier
	s_waitcnt lgkmcnt(0)
	s_and_saveexec_b64 s[2:3], vcc
	s_cbranch_execz .LBB59_503
; %bb.496:
	ds_read_b128 v[2:5], v9
	s_and_b64 vcc, exec, s[0:1]
	s_cbranch_vccnz .LBB59_498
; %bb.497:
	scratch_load_dwordx4 v[190:193], v8, off
	s_waitcnt vmcnt(0) lgkmcnt(0)
	v_mul_f64 v[74:75], v[2:3], v[192:193]
	v_mul_f64 v[6:7], v[4:5], v[192:193]
	v_fmac_f64_e32 v[74:75], v[4:5], v[190:191]
	v_fma_f64 v[2:3], v[2:3], v[190:191], -v[6:7]
	v_mov_b64_e32 v[4:5], v[74:75]
.LBB59_498:
	v_cmp_ne_u32_e32 vcc, 3, v0
	s_and_saveexec_b64 s[6:7], vcc
	s_cbranch_execz .LBB59_502
; %bb.499:
	v_mov_b32_e32 v7, 0
	v_add_u32_e32 v6, 0x3d0, v164
	v_add3_u32 v7, v164, v7, 24
	s_mov_b64 s[8:9], 0
	v_mov_b32_e32 v189, v0
.LBB59_500:                             ; =>This Inner Loop Header: Depth=1
	v_add_u32_e32 v74, -8, v7
	scratch_load_dwordx4 v[190:193], v74, off
	ds_read_b128 v[194:197], v6
	v_add_u32_e32 v189, 1, v189
	v_cmp_lt_u32_e32 vcc, 2, v189
	v_add_u32_e32 v6, 16, v6
	v_add_u32_e32 v7, 16, v7
	s_or_b64 s[8:9], vcc, s[8:9]
	s_waitcnt vmcnt(0) lgkmcnt(0)
	v_mul_f64 v[74:75], v[196:197], v[192:193]
	v_mul_f64 v[76:77], v[194:195], v[192:193]
	v_fma_f64 v[74:75], v[194:195], v[190:191], -v[74:75]
	v_fmac_f64_e32 v[76:77], v[196:197], v[190:191]
	v_add_f64 v[2:3], v[2:3], v[74:75]
	v_add_f64 v[4:5], v[4:5], v[76:77]
	s_andn2_b64 exec, exec, s[8:9]
	s_cbranch_execnz .LBB59_500
; %bb.501:
	s_or_b64 exec, exec, s[8:9]
.LBB59_502:
	s_or_b64 exec, exec, s[6:7]
	v_mov_b32_e32 v6, 0
	ds_read_b128 v[190:193], v6 offset:64
	s_waitcnt lgkmcnt(0)
	v_mul_f64 v[6:7], v[4:5], v[192:193]
	v_mul_f64 v[194:195], v[2:3], v[192:193]
	v_fma_f64 v[192:193], v[2:3], v[190:191], -v[6:7]
	v_fmac_f64_e32 v[194:195], v[4:5], v[190:191]
	scratch_store_dwordx4 off, v[192:195], off offset:64
.LBB59_503:
	s_or_b64 exec, exec, s[2:3]
	scratch_load_dwordx4 v[2:5], v184, off
	v_cmp_gt_u32_e32 vcc, 5, v0
	s_waitcnt vmcnt(0)
	ds_write_b128 v9, v[2:5]
	s_waitcnt lgkmcnt(0)
	; wave barrier
	s_waitcnt lgkmcnt(0)
	s_and_saveexec_b64 s[2:3], vcc
	s_cbranch_execz .LBB59_511
; %bb.504:
	ds_read_b128 v[2:5], v9
	s_and_b64 vcc, exec, s[0:1]
	s_cbranch_vccnz .LBB59_506
; %bb.505:
	scratch_load_dwordx4 v[190:193], v8, off
	s_waitcnt vmcnt(0) lgkmcnt(0)
	v_mul_f64 v[74:75], v[2:3], v[192:193]
	v_mul_f64 v[6:7], v[4:5], v[192:193]
	v_fmac_f64_e32 v[74:75], v[4:5], v[190:191]
	v_fma_f64 v[2:3], v[2:3], v[190:191], -v[6:7]
	v_mov_b64_e32 v[4:5], v[74:75]
.LBB59_506:
	v_cmp_ne_u32_e32 vcc, 4, v0
	s_and_saveexec_b64 s[6:7], vcc
	s_cbranch_execz .LBB59_510
; %bb.507:
	v_mov_b32_e32 v7, 0
	v_add_u32_e32 v6, 0x3d0, v164
	v_add3_u32 v7, v164, v7, 24
	s_mov_b64 s[8:9], 0
	v_mov_b32_e32 v189, v0
.LBB59_508:                             ; =>This Inner Loop Header: Depth=1
	v_add_u32_e32 v74, -8, v7
	scratch_load_dwordx4 v[190:193], v74, off
	ds_read_b128 v[194:197], v6
	v_add_u32_e32 v189, 1, v189
	v_cmp_lt_u32_e32 vcc, 3, v189
	v_add_u32_e32 v6, 16, v6
	v_add_u32_e32 v7, 16, v7
	s_or_b64 s[8:9], vcc, s[8:9]
	s_waitcnt vmcnt(0) lgkmcnt(0)
	v_mul_f64 v[74:75], v[196:197], v[192:193]
	v_mul_f64 v[76:77], v[194:195], v[192:193]
	v_fma_f64 v[74:75], v[194:195], v[190:191], -v[74:75]
	v_fmac_f64_e32 v[76:77], v[196:197], v[190:191]
	v_add_f64 v[2:3], v[2:3], v[74:75]
	v_add_f64 v[4:5], v[4:5], v[76:77]
	s_andn2_b64 exec, exec, s[8:9]
	s_cbranch_execnz .LBB59_508
; %bb.509:
	s_or_b64 exec, exec, s[8:9]
.LBB59_510:
	s_or_b64 exec, exec, s[6:7]
	v_mov_b32_e32 v6, 0
	ds_read_b128 v[190:193], v6 offset:80
	s_waitcnt lgkmcnt(0)
	v_mul_f64 v[6:7], v[4:5], v[192:193]
	v_mul_f64 v[194:195], v[2:3], v[192:193]
	v_fma_f64 v[192:193], v[2:3], v[190:191], -v[6:7]
	v_fmac_f64_e32 v[194:195], v[4:5], v[190:191]
	scratch_store_dwordx4 off, v[192:195], off offset:80
.LBB59_511:
	;; [unrolled: 63-line block ×54, first 2 shown]
	s_or_b64 exec, exec, s[2:3]
	scratch_load_dwordx4 v[2:5], v154, off
	v_cmp_gt_u32_e64 s[2:3], 58, v0
	s_waitcnt vmcnt(0)
	ds_write_b128 v9, v[2:5]
	s_waitcnt lgkmcnt(0)
	; wave barrier
	s_waitcnt lgkmcnt(0)
	s_and_saveexec_b64 s[6:7], s[2:3]
	s_cbranch_execz .LBB59_935
; %bb.928:
	ds_read_b128 v[2:5], v9
	s_and_b64 vcc, exec, s[0:1]
	s_cbranch_vccnz .LBB59_930
; %bb.929:
	scratch_load_dwordx4 v[190:193], v8, off
	s_waitcnt vmcnt(0) lgkmcnt(0)
	v_mul_f64 v[74:75], v[2:3], v[192:193]
	v_mul_f64 v[6:7], v[4:5], v[192:193]
	v_fmac_f64_e32 v[74:75], v[4:5], v[190:191]
	v_fma_f64 v[2:3], v[2:3], v[190:191], -v[6:7]
	v_mov_b64_e32 v[4:5], v[74:75]
.LBB59_930:
	v_cmp_ne_u32_e32 vcc, 57, v0
	s_and_saveexec_b64 s[8:9], vcc
	s_cbranch_execz .LBB59_934
; %bb.931:
	v_mov_b32_e32 v7, 0
	v_add_u32_e32 v6, 0x3d0, v164
	v_add3_u32 v7, v164, v7, 24
	s_mov_b64 s[10:11], 0
	v_mov_b32_e32 v189, v0
.LBB59_932:                             ; =>This Inner Loop Header: Depth=1
	v_add_u32_e32 v74, -8, v7
	scratch_load_dwordx4 v[190:193], v74, off
	ds_read_b128 v[194:197], v6
	v_add_u32_e32 v189, 1, v189
	v_cmp_lt_u32_e32 vcc, 56, v189
	v_add_u32_e32 v6, 16, v6
	v_add_u32_e32 v7, 16, v7
	s_or_b64 s[10:11], vcc, s[10:11]
	s_waitcnt vmcnt(0) lgkmcnt(0)
	v_mul_f64 v[74:75], v[196:197], v[192:193]
	v_mul_f64 v[76:77], v[194:195], v[192:193]
	v_fma_f64 v[74:75], v[194:195], v[190:191], -v[74:75]
	v_fmac_f64_e32 v[76:77], v[196:197], v[190:191]
	v_add_f64 v[2:3], v[2:3], v[74:75]
	v_add_f64 v[4:5], v[4:5], v[76:77]
	s_andn2_b64 exec, exec, s[10:11]
	s_cbranch_execnz .LBB59_932
; %bb.933:
	s_or_b64 exec, exec, s[10:11]
.LBB59_934:
	s_or_b64 exec, exec, s[8:9]
	v_mov_b32_e32 v6, 0
	ds_read_b128 v[190:193], v6 offset:928
	s_waitcnt lgkmcnt(0)
	v_mul_f64 v[6:7], v[4:5], v[192:193]
	v_mul_f64 v[194:195], v[2:3], v[192:193]
	v_fma_f64 v[192:193], v[2:3], v[190:191], -v[6:7]
	v_fmac_f64_e32 v[194:195], v[4:5], v[190:191]
	scratch_store_dwordx4 off, v[192:195], off offset:928
.LBB59_935:
	s_or_b64 exec, exec, s[6:7]
	scratch_load_dwordx4 v[2:5], v1, off
	v_cmp_ne_u32_e32 vcc, 59, v0
                                        ; implicit-def: $vgpr6_vgpr7
                                        ; implicit-def: $vgpr189
	s_waitcnt vmcnt(0)
	ds_write_b128 v9, v[2:5]
	s_waitcnt lgkmcnt(0)
	; wave barrier
	s_waitcnt lgkmcnt(0)
	s_and_saveexec_b64 s[6:7], vcc
	s_cbranch_execz .LBB59_943
; %bb.936:
	ds_read_b128 v[2:5], v9
	s_and_b64 vcc, exec, s[0:1]
	s_cbranch_vccnz .LBB59_938
; %bb.937:
	scratch_load_dwordx4 v[6:9], v8, off
	s_waitcnt vmcnt(0) lgkmcnt(0)
	v_mul_f64 v[74:75], v[4:5], v[8:9]
	v_mul_f64 v[8:9], v[2:3], v[8:9]
	v_fmac_f64_e32 v[8:9], v[4:5], v[6:7]
	v_fma_f64 v[2:3], v[2:3], v[6:7], -v[74:75]
	v_mov_b64_e32 v[4:5], v[8:9]
.LBB59_938:
	s_and_saveexec_b64 s[0:1], s[2:3]
	s_cbranch_execz .LBB59_942
; %bb.939:
	v_mov_b32_e32 v7, 0
	v_add_u32_e32 v6, 0x3d0, v164
	v_add3_u32 v7, v164, v7, 24
	s_mov_b64 s[2:3], 0
.LBB59_940:                             ; =>This Inner Loop Header: Depth=1
	v_add_u32_e32 v8, -8, v7
	scratch_load_dwordx4 v[190:193], v8, off
	ds_read_b128 v[194:197], v6
	v_add_u32_e32 v0, 1, v0
	v_cmp_lt_u32_e32 vcc, 57, v0
	v_add_u32_e32 v6, 16, v6
	v_add_u32_e32 v7, 16, v7
	s_or_b64 s[2:3], vcc, s[2:3]
	s_waitcnt vmcnt(0) lgkmcnt(0)
	v_mul_f64 v[8:9], v[196:197], v[192:193]
	v_mul_f64 v[74:75], v[194:195], v[192:193]
	v_fma_f64 v[8:9], v[194:195], v[190:191], -v[8:9]
	v_fmac_f64_e32 v[74:75], v[196:197], v[190:191]
	v_add_f64 v[2:3], v[2:3], v[8:9]
	v_add_f64 v[4:5], v[4:5], v[74:75]
	s_andn2_b64 exec, exec, s[2:3]
	s_cbranch_execnz .LBB59_940
; %bb.941:
	s_or_b64 exec, exec, s[2:3]
.LBB59_942:
	s_or_b64 exec, exec, s[0:1]
	v_mov_b32_e32 v0, 0
	ds_read_b128 v[190:193], v0 offset:944
	v_mov_b32_e32 v0, 0
	v_add_u32_e32 v189, 0x3b8, v0
	s_or_b64 s[4:5], s[4:5], exec
	s_waitcnt lgkmcnt(0)
	v_mul_f64 v[8:9], v[4:5], v[192:193]
	v_mul_f64 v[6:7], v[2:3], v[192:193]
	v_fma_f64 v[2:3], v[2:3], v[190:191], -v[8:9]
	v_fmac_f64_e32 v[6:7], v[4:5], v[190:191]
	scratch_store_dwordx2 off, v[2:3], off offset:944
.LBB59_943:
	s_or_b64 exec, exec, s[6:7]
.LBB59_944:
	s_and_saveexec_b64 s[0:1], s[4:5]
	s_cbranch_execz .LBB59_946
; %bb.945:
	scratch_store_dwordx2 v189, v[6:7], off
.LBB59_946:
	s_or_b64 exec, exec, s[0:1]
	scratch_load_dwordx4 v[2:5], off, off
	scratch_load_dwordx4 v[6:9], v188, off
	s_nop 0
	scratch_load_dwordx4 v[188:191], v187, off
	scratch_load_dwordx4 v[192:195], v186, off
	;; [unrolled: 1-line block ×3, first 2 shown]
	s_nop 0
	scratch_load_dwordx4 v[184:187], v184, off
	s_nop 0
	scratch_load_dwordx4 v[200:203], v183, off
	scratch_load_dwordx4 v[204:207], v182, off
	;; [unrolled: 1-line block ×3, first 2 shown]
	s_nop 0
	scratch_load_dwordx4 v[180:183], v180, off
	s_nop 0
	scratch_load_dwordx4 v[212:215], v179, off
	scratch_load_dwordx4 v[216:219], v178, off
	;; [unrolled: 1-line block ×6, first 2 shown]
	s_nop 0
	scratch_load_dwordx4 v[114:117], v114, off
	s_nop 0
	scratch_load_dwordx4 v[236:239], v113, off
	scratch_load_dwordx4 v[240:243], v112, off
	;; [unrolled: 1-line block ×3, first 2 shown]
	s_nop 0
	scratch_load_dwordx4 v[110:113], v110, off
	s_nop 0
	scratch_load_dwordx4 v[248:251], v109, off
	scratch_load_dwordx4 v[252:255], v108, off
	;; [unrolled: 1-line block ×3, first 2 shown]
	s_waitcnt vmcnt(23)
	global_store_dwordx4 v[118:119], v[2:5], off
	scratch_load_dwordx4 v[2:5], v106, off
	s_nop 0
	scratch_load_dwordx4 v[106:109], v105, off
	s_waitcnt vmcnt(25)
	global_store_dwordx4 v[120:121], v[6:9], off
	scratch_load_dwordx4 v[6:9], v104, off
	s_nop 0
	scratch_load_dwordx4 v[118:121], v103, off
	;; [unrolled: 5-line block ×17, first 2 shown]
	v_accvgpr_read_b32 v11, a1
	v_accvgpr_read_b32 v10, a0
	s_waitcnt vmcnt(57)
	global_store_dwordx4 v[10:11], v[236:239], off
	scratch_load_dwordx4 v[236:239], v154, off
	s_nop 0
	scratch_load_dwordx4 v[154:157], v1, off
	v_accvgpr_read_b32 v0, a2
	v_accvgpr_read_b32 v1, a3
	s_waitcnt vmcnt(59)
	global_store_dwordx4 v[0:1], v[240:243], off
	v_accvgpr_read_b32 v0, a4
	v_accvgpr_read_b32 v1, a5
	s_waitcnt vmcnt(59)
	global_store_dwordx4 v[0:1], v[244:247], off
	s_waitcnt vmcnt(59)
	global_store_dwordx4 v[158:159], v[110:113], off
	;; [unrolled: 2-line block ×41, first 2 shown]
.LBB59_947:
	s_endpgm
	.section	.rodata,"a",@progbits
	.p2align	6, 0x0
	.amdhsa_kernel _ZN9rocsolver6v33100L18trti2_kernel_smallILi60E19rocblas_complex_numIdEPS3_EEv13rocblas_fill_17rocblas_diagonal_T1_iil
		.amdhsa_group_segment_fixed_size 1920
		.amdhsa_private_segment_fixed_size 976
		.amdhsa_kernarg_size 32
		.amdhsa_user_sgpr_count 2
		.amdhsa_user_sgpr_dispatch_ptr 0
		.amdhsa_user_sgpr_queue_ptr 0
		.amdhsa_user_sgpr_kernarg_segment_ptr 1
		.amdhsa_user_sgpr_dispatch_id 0
		.amdhsa_user_sgpr_kernarg_preload_length 0
		.amdhsa_user_sgpr_kernarg_preload_offset 0
		.amdhsa_user_sgpr_private_segment_size 0
		.amdhsa_uses_dynamic_stack 0
		.amdhsa_enable_private_segment 1
		.amdhsa_system_sgpr_workgroup_id_x 1
		.amdhsa_system_sgpr_workgroup_id_y 0
		.amdhsa_system_sgpr_workgroup_id_z 0
		.amdhsa_system_sgpr_workgroup_info 0
		.amdhsa_system_vgpr_workitem_id 0
		.amdhsa_next_free_vgpr 262
		.amdhsa_next_free_sgpr 12
		.amdhsa_accum_offset 256
		.amdhsa_reserve_vcc 1
		.amdhsa_float_round_mode_32 0
		.amdhsa_float_round_mode_16_64 0
		.amdhsa_float_denorm_mode_32 3
		.amdhsa_float_denorm_mode_16_64 3
		.amdhsa_dx10_clamp 1
		.amdhsa_ieee_mode 1
		.amdhsa_fp16_overflow 0
		.amdhsa_tg_split 0
		.amdhsa_exception_fp_ieee_invalid_op 0
		.amdhsa_exception_fp_denorm_src 0
		.amdhsa_exception_fp_ieee_div_zero 0
		.amdhsa_exception_fp_ieee_overflow 0
		.amdhsa_exception_fp_ieee_underflow 0
		.amdhsa_exception_fp_ieee_inexact 0
		.amdhsa_exception_int_div_zero 0
	.end_amdhsa_kernel
	.section	.text._ZN9rocsolver6v33100L18trti2_kernel_smallILi60E19rocblas_complex_numIdEPS3_EEv13rocblas_fill_17rocblas_diagonal_T1_iil,"axG",@progbits,_ZN9rocsolver6v33100L18trti2_kernel_smallILi60E19rocblas_complex_numIdEPS3_EEv13rocblas_fill_17rocblas_diagonal_T1_iil,comdat
.Lfunc_end59:
	.size	_ZN9rocsolver6v33100L18trti2_kernel_smallILi60E19rocblas_complex_numIdEPS3_EEv13rocblas_fill_17rocblas_diagonal_T1_iil, .Lfunc_end59-_ZN9rocsolver6v33100L18trti2_kernel_smallILi60E19rocblas_complex_numIdEPS3_EEv13rocblas_fill_17rocblas_diagonal_T1_iil
                                        ; -- End function
	.section	.AMDGPU.csdata,"",@progbits
; Kernel info:
; codeLenInByte = 39748
; NumSgprs: 18
; NumVgprs: 256
; NumAgprs: 6
; TotalNumVgprs: 262
; ScratchSize: 976
; MemoryBound: 0
; FloatMode: 240
; IeeeMode: 1
; LDSByteSize: 1920 bytes/workgroup (compile time only)
; SGPRBlocks: 2
; VGPRBlocks: 32
; NumSGPRsForWavesPerEU: 18
; NumVGPRsForWavesPerEU: 262
; AccumOffset: 256
; Occupancy: 1
; WaveLimiterHint : 0
; COMPUTE_PGM_RSRC2:SCRATCH_EN: 1
; COMPUTE_PGM_RSRC2:USER_SGPR: 2
; COMPUTE_PGM_RSRC2:TRAP_HANDLER: 0
; COMPUTE_PGM_RSRC2:TGID_X_EN: 1
; COMPUTE_PGM_RSRC2:TGID_Y_EN: 0
; COMPUTE_PGM_RSRC2:TGID_Z_EN: 0
; COMPUTE_PGM_RSRC2:TIDIG_COMP_CNT: 0
; COMPUTE_PGM_RSRC3_GFX90A:ACCUM_OFFSET: 63
; COMPUTE_PGM_RSRC3_GFX90A:TG_SPLIT: 0
	.section	.text._ZN9rocsolver6v33100L18trti2_kernel_smallILi61E19rocblas_complex_numIdEPS3_EEv13rocblas_fill_17rocblas_diagonal_T1_iil,"axG",@progbits,_ZN9rocsolver6v33100L18trti2_kernel_smallILi61E19rocblas_complex_numIdEPS3_EEv13rocblas_fill_17rocblas_diagonal_T1_iil,comdat
	.globl	_ZN9rocsolver6v33100L18trti2_kernel_smallILi61E19rocblas_complex_numIdEPS3_EEv13rocblas_fill_17rocblas_diagonal_T1_iil ; -- Begin function _ZN9rocsolver6v33100L18trti2_kernel_smallILi61E19rocblas_complex_numIdEPS3_EEv13rocblas_fill_17rocblas_diagonal_T1_iil
	.p2align	8
	.type	_ZN9rocsolver6v33100L18trti2_kernel_smallILi61E19rocblas_complex_numIdEPS3_EEv13rocblas_fill_17rocblas_diagonal_T1_iil,@function
_ZN9rocsolver6v33100L18trti2_kernel_smallILi61E19rocblas_complex_numIdEPS3_EEv13rocblas_fill_17rocblas_diagonal_T1_iil: ; @_ZN9rocsolver6v33100L18trti2_kernel_smallILi61E19rocblas_complex_numIdEPS3_EEv13rocblas_fill_17rocblas_diagonal_T1_iil
; %bb.0:
	v_cmp_gt_u32_e32 vcc, 61, v0
	s_and_saveexec_b64 s[4:5], vcc
	s_cbranch_execz .LBB60_1323
; %bb.1:
	s_load_dwordx8 s[4:11], s[0:1], 0x0
	s_ashr_i32 s3, s2, 31
	v_lshlrev_b32_e32 v72, 4, v0
	v_mov_b32_e32 v73, 0
	v_mov_b32_e32 v1, 0
	s_waitcnt lgkmcnt(0)
	s_ashr_i32 s1, s8, 31
	s_mov_b32 s0, s8
	s_mul_i32 s8, s2, s11
	s_mul_hi_u32 s11, s2, s10
	s_add_i32 s8, s11, s8
	s_mul_i32 s3, s3, s10
	s_add_i32 s3, s8, s3
	s_mul_i32 s2, s2, s10
	s_lshl_b64 s[2:3], s[2:3], 4
	s_add_u32 s2, s6, s2
	s_addc_u32 s3, s7, s3
	s_lshl_b64 s[0:1], s[0:1], 4
	s_add_u32 s0, s2, s0
	s_addc_u32 s1, s3, s1
	v_lshl_add_u64 v[12:13], s[0:1], 0, v[72:73]
	s_ashr_i32 s3, s9, 31
	s_mov_b32 s2, s9
	v_lshl_add_u64 v[14:15], s[2:3], 4, v[12:13]
	s_add_i32 s2, s9, s9
	v_add_u32_e32 v10, s2, v0
	v_ashrrev_i32_e32 v11, 31, v10
	v_lshl_add_u64 v[16:17], v[10:11], 4, s[0:1]
	v_add_u32_e32 v10, s9, v10
	v_ashrrev_i32_e32 v11, 31, v10
	v_lshl_add_u64 v[18:19], v[10:11], 4, s[0:1]
	;; [unrolled: 3-line block ×6, first 2 shown]
	v_add_u32_e32 v10, s9, v10
	v_ashrrev_i32_e32 v11, 31, v10
	v_add_u32_e32 v30, s9, v10
	v_lshl_add_u64 v[28:29], v[10:11], 4, s[0:1]
	v_add_u32_e32 v10, s9, v30
	v_ashrrev_i32_e32 v11, 31, v10
	v_add_u32_e32 v34, s9, v10
	v_lshl_add_u64 v[32:33], v[10:11], 4, s[0:1]
	;; [unrolled: 4-line block ×3, first 2 shown]
	v_add_u32_e32 v10, s9, v40
	v_ashrrev_i32_e32 v41, 31, v40
	v_ashrrev_i32_e32 v11, 31, v10
	v_add_u32_e32 v42, s9, v10
	v_lshl_add_u64 v[38:39], v[40:41], 4, s[0:1]
	v_lshl_add_u64 v[40:41], v[10:11], 4, s[0:1]
	v_add_u32_e32 v10, s9, v42
	v_ashrrev_i32_e32 v11, 31, v10
	v_add_u32_e32 v48, s9, v10
	v_lshl_add_u64 v[44:45], v[10:11], 4, s[0:1]
	v_ashrrev_i32_e32 v49, 31, v48
	v_add_u32_e32 v10, s9, v48
	v_lshl_add_u64 v[46:47], v[48:49], 4, s[0:1]
	;; [unrolled: 3-line block ×3, first 2 shown]
	v_add_u32_e32 v10, s9, v48
	v_ashrrev_i32_e32 v49, 31, v48
	v_ashrrev_i32_e32 v11, 31, v10
	v_lshl_add_u64 v[254:255], v[48:49], 4, s[0:1]
	v_lshl_add_u64 v[48:49], v[10:11], 4, s[0:1]
	v_add_u32_e32 v10, s9, v10
	v_ashrrev_i32_e32 v11, 31, v10
	v_lshl_add_u64 v[54:55], v[10:11], 4, s[0:1]
	v_add_u32_e32 v10, s9, v10
	v_ashrrev_i32_e32 v11, 31, v10
	;; [unrolled: 3-line block ×7, first 2 shown]
	v_ashrrev_i32_e32 v31, 31, v30
	v_ashrrev_i32_e32 v35, 31, v34
	;; [unrolled: 1-line block ×3, first 2 shown]
	v_lshl_add_u64 v[66:67], v[10:11], 4, s[0:1]
	v_add_u32_e32 v10, s9, v10
	v_lshl_add_u64 v[30:31], v[30:31], 4, s[0:1]
	v_lshl_add_u64 v[34:35], v[34:35], 4, s[0:1]
	;; [unrolled: 1-line block ×3, first 2 shown]
	v_ashrrev_i32_e32 v11, 31, v10
	global_load_dwordx4 v[2:5], v72, s[0:1]
	global_load_dwordx4 v[6:9], v[14:15], off
	global_load_dwordx4 v[74:77], v[16:17], off
	;; [unrolled: 1-line block ×26, first 2 shown]
	v_lshl_add_u64 v[68:69], v[10:11], 4, s[0:1]
	global_load_dwordx4 v[174:177], v[66:67], off
	global_load_dwordx4 v[178:181], v[68:69], off
	v_add_u32_e32 v10, s9, v10
	v_ashrrev_i32_e32 v11, 31, v10
	v_lshl_add_u64 v[70:71], v[10:11], 4, s[0:1]
	global_load_dwordx4 v[182:185], v[70:71], off
	v_accvgpr_write_b32 a0, v48
	s_cmpk_lg_i32 s5, 0x84
	v_accvgpr_write_b32 a1, v49
	s_cselect_b64 s[6:7], -1, 0
	s_cmpk_eq_i32 s5, 0x84
	s_waitcnt vmcnt(29)
	scratch_store_dwordx4 off, v[2:5], off
	s_waitcnt vmcnt(29)
	scratch_store_dwordx4 off, v[6:9], off offset:16
	s_waitcnt vmcnt(29)
	scratch_store_dwordx4 off, v[74:77], off offset:32
	;; [unrolled: 2-line block ×28, first 2 shown]
	v_add_u32_e32 v6, s9, v10
	v_ashrrev_i32_e32 v7, 31, v6
	v_lshl_add_u64 v[74:75], v[6:7], 4, s[0:1]
	v_add_u32_e32 v6, s9, v6
	v_add_u32_e32 v10, s9, v6
	v_ashrrev_i32_e32 v11, 31, v10
	v_lshl_add_u64 v[78:79], v[10:11], 4, s[0:1]
	v_add_u32_e32 v10, s9, v10
	v_ashrrev_i32_e32 v11, 31, v10
	v_lshl_add_u64 v[80:81], v[10:11], 4, s[0:1]
	;; [unrolled: 3-line block ×27, first 2 shown]
	v_add_u32_e32 v10, s9, v10
	v_ashrrev_i32_e32 v11, 31, v10
	v_ashrrev_i32_e32 v7, 31, v6
	v_lshl_add_u64 v[132:133], v[10:11], 4, s[0:1]
	v_add_u32_e32 v10, s9, v10
	s_waitcnt vmcnt(29)
	scratch_store_dwordx4 off, v[182:185], off offset:464
	v_lshl_add_u64 v[76:77], v[6:7], 4, s[0:1]
	v_ashrrev_i32_e32 v11, 31, v10
	global_load_dwordx4 v[2:5], v[74:75], off
	global_load_dwordx4 v[6:9], v[76:77], off
	global_load_dwordx4 v[136:139], v[78:79], off
	global_load_dwordx4 v[140:143], v[80:81], off
	global_load_dwordx4 v[144:147], v[82:83], off
	global_load_dwordx4 v[148:151], v[84:85], off
	global_load_dwordx4 v[152:155], v[86:87], off
	global_load_dwordx4 v[156:159], v[88:89], off
	global_load_dwordx4 v[160:163], v[90:91], off
	global_load_dwordx4 v[164:167], v[92:93], off
	global_load_dwordx4 v[168:171], v[94:95], off
	global_load_dwordx4 v[172:175], v[96:97], off
	global_load_dwordx4 v[176:179], v[98:99], off
	global_load_dwordx4 v[180:183], v[100:101], off
	global_load_dwordx4 v[184:187], v[102:103], off
	global_load_dwordx4 v[188:191], v[104:105], off
	global_load_dwordx4 v[192:195], v[106:107], off
	global_load_dwordx4 v[196:199], v[108:109], off
	global_load_dwordx4 v[200:203], v[110:111], off
	global_load_dwordx4 v[204:207], v[112:113], off
	global_load_dwordx4 v[208:211], v[114:115], off
	global_load_dwordx4 v[212:215], v[116:117], off
	global_load_dwordx4 v[216:219], v[118:119], off
	global_load_dwordx4 v[220:223], v[120:121], off
	global_load_dwordx4 v[224:227], v[122:123], off
	global_load_dwordx4 v[228:231], v[124:125], off
	global_load_dwordx4 v[232:235], v[126:127], off
	global_load_dwordx4 v[236:239], v[128:129], off
	global_load_dwordx4 v[240:243], v[130:131], off
	v_lshl_add_u64 v[134:135], v[10:11], 4, s[0:1]
	global_load_dwordx4 v[244:247], v[132:133], off
	global_load_dwordx4 v[248:251], v[134:135], off
	s_waitcnt vmcnt(30)
	scratch_store_dwordx4 off, v[2:5], off offset:480
	s_waitcnt vmcnt(30)
	scratch_store_dwordx4 off, v[6:9], off offset:496
	;; [unrolled: 2-line block ×31, first 2 shown]
	s_cbranch_scc1 .LBB60_7
; %bb.2:
	scratch_load_dwordx4 v[8:11], v72, off
                                        ; implicit-def: $vgpr6_vgpr7
	s_waitcnt vmcnt(0)
	v_xor_b32_e32 v3, 0x80000000, v9
	v_cmp_gt_f64_e32 vcc, 0, v[8:9]
	v_xor_b32_e32 v4, 0x80000000, v11
	v_mov_b32_e32 v2, v8
	v_cndmask_b32_e32 v3, v9, v3, vcc
	v_cmp_gt_f64_e32 vcc, 0, v[10:11]
	s_nop 1
	v_cndmask_b32_e32 v5, v11, v4, vcc
	v_mov_b32_e32 v4, v10
	v_cmp_ngt_f64_e32 vcc, v[2:3], v[4:5]
                                        ; implicit-def: $vgpr2_vgpr3
	s_and_saveexec_b64 s[0:1], vcc
	s_xor_b64 s[0:1], exec, s[0:1]
	s_cbranch_execz .LBB60_4
; %bb.3:
	v_div_scale_f64 v[2:3], s[2:3], v[10:11], v[10:11], v[8:9]
	v_rcp_f64_e32 v[4:5], v[2:3]
	v_div_scale_f64 v[6:7], vcc, v[8:9], v[10:11], v[8:9]
	v_fma_f64 v[48:49], -v[2:3], v[4:5], 1.0
	v_fmac_f64_e32 v[4:5], v[4:5], v[48:49]
	v_fma_f64 v[48:49], -v[2:3], v[4:5], 1.0
	v_fmac_f64_e32 v[4:5], v[4:5], v[48:49]
	v_mul_f64 v[48:49], v[6:7], v[4:5]
	v_fma_f64 v[2:3], -v[2:3], v[48:49], v[6:7]
	v_div_fmas_f64 v[2:3], v[2:3], v[4:5], v[48:49]
	v_div_fixup_f64 v[2:3], v[2:3], v[10:11], v[8:9]
	v_fmac_f64_e32 v[10:11], v[8:9], v[2:3]
	v_div_scale_f64 v[4:5], s[2:3], v[10:11], v[10:11], 1.0
	v_rcp_f64_e32 v[6:7], v[4:5]
	s_nop 0
	v_fma_f64 v[8:9], -v[4:5], v[6:7], 1.0
	v_fmac_f64_e32 v[6:7], v[6:7], v[8:9]
	v_fma_f64 v[8:9], -v[4:5], v[6:7], 1.0
	v_fmac_f64_e32 v[6:7], v[6:7], v[8:9]
	v_div_scale_f64 v[8:9], vcc, 1.0, v[10:11], 1.0
	v_mul_f64 v[48:49], v[8:9], v[6:7]
	v_fma_f64 v[4:5], -v[4:5], v[48:49], v[8:9]
                                        ; implicit-def: $vgpr8_vgpr9
	s_nop 1
	v_div_fmas_f64 v[4:5], v[4:5], v[6:7], v[48:49]
	v_div_fixup_f64 v[4:5], v[4:5], v[10:11], 1.0
	v_mul_f64 v[2:3], v[2:3], v[4:5]
	v_xor_b32_e32 v5, 0x80000000, v5
	v_xor_b32_e32 v7, 0x80000000, v3
	v_mov_b32_e32 v6, v2
.LBB60_4:
	s_or_saveexec_b64 s[0:1], s[0:1]
	v_add_u32_e32 v73, 0, v72
	s_xor_b64 exec, exec, s[0:1]
	s_cbranch_execz .LBB60_6
; %bb.5:
	v_div_scale_f64 v[2:3], s[2:3], v[8:9], v[8:9], v[10:11]
	v_rcp_f64_e32 v[4:5], v[2:3]
	v_div_scale_f64 v[6:7], vcc, v[10:11], v[8:9], v[10:11]
	v_fma_f64 v[48:49], -v[2:3], v[4:5], 1.0
	v_fmac_f64_e32 v[4:5], v[4:5], v[48:49]
	v_fma_f64 v[48:49], -v[2:3], v[4:5], 1.0
	v_fmac_f64_e32 v[4:5], v[4:5], v[48:49]
	v_mul_f64 v[48:49], v[6:7], v[4:5]
	v_fma_f64 v[2:3], -v[2:3], v[48:49], v[6:7]
	v_div_fmas_f64 v[2:3], v[2:3], v[4:5], v[48:49]
	v_div_fixup_f64 v[4:5], v[2:3], v[8:9], v[10:11]
	v_fmac_f64_e32 v[8:9], v[10:11], v[4:5]
	v_div_scale_f64 v[2:3], s[2:3], v[8:9], v[8:9], 1.0
	v_rcp_f64_e32 v[6:7], v[2:3]
	s_nop 0
	v_fma_f64 v[10:11], -v[2:3], v[6:7], 1.0
	v_fmac_f64_e32 v[6:7], v[6:7], v[10:11]
	v_fma_f64 v[10:11], -v[2:3], v[6:7], 1.0
	v_fmac_f64_e32 v[6:7], v[6:7], v[10:11]
	v_div_scale_f64 v[10:11], vcc, 1.0, v[8:9], 1.0
	v_mul_f64 v[48:49], v[10:11], v[6:7]
	v_fma_f64 v[2:3], -v[2:3], v[48:49], v[10:11]
	s_nop 1
	v_div_fmas_f64 v[2:3], v[2:3], v[6:7], v[48:49]
	v_div_fixup_f64 v[2:3], v[2:3], v[8:9], 1.0
	v_xor_b32_e32 v7, 0x80000000, v3
	v_mov_b32_e32 v6, v2
	v_mul_f64 v[4:5], v[4:5], -v[2:3]
.LBB60_6:
	s_or_b64 exec, exec, s[0:1]
	scratch_store_dwordx4 v73, v[2:5], off
	s_nop 1
	v_xor_b32_e32 v5, 0x80000000, v5
	s_branch .LBB60_8
.LBB60_7:
	v_mov_b64_e32 v[4:5], 0
	v_mov_b64_e32 v[6:7], -1.0
.LBB60_8:
	v_mov_b32_e32 v8, v4
	v_mov_b32_e32 v9, v5
	v_add_u32_e32 v191, 16, v1
	v_add_u32_e32 v190, 32, v1
	;; [unrolled: 1-line block ×60, first 2 shown]
	ds_write_b128 v72, v[6:9]
	s_cmpk_eq_i32 s4, 0x79
	v_add_u32_e32 v9, 0x3d0, v72
	v_add_u32_e32 v8, 0, v72
	s_cbranch_scc1 .LBB60_832
; %bb.9:
	scratch_load_dwordx4 v[2:5], v214, off
	v_cmp_eq_u32_e64 s[0:1], 60, v0
	s_waitcnt vmcnt(0)
	ds_write_b128 v9, v[2:5]
	s_waitcnt lgkmcnt(0)
	; wave barrier
	s_waitcnt lgkmcnt(0)
	s_and_saveexec_b64 s[2:3], s[0:1]
	s_cbranch_execz .LBB60_13
; %bb.10:
	ds_read_b128 v[2:5], v9
	s_andn2_b64 vcc, exec, s[6:7]
	s_cbranch_vccnz .LBB60_12
; %bb.11:
	scratch_load_dwordx4 v[192:195], v8, off
	s_waitcnt vmcnt(0) lgkmcnt(0)
	v_mul_f64 v[10:11], v[2:3], v[194:195]
	v_mul_f64 v[6:7], v[4:5], v[194:195]
	v_fmac_f64_e32 v[10:11], v[4:5], v[192:193]
	v_fma_f64 v[2:3], v[2:3], v[192:193], -v[6:7]
	v_mov_b64_e32 v[4:5], v[10:11]
.LBB60_12:
	v_mov_b32_e32 v6, 0
	ds_read_b128 v[192:195], v6 offset:944
	s_waitcnt lgkmcnt(0)
	v_mul_f64 v[6:7], v[4:5], v[194:195]
	v_mul_f64 v[196:197], v[2:3], v[194:195]
	v_fma_f64 v[194:195], v[2:3], v[192:193], -v[6:7]
	v_fmac_f64_e32 v[196:197], v[4:5], v[192:193]
	scratch_store_dwordx4 off, v[194:197], off offset:944
.LBB60_13:
	s_or_b64 exec, exec, s[2:3]
	scratch_load_dwordx4 v[2:5], v48, off
	v_cmp_lt_u32_e64 s[2:3], 58, v0
	s_waitcnt vmcnt(0)
	ds_write_b128 v9, v[2:5]
	s_waitcnt lgkmcnt(0)
	; wave barrier
	s_waitcnt lgkmcnt(0)
	s_and_saveexec_b64 s[4:5], s[2:3]
	s_cbranch_execz .LBB60_19
; %bb.14:
	ds_read_b128 v[2:5], v9
	s_andn2_b64 vcc, exec, s[6:7]
	s_cbranch_vccnz .LBB60_16
; %bb.15:
	scratch_load_dwordx4 v[192:195], v8, off
	s_waitcnt vmcnt(0) lgkmcnt(0)
	v_mul_f64 v[10:11], v[2:3], v[194:195]
	v_mul_f64 v[6:7], v[4:5], v[194:195]
	v_fmac_f64_e32 v[10:11], v[4:5], v[192:193]
	v_fma_f64 v[2:3], v[2:3], v[192:193], -v[6:7]
	v_mov_b64_e32 v[4:5], v[10:11]
.LBB60_16:
	s_and_saveexec_b64 s[8:9], s[0:1]
	s_cbranch_execz .LBB60_18
; %bb.17:
	scratch_load_dwordx4 v[192:195], off, off offset:944
	v_mov_b32_e32 v6, 0
	ds_read_b128 v[196:199], v6 offset:1920
	s_waitcnt vmcnt(0) lgkmcnt(0)
	v_mul_f64 v[6:7], v[196:197], v[194:195]
	v_mul_f64 v[10:11], v[198:199], v[194:195]
	v_fmac_f64_e32 v[6:7], v[198:199], v[192:193]
	v_fma_f64 v[10:11], v[196:197], v[192:193], -v[10:11]
	v_add_f64 v[4:5], v[4:5], v[6:7]
	v_add_f64 v[2:3], v[2:3], v[10:11]
.LBB60_18:
	s_or_b64 exec, exec, s[8:9]
	v_mov_b32_e32 v6, 0
	ds_read_b128 v[192:195], v6 offset:928
	s_waitcnt lgkmcnt(0)
	v_mul_f64 v[6:7], v[4:5], v[194:195]
	v_mul_f64 v[196:197], v[2:3], v[194:195]
	v_fma_f64 v[194:195], v[2:3], v[192:193], -v[6:7]
	v_fmac_f64_e32 v[196:197], v[4:5], v[192:193]
	scratch_store_dwordx4 off, v[194:197], off offset:928
.LBB60_19:
	s_or_b64 exec, exec, s[4:5]
	scratch_load_dwordx4 v[2:5], v73, off
	v_cmp_lt_u32_e64 s[0:1], 57, v0
	s_waitcnt vmcnt(0)
	ds_write_b128 v9, v[2:5]
	s_waitcnt lgkmcnt(0)
	; wave barrier
	s_waitcnt lgkmcnt(0)
	s_and_saveexec_b64 s[4:5], s[0:1]
	s_cbranch_execz .LBB60_33
; %bb.20:
	ds_read_b128 v[2:5], v9
	s_andn2_b64 vcc, exec, s[6:7]
	s_cbranch_vccnz .LBB60_22
; %bb.21:
	scratch_load_dwordx4 v[192:195], v8, off
	s_waitcnt vmcnt(0) lgkmcnt(0)
	v_mul_f64 v[10:11], v[2:3], v[194:195]
	v_mul_f64 v[6:7], v[4:5], v[194:195]
	v_fmac_f64_e32 v[10:11], v[4:5], v[192:193]
	v_fma_f64 v[2:3], v[2:3], v[192:193], -v[6:7]
	v_mov_b64_e32 v[4:5], v[10:11]
.LBB60_22:
	s_and_saveexec_b64 s[8:9], s[2:3]
	s_cbranch_execz .LBB60_32
; %bb.23:
	v_subrev_u32_e32 v7, 59, v0
	v_subrev_u32_e32 v6, 58, v0
	v_cmp_lt_u32_e32 vcc, 6, v7
	v_mov_b32_e32 v193, 58
	s_and_saveexec_b64 s[2:3], vcc
	s_cbranch_execz .LBB60_27
; %bb.24:
	v_and_b32_e32 v7, -8, v6
	s_mov_b32 s12, 0
	s_mov_b64 s[10:11], 0
	v_mov_b32_e32 v192, 0
	s_mov_b32 s13, 0
.LBB60_25:                              ; =>This Inner Loop Header: Depth=1
	v_readfirstlane_b32 s14, v192
	s_add_i32 s14, s14, s12
	s_add_i32 s15, s14, 0x3a0
	v_mov_b32_e32 v49, s12
	ds_read_b128 v[194:197], v49 offset:1904
	ds_read_b128 v[198:201], v49 offset:1920
	;; [unrolled: 1-line block ×4, first 2 shown]
	scratch_load_dwordx4 v[210:213], off, s15
	s_add_i32 s15, s14, 0x3b0
	s_addk_i32 s12, 0x80
	s_waitcnt vmcnt(0) lgkmcnt(3)
	v_mul_f64 v[10:11], v[196:197], v[212:213]
	v_mul_f64 v[52:53], v[194:195], v[212:213]
	v_fma_f64 v[10:11], v[194:195], v[210:211], -v[10:11]
	v_fmac_f64_e32 v[52:53], v[196:197], v[210:211]
	v_add_f64 v[10:11], v[2:3], v[10:11]
	v_add_f64 v[52:53], v[4:5], v[52:53]
	scratch_load_dwordx4 v[2:5], off, s15
	s_add_i32 s15, s14, 0x3c0
	s_waitcnt vmcnt(0) lgkmcnt(2)
	v_mul_f64 v[194:195], v[200:201], v[4:5]
	v_mul_f64 v[4:5], v[198:199], v[4:5]
	v_fmac_f64_e32 v[4:5], v[200:201], v[2:3]
	v_fma_f64 v[194:195], v[198:199], v[2:3], -v[194:195]
	v_add_f64 v[52:53], v[52:53], v[4:5]
	scratch_load_dwordx4 v[2:5], off, s15
	v_add_f64 v[10:11], v[10:11], v[194:195]
	s_add_i32 s15, s14, 0x3d0
	s_waitcnt vmcnt(0) lgkmcnt(1)
	v_mul_f64 v[194:195], v[204:205], v[4:5]
	v_mul_f64 v[4:5], v[202:203], v[4:5]
	v_fmac_f64_e32 v[4:5], v[204:205], v[2:3]
	v_fma_f64 v[194:195], v[202:203], v[2:3], -v[194:195]
	v_add_f64 v[52:53], v[52:53], v[4:5]
	scratch_load_dwordx4 v[2:5], off, s15
	v_add_f64 v[10:11], v[10:11], v[194:195]
	s_add_i32 s15, s14, 0x3e0
	s_waitcnt vmcnt(0) lgkmcnt(0)
	v_mul_f64 v[194:195], v[208:209], v[4:5]
	v_fma_f64 v[194:195], v[206:207], v[2:3], -v[194:195]
	v_add_f64 v[10:11], v[10:11], v[194:195]
	scratch_load_dwordx4 v[194:197], off, s15
	v_mul_f64 v[4:5], v[206:207], v[4:5]
	v_fmac_f64_e32 v[4:5], v[208:209], v[2:3]
	v_add_f64 v[52:53], v[52:53], v[4:5]
	ds_read_b128 v[2:5], v49 offset:1968
	s_add_i32 s15, s14, 0x3f0
	s_waitcnt vmcnt(0) lgkmcnt(0)
	v_mul_f64 v[198:199], v[4:5], v[196:197]
	v_fma_f64 v[198:199], v[2:3], v[194:195], -v[198:199]
	v_mul_f64 v[2:3], v[2:3], v[196:197]
	v_fmac_f64_e32 v[2:3], v[4:5], v[194:195]
	scratch_load_dwordx4 v[194:197], off, s15
	v_add_f64 v[52:53], v[52:53], v[2:3]
	ds_read_b128 v[2:5], v49 offset:1984
	v_add_f64 v[10:11], v[10:11], v[198:199]
	s_add_i32 s15, s14, 0x400
	s_addk_i32 s14, 0x410
	s_waitcnt vmcnt(0) lgkmcnt(0)
	v_mul_f64 v[198:199], v[4:5], v[196:197]
	v_fma_f64 v[198:199], v[2:3], v[194:195], -v[198:199]
	v_mul_f64 v[2:3], v[2:3], v[196:197]
	v_fmac_f64_e32 v[2:3], v[4:5], v[194:195]
	scratch_load_dwordx4 v[194:197], off, s15
	v_add_f64 v[52:53], v[52:53], v[2:3]
	ds_read_b128 v[2:5], v49 offset:2000
	v_add_f64 v[10:11], v[10:11], v[198:199]
	s_waitcnt vmcnt(0) lgkmcnt(0)
	v_mul_f64 v[198:199], v[4:5], v[196:197]
	v_fma_f64 v[198:199], v[2:3], v[194:195], -v[198:199]
	v_mul_f64 v[2:3], v[2:3], v[196:197]
	v_fmac_f64_e32 v[2:3], v[4:5], v[194:195]
	scratch_load_dwordx4 v[194:197], off, s14
	v_add_f64 v[52:53], v[52:53], v[2:3]
	ds_read_b128 v[2:5], v49 offset:2016
	v_add_f64 v[10:11], v[10:11], v[198:199]
	s_add_i32 s14, s13, 8
	v_cmp_eq_u32_e32 vcc, s14, v7
	s_addk_i32 s13, 0x42
	s_or_b64 s[10:11], vcc, s[10:11]
	v_mov_b32_e32 v193, s13
	s_mov_b32 s13, s14
	s_waitcnt vmcnt(0) lgkmcnt(0)
	v_mul_f64 v[198:199], v[4:5], v[196:197]
	v_mul_f64 v[196:197], v[2:3], v[196:197]
	v_fma_f64 v[198:199], v[2:3], v[194:195], -v[198:199]
	v_fmac_f64_e32 v[196:197], v[4:5], v[194:195]
	v_add_f64 v[2:3], v[10:11], v[198:199]
	v_add_f64 v[4:5], v[52:53], v[196:197]
	s_andn2_b64 exec, exec, s[10:11]
	s_cbranch_execnz .LBB60_25
; %bb.26:
	s_or_b64 exec, exec, s[10:11]
.LBB60_27:
	s_or_b64 exec, exec, s[2:3]
	v_and_b32_e32 v6, 7, v6
	v_cmp_ne_u32_e32 vcc, 0, v6
	s_and_saveexec_b64 s[2:3], vcc
	s_cbranch_execz .LBB60_31
; %bb.28:
	v_lshlrev_b32_e32 v10, 4, v193
	v_add_u32_e32 v7, 0x3d0, v10
	v_add_u32_e32 v192, 0, v10
	s_mov_b64 s[10:11], 0
.LBB60_29:                              ; =>This Inner Loop Header: Depth=1
	scratch_load_dwordx4 v[194:197], v192, off
	ds_read_b128 v[198:201], v7
	v_add_u32_e32 v6, -1, v6
	v_cmp_eq_u32_e32 vcc, 0, v6
	v_add_u32_e32 v7, 16, v7
	v_add_u32_e32 v192, 16, v192
	s_or_b64 s[10:11], vcc, s[10:11]
	s_waitcnt vmcnt(0) lgkmcnt(0)
	v_mul_f64 v[10:11], v[200:201], v[196:197]
	v_mul_f64 v[52:53], v[198:199], v[196:197]
	v_fma_f64 v[10:11], v[198:199], v[194:195], -v[10:11]
	v_fmac_f64_e32 v[52:53], v[200:201], v[194:195]
	v_add_f64 v[2:3], v[2:3], v[10:11]
	v_add_f64 v[4:5], v[4:5], v[52:53]
	s_andn2_b64 exec, exec, s[10:11]
	s_cbranch_execnz .LBB60_29
; %bb.30:
	s_or_b64 exec, exec, s[10:11]
.LBB60_31:
	s_or_b64 exec, exec, s[2:3]
.LBB60_32:
	s_or_b64 exec, exec, s[8:9]
	v_mov_b32_e32 v6, 0
	ds_read_b128 v[192:195], v6 offset:912
	s_waitcnt lgkmcnt(0)
	v_mul_f64 v[6:7], v[4:5], v[194:195]
	v_mul_f64 v[196:197], v[2:3], v[194:195]
	v_fma_f64 v[194:195], v[2:3], v[192:193], -v[6:7]
	v_fmac_f64_e32 v[196:197], v[4:5], v[192:193]
	scratch_store_dwordx4 off, v[194:197], off offset:912
.LBB60_33:
	s_or_b64 exec, exec, s[4:5]
	scratch_load_dwordx4 v[2:5], v136, off
	v_cmp_lt_u32_e64 s[2:3], 56, v0
	s_waitcnt vmcnt(0)
	ds_write_b128 v9, v[2:5]
	s_waitcnt lgkmcnt(0)
	; wave barrier
	s_waitcnt lgkmcnt(0)
	s_and_saveexec_b64 s[4:5], s[2:3]
	s_cbranch_execz .LBB60_47
; %bb.34:
	ds_read_b128 v[2:5], v9
	s_andn2_b64 vcc, exec, s[6:7]
	s_cbranch_vccnz .LBB60_36
; %bb.35:
	scratch_load_dwordx4 v[192:195], v8, off
	s_waitcnt vmcnt(0) lgkmcnt(0)
	v_mul_f64 v[10:11], v[2:3], v[194:195]
	v_mul_f64 v[6:7], v[4:5], v[194:195]
	v_fmac_f64_e32 v[10:11], v[4:5], v[192:193]
	v_fma_f64 v[2:3], v[2:3], v[192:193], -v[6:7]
	v_mov_b64_e32 v[4:5], v[10:11]
.LBB60_36:
	s_and_saveexec_b64 s[8:9], s[0:1]
	s_cbranch_execz .LBB60_46
; %bb.37:
	v_subrev_u32_e32 v7, 58, v0
	v_subrev_u32_e32 v6, 57, v0
	v_cmp_lt_u32_e32 vcc, 6, v7
	v_mov_b32_e32 v193, 57
	s_and_saveexec_b64 s[0:1], vcc
	s_cbranch_execz .LBB60_41
; %bb.38:
	v_and_b32_e32 v7, -8, v6
	s_mov_b32 s12, 0
	s_mov_b64 s[10:11], 0
	v_mov_b32_e32 v192, 0
	s_mov_b32 s13, 0
.LBB60_39:                              ; =>This Inner Loop Header: Depth=1
	v_readfirstlane_b32 s14, v192
	s_add_i32 s14, s14, s12
	s_add_i32 s15, s14, 0x390
	v_mov_b32_e32 v49, s12
	ds_read_b128 v[194:197], v49 offset:1888
	ds_read_b128 v[198:201], v49 offset:1904
	;; [unrolled: 1-line block ×4, first 2 shown]
	scratch_load_dwordx4 v[210:213], off, s15
	s_add_i32 s15, s14, 0x3a0
	s_addk_i32 s12, 0x80
	s_waitcnt vmcnt(0) lgkmcnt(3)
	v_mul_f64 v[10:11], v[196:197], v[212:213]
	v_mul_f64 v[52:53], v[194:195], v[212:213]
	v_fma_f64 v[10:11], v[194:195], v[210:211], -v[10:11]
	v_fmac_f64_e32 v[52:53], v[196:197], v[210:211]
	v_add_f64 v[10:11], v[2:3], v[10:11]
	v_add_f64 v[52:53], v[4:5], v[52:53]
	scratch_load_dwordx4 v[2:5], off, s15
	s_add_i32 s15, s14, 0x3b0
	s_waitcnt vmcnt(0) lgkmcnt(2)
	v_mul_f64 v[194:195], v[200:201], v[4:5]
	v_mul_f64 v[4:5], v[198:199], v[4:5]
	v_fmac_f64_e32 v[4:5], v[200:201], v[2:3]
	v_fma_f64 v[194:195], v[198:199], v[2:3], -v[194:195]
	v_add_f64 v[52:53], v[52:53], v[4:5]
	scratch_load_dwordx4 v[2:5], off, s15
	v_add_f64 v[10:11], v[10:11], v[194:195]
	s_add_i32 s15, s14, 0x3c0
	s_waitcnt vmcnt(0) lgkmcnt(1)
	v_mul_f64 v[194:195], v[204:205], v[4:5]
	v_mul_f64 v[4:5], v[202:203], v[4:5]
	v_fmac_f64_e32 v[4:5], v[204:205], v[2:3]
	v_fma_f64 v[194:195], v[202:203], v[2:3], -v[194:195]
	v_add_f64 v[52:53], v[52:53], v[4:5]
	scratch_load_dwordx4 v[2:5], off, s15
	v_add_f64 v[10:11], v[10:11], v[194:195]
	s_add_i32 s15, s14, 0x3d0
	s_waitcnt vmcnt(0) lgkmcnt(0)
	v_mul_f64 v[194:195], v[208:209], v[4:5]
	v_fma_f64 v[194:195], v[206:207], v[2:3], -v[194:195]
	v_add_f64 v[10:11], v[10:11], v[194:195]
	scratch_load_dwordx4 v[194:197], off, s15
	v_mul_f64 v[4:5], v[206:207], v[4:5]
	v_fmac_f64_e32 v[4:5], v[208:209], v[2:3]
	v_add_f64 v[52:53], v[52:53], v[4:5]
	ds_read_b128 v[2:5], v49 offset:1952
	s_add_i32 s15, s14, 0x3e0
	s_waitcnt vmcnt(0) lgkmcnt(0)
	v_mul_f64 v[198:199], v[4:5], v[196:197]
	v_fma_f64 v[198:199], v[2:3], v[194:195], -v[198:199]
	v_mul_f64 v[2:3], v[2:3], v[196:197]
	v_fmac_f64_e32 v[2:3], v[4:5], v[194:195]
	scratch_load_dwordx4 v[194:197], off, s15
	v_add_f64 v[52:53], v[52:53], v[2:3]
	ds_read_b128 v[2:5], v49 offset:1968
	v_add_f64 v[10:11], v[10:11], v[198:199]
	s_add_i32 s15, s14, 0x3f0
	s_addk_i32 s14, 0x400
	s_waitcnt vmcnt(0) lgkmcnt(0)
	v_mul_f64 v[198:199], v[4:5], v[196:197]
	v_fma_f64 v[198:199], v[2:3], v[194:195], -v[198:199]
	v_mul_f64 v[2:3], v[2:3], v[196:197]
	v_fmac_f64_e32 v[2:3], v[4:5], v[194:195]
	scratch_load_dwordx4 v[194:197], off, s15
	v_add_f64 v[52:53], v[52:53], v[2:3]
	ds_read_b128 v[2:5], v49 offset:1984
	v_add_f64 v[10:11], v[10:11], v[198:199]
	s_waitcnt vmcnt(0) lgkmcnt(0)
	v_mul_f64 v[198:199], v[4:5], v[196:197]
	v_fma_f64 v[198:199], v[2:3], v[194:195], -v[198:199]
	v_mul_f64 v[2:3], v[2:3], v[196:197]
	v_fmac_f64_e32 v[2:3], v[4:5], v[194:195]
	scratch_load_dwordx4 v[194:197], off, s14
	v_add_f64 v[52:53], v[52:53], v[2:3]
	ds_read_b128 v[2:5], v49 offset:2000
	v_add_f64 v[10:11], v[10:11], v[198:199]
	s_add_i32 s14, s13, 8
	v_cmp_eq_u32_e32 vcc, s14, v7
	s_addk_i32 s13, 0x41
	s_or_b64 s[10:11], vcc, s[10:11]
	v_mov_b32_e32 v193, s13
	s_mov_b32 s13, s14
	s_waitcnt vmcnt(0) lgkmcnt(0)
	v_mul_f64 v[198:199], v[4:5], v[196:197]
	v_mul_f64 v[196:197], v[2:3], v[196:197]
	v_fma_f64 v[198:199], v[2:3], v[194:195], -v[198:199]
	v_fmac_f64_e32 v[196:197], v[4:5], v[194:195]
	v_add_f64 v[2:3], v[10:11], v[198:199]
	v_add_f64 v[4:5], v[52:53], v[196:197]
	s_andn2_b64 exec, exec, s[10:11]
	s_cbranch_execnz .LBB60_39
; %bb.40:
	s_or_b64 exec, exec, s[10:11]
.LBB60_41:
	s_or_b64 exec, exec, s[0:1]
	v_and_b32_e32 v6, 7, v6
	v_cmp_ne_u32_e32 vcc, 0, v6
	s_and_saveexec_b64 s[0:1], vcc
	s_cbranch_execz .LBB60_45
; %bb.42:
	v_lshlrev_b32_e32 v10, 4, v193
	v_add_u32_e32 v7, 0x3d0, v10
	v_add_u32_e32 v192, 0, v10
	s_mov_b64 s[10:11], 0
.LBB60_43:                              ; =>This Inner Loop Header: Depth=1
	scratch_load_dwordx4 v[194:197], v192, off
	ds_read_b128 v[198:201], v7
	v_add_u32_e32 v6, -1, v6
	v_cmp_eq_u32_e32 vcc, 0, v6
	v_add_u32_e32 v7, 16, v7
	v_add_u32_e32 v192, 16, v192
	s_or_b64 s[10:11], vcc, s[10:11]
	s_waitcnt vmcnt(0) lgkmcnt(0)
	v_mul_f64 v[10:11], v[200:201], v[196:197]
	v_mul_f64 v[52:53], v[198:199], v[196:197]
	v_fma_f64 v[10:11], v[198:199], v[194:195], -v[10:11]
	v_fmac_f64_e32 v[52:53], v[200:201], v[194:195]
	v_add_f64 v[2:3], v[2:3], v[10:11]
	v_add_f64 v[4:5], v[4:5], v[52:53]
	s_andn2_b64 exec, exec, s[10:11]
	s_cbranch_execnz .LBB60_43
; %bb.44:
	s_or_b64 exec, exec, s[10:11]
.LBB60_45:
	s_or_b64 exec, exec, s[0:1]
.LBB60_46:
	s_or_b64 exec, exec, s[8:9]
	v_mov_b32_e32 v6, 0
	ds_read_b128 v[192:195], v6 offset:896
	s_waitcnt lgkmcnt(0)
	v_mul_f64 v[6:7], v[4:5], v[194:195]
	v_mul_f64 v[196:197], v[2:3], v[194:195]
	v_fma_f64 v[194:195], v[2:3], v[192:193], -v[6:7]
	v_fmac_f64_e32 v[196:197], v[4:5], v[192:193]
	scratch_store_dwordx4 off, v[194:197], off offset:896
.LBB60_47:
	s_or_b64 exec, exec, s[4:5]
	scratch_load_dwordx4 v[2:5], v137, off
	v_cmp_lt_u32_e64 s[4:5], 55, v0
	s_waitcnt vmcnt(0)
	ds_write_b128 v9, v[2:5]
	s_waitcnt lgkmcnt(0)
	; wave barrier
	s_waitcnt lgkmcnt(0)
	s_and_saveexec_b64 s[0:1], s[4:5]
	s_cbranch_execz .LBB60_61
; %bb.48:
	ds_read_b128 v[2:5], v9
	s_andn2_b64 vcc, exec, s[6:7]
	s_cbranch_vccnz .LBB60_50
; %bb.49:
	scratch_load_dwordx4 v[192:195], v8, off
	s_waitcnt vmcnt(0) lgkmcnt(0)
	v_mul_f64 v[10:11], v[2:3], v[194:195]
	v_mul_f64 v[6:7], v[4:5], v[194:195]
	v_fmac_f64_e32 v[10:11], v[4:5], v[192:193]
	v_fma_f64 v[2:3], v[2:3], v[192:193], -v[6:7]
	v_mov_b64_e32 v[4:5], v[10:11]
.LBB60_50:
	s_and_saveexec_b64 s[8:9], s[2:3]
	s_cbranch_execz .LBB60_60
; %bb.51:
	v_subrev_u32_e32 v6, 57, v0
	v_cmp_lt_u32_e32 vcc, 6, v6
	v_mov_b32_e32 v6, 56
	s_and_saveexec_b64 s[2:3], vcc
	s_cbranch_execz .LBB60_55
; %bb.52:
	s_mov_b32 s12, 56
	v_and_b32_e32 v6, 56, v0
	s_mov_b32 s13, 0
	s_mov_b64 s[10:11], 0
	v_mov_b32_e32 v7, 0
.LBB60_53:                              ; =>This Inner Loop Header: Depth=1
	s_nop 0
	v_readfirstlane_b32 s14, v7
	s_add_i32 s14, s14, s13
	s_add_i32 s15, s14, 0x380
	v_mov_b32_e32 v49, s13
	ds_read_b128 v[192:195], v49 offset:1872
	ds_read_b128 v[196:199], v49 offset:1888
	;; [unrolled: 1-line block ×4, first 2 shown]
	scratch_load_dwordx4 v[208:211], off, s15
	s_add_i32 s15, s14, 0x390
	s_add_i32 s12, s12, 8
	s_addk_i32 s13, 0x80
	v_cmp_eq_u32_e32 vcc, s12, v6
	s_waitcnt vmcnt(0) lgkmcnt(3)
	v_mul_f64 v[10:11], v[194:195], v[210:211]
	v_mul_f64 v[52:53], v[192:193], v[210:211]
	v_fma_f64 v[10:11], v[192:193], v[208:209], -v[10:11]
	v_fmac_f64_e32 v[52:53], v[194:195], v[208:209]
	v_add_f64 v[10:11], v[2:3], v[10:11]
	v_add_f64 v[52:53], v[4:5], v[52:53]
	scratch_load_dwordx4 v[2:5], off, s15
	s_add_i32 s15, s14, 0x3a0
	s_waitcnt vmcnt(0) lgkmcnt(2)
	v_mul_f64 v[192:193], v[198:199], v[4:5]
	v_mul_f64 v[4:5], v[196:197], v[4:5]
	v_fmac_f64_e32 v[4:5], v[198:199], v[2:3]
	v_fma_f64 v[192:193], v[196:197], v[2:3], -v[192:193]
	v_add_f64 v[52:53], v[52:53], v[4:5]
	scratch_load_dwordx4 v[2:5], off, s15
	v_add_f64 v[10:11], v[10:11], v[192:193]
	s_add_i32 s15, s14, 0x3b0
	s_waitcnt vmcnt(0) lgkmcnt(1)
	v_mul_f64 v[192:193], v[202:203], v[4:5]
	v_mul_f64 v[4:5], v[200:201], v[4:5]
	v_fmac_f64_e32 v[4:5], v[202:203], v[2:3]
	v_fma_f64 v[192:193], v[200:201], v[2:3], -v[192:193]
	v_add_f64 v[52:53], v[52:53], v[4:5]
	scratch_load_dwordx4 v[2:5], off, s15
	v_add_f64 v[10:11], v[10:11], v[192:193]
	s_add_i32 s15, s14, 0x3c0
	s_waitcnt vmcnt(0) lgkmcnt(0)
	v_mul_f64 v[192:193], v[206:207], v[4:5]
	v_fma_f64 v[192:193], v[204:205], v[2:3], -v[192:193]
	v_add_f64 v[10:11], v[10:11], v[192:193]
	scratch_load_dwordx4 v[192:195], off, s15
	v_mul_f64 v[4:5], v[204:205], v[4:5]
	v_fmac_f64_e32 v[4:5], v[206:207], v[2:3]
	v_add_f64 v[52:53], v[52:53], v[4:5]
	ds_read_b128 v[2:5], v49 offset:1936
	s_add_i32 s15, s14, 0x3d0
	s_waitcnt vmcnt(0) lgkmcnt(0)
	v_mul_f64 v[196:197], v[4:5], v[194:195]
	v_fma_f64 v[196:197], v[2:3], v[192:193], -v[196:197]
	v_mul_f64 v[2:3], v[2:3], v[194:195]
	v_fmac_f64_e32 v[2:3], v[4:5], v[192:193]
	scratch_load_dwordx4 v[192:195], off, s15
	v_add_f64 v[52:53], v[52:53], v[2:3]
	ds_read_b128 v[2:5], v49 offset:1952
	v_add_f64 v[10:11], v[10:11], v[196:197]
	s_add_i32 s15, s14, 0x3e0
	s_addk_i32 s14, 0x3f0
	s_or_b64 s[10:11], vcc, s[10:11]
	s_waitcnt vmcnt(0) lgkmcnt(0)
	v_mul_f64 v[196:197], v[4:5], v[194:195]
	v_fma_f64 v[196:197], v[2:3], v[192:193], -v[196:197]
	v_mul_f64 v[2:3], v[2:3], v[194:195]
	v_fmac_f64_e32 v[2:3], v[4:5], v[192:193]
	scratch_load_dwordx4 v[192:195], off, s15
	v_add_f64 v[52:53], v[52:53], v[2:3]
	ds_read_b128 v[2:5], v49 offset:1968
	v_add_f64 v[10:11], v[10:11], v[196:197]
	s_waitcnt vmcnt(0) lgkmcnt(0)
	v_mul_f64 v[196:197], v[4:5], v[194:195]
	v_fma_f64 v[196:197], v[2:3], v[192:193], -v[196:197]
	v_mul_f64 v[2:3], v[2:3], v[194:195]
	v_fmac_f64_e32 v[2:3], v[4:5], v[192:193]
	scratch_load_dwordx4 v[192:195], off, s14
	v_add_f64 v[52:53], v[52:53], v[2:3]
	ds_read_b128 v[2:5], v49 offset:1984
	v_add_f64 v[10:11], v[10:11], v[196:197]
	s_waitcnt vmcnt(0) lgkmcnt(0)
	v_mul_f64 v[196:197], v[4:5], v[194:195]
	v_mul_f64 v[194:195], v[2:3], v[194:195]
	v_fma_f64 v[196:197], v[2:3], v[192:193], -v[196:197]
	v_fmac_f64_e32 v[194:195], v[4:5], v[192:193]
	v_add_f64 v[2:3], v[10:11], v[196:197]
	v_add_f64 v[4:5], v[52:53], v[194:195]
	s_andn2_b64 exec, exec, s[10:11]
	s_cbranch_execnz .LBB60_53
; %bb.54:
	s_or_b64 exec, exec, s[10:11]
.LBB60_55:
	s_or_b64 exec, exec, s[2:3]
	v_and_b32_e32 v7, 7, v0
	v_cmp_ne_u32_e32 vcc, 0, v7
	s_and_saveexec_b64 s[2:3], vcc
	s_cbranch_execz .LBB60_59
; %bb.56:
	v_lshlrev_b32_e32 v10, 4, v6
	v_add_u32_e32 v6, 0x3d0, v10
	v_add_u32_e32 v192, 0, v10
	s_mov_b64 s[10:11], 0
.LBB60_57:                              ; =>This Inner Loop Header: Depth=1
	scratch_load_dwordx4 v[194:197], v192, off
	ds_read_b128 v[198:201], v6
	v_add_u32_e32 v7, -1, v7
	v_cmp_eq_u32_e32 vcc, 0, v7
	v_add_u32_e32 v6, 16, v6
	v_add_u32_e32 v192, 16, v192
	s_or_b64 s[10:11], vcc, s[10:11]
	s_waitcnt vmcnt(0) lgkmcnt(0)
	v_mul_f64 v[10:11], v[200:201], v[196:197]
	v_mul_f64 v[52:53], v[198:199], v[196:197]
	v_fma_f64 v[10:11], v[198:199], v[194:195], -v[10:11]
	v_fmac_f64_e32 v[52:53], v[200:201], v[194:195]
	v_add_f64 v[2:3], v[2:3], v[10:11]
	v_add_f64 v[4:5], v[4:5], v[52:53]
	s_andn2_b64 exec, exec, s[10:11]
	s_cbranch_execnz .LBB60_57
; %bb.58:
	s_or_b64 exec, exec, s[10:11]
.LBB60_59:
	s_or_b64 exec, exec, s[2:3]
.LBB60_60:
	s_or_b64 exec, exec, s[8:9]
	v_mov_b32_e32 v6, 0
	ds_read_b128 v[192:195], v6 offset:880
	s_waitcnt lgkmcnt(0)
	v_mul_f64 v[6:7], v[4:5], v[194:195]
	v_mul_f64 v[196:197], v[2:3], v[194:195]
	v_fma_f64 v[194:195], v[2:3], v[192:193], -v[6:7]
	v_fmac_f64_e32 v[196:197], v[4:5], v[192:193]
	scratch_store_dwordx4 off, v[194:197], off offset:880
.LBB60_61:
	s_or_b64 exec, exec, s[0:1]
	scratch_load_dwordx4 v[2:5], v138, off
	v_cmp_lt_u32_e64 s[0:1], 54, v0
	s_waitcnt vmcnt(0)
	ds_write_b128 v9, v[2:5]
	s_waitcnt lgkmcnt(0)
	; wave barrier
	s_waitcnt lgkmcnt(0)
	s_and_saveexec_b64 s[2:3], s[0:1]
	s_cbranch_execz .LBB60_75
; %bb.62:
	ds_read_b128 v[2:5], v9
	s_andn2_b64 vcc, exec, s[6:7]
	s_cbranch_vccnz .LBB60_64
; %bb.63:
	scratch_load_dwordx4 v[192:195], v8, off
	s_waitcnt vmcnt(0) lgkmcnt(0)
	v_mul_f64 v[10:11], v[2:3], v[194:195]
	v_mul_f64 v[6:7], v[4:5], v[194:195]
	v_fmac_f64_e32 v[10:11], v[4:5], v[192:193]
	v_fma_f64 v[2:3], v[2:3], v[192:193], -v[6:7]
	v_mov_b64_e32 v[4:5], v[10:11]
.LBB60_64:
	s_and_saveexec_b64 s[8:9], s[4:5]
	s_cbranch_execz .LBB60_74
; %bb.65:
	v_subrev_u32_e32 v7, 56, v0
	v_subrev_u32_e32 v6, 55, v0
	v_cmp_lt_u32_e32 vcc, 6, v7
	v_mov_b32_e32 v193, 55
	s_and_saveexec_b64 s[4:5], vcc
	s_cbranch_execz .LBB60_69
; %bb.66:
	v_and_b32_e32 v7, -8, v6
	s_mov_b32 s12, 0
	s_mov_b64 s[10:11], 0
	v_mov_b32_e32 v192, 0
	s_mov_b32 s13, 0
.LBB60_67:                              ; =>This Inner Loop Header: Depth=1
	v_readfirstlane_b32 s14, v192
	s_add_i32 s14, s14, s12
	s_add_i32 s15, s14, 0x370
	v_mov_b32_e32 v49, s12
	ds_read_b128 v[194:197], v49 offset:1856
	ds_read_b128 v[198:201], v49 offset:1872
	;; [unrolled: 1-line block ×4, first 2 shown]
	scratch_load_dwordx4 v[210:213], off, s15
	s_add_i32 s15, s14, 0x380
	s_addk_i32 s12, 0x80
	s_waitcnt vmcnt(0) lgkmcnt(3)
	v_mul_f64 v[10:11], v[196:197], v[212:213]
	v_mul_f64 v[52:53], v[194:195], v[212:213]
	v_fma_f64 v[10:11], v[194:195], v[210:211], -v[10:11]
	v_fmac_f64_e32 v[52:53], v[196:197], v[210:211]
	v_add_f64 v[10:11], v[2:3], v[10:11]
	v_add_f64 v[52:53], v[4:5], v[52:53]
	scratch_load_dwordx4 v[2:5], off, s15
	s_add_i32 s15, s14, 0x390
	s_waitcnt vmcnt(0) lgkmcnt(2)
	v_mul_f64 v[194:195], v[200:201], v[4:5]
	v_mul_f64 v[4:5], v[198:199], v[4:5]
	v_fmac_f64_e32 v[4:5], v[200:201], v[2:3]
	v_fma_f64 v[194:195], v[198:199], v[2:3], -v[194:195]
	v_add_f64 v[52:53], v[52:53], v[4:5]
	scratch_load_dwordx4 v[2:5], off, s15
	v_add_f64 v[10:11], v[10:11], v[194:195]
	s_add_i32 s15, s14, 0x3a0
	s_waitcnt vmcnt(0) lgkmcnt(1)
	v_mul_f64 v[194:195], v[204:205], v[4:5]
	v_mul_f64 v[4:5], v[202:203], v[4:5]
	v_fmac_f64_e32 v[4:5], v[204:205], v[2:3]
	v_fma_f64 v[194:195], v[202:203], v[2:3], -v[194:195]
	v_add_f64 v[52:53], v[52:53], v[4:5]
	scratch_load_dwordx4 v[2:5], off, s15
	v_add_f64 v[10:11], v[10:11], v[194:195]
	s_add_i32 s15, s14, 0x3b0
	s_waitcnt vmcnt(0) lgkmcnt(0)
	v_mul_f64 v[194:195], v[208:209], v[4:5]
	v_fma_f64 v[194:195], v[206:207], v[2:3], -v[194:195]
	v_add_f64 v[10:11], v[10:11], v[194:195]
	scratch_load_dwordx4 v[194:197], off, s15
	v_mul_f64 v[4:5], v[206:207], v[4:5]
	v_fmac_f64_e32 v[4:5], v[208:209], v[2:3]
	v_add_f64 v[52:53], v[52:53], v[4:5]
	ds_read_b128 v[2:5], v49 offset:1920
	s_add_i32 s15, s14, 0x3c0
	s_waitcnt vmcnt(0) lgkmcnt(0)
	v_mul_f64 v[198:199], v[4:5], v[196:197]
	v_fma_f64 v[198:199], v[2:3], v[194:195], -v[198:199]
	v_mul_f64 v[2:3], v[2:3], v[196:197]
	v_fmac_f64_e32 v[2:3], v[4:5], v[194:195]
	scratch_load_dwordx4 v[194:197], off, s15
	v_add_f64 v[52:53], v[52:53], v[2:3]
	ds_read_b128 v[2:5], v49 offset:1936
	v_add_f64 v[10:11], v[10:11], v[198:199]
	s_add_i32 s15, s14, 0x3d0
	s_addk_i32 s14, 0x3e0
	s_waitcnt vmcnt(0) lgkmcnt(0)
	v_mul_f64 v[198:199], v[4:5], v[196:197]
	v_fma_f64 v[198:199], v[2:3], v[194:195], -v[198:199]
	v_mul_f64 v[2:3], v[2:3], v[196:197]
	v_fmac_f64_e32 v[2:3], v[4:5], v[194:195]
	scratch_load_dwordx4 v[194:197], off, s15
	v_add_f64 v[52:53], v[52:53], v[2:3]
	ds_read_b128 v[2:5], v49 offset:1952
	v_add_f64 v[10:11], v[10:11], v[198:199]
	s_waitcnt vmcnt(0) lgkmcnt(0)
	v_mul_f64 v[198:199], v[4:5], v[196:197]
	v_fma_f64 v[198:199], v[2:3], v[194:195], -v[198:199]
	v_mul_f64 v[2:3], v[2:3], v[196:197]
	v_fmac_f64_e32 v[2:3], v[4:5], v[194:195]
	scratch_load_dwordx4 v[194:197], off, s14
	v_add_f64 v[52:53], v[52:53], v[2:3]
	ds_read_b128 v[2:5], v49 offset:1968
	v_add_f64 v[10:11], v[10:11], v[198:199]
	s_add_i32 s14, s13, 8
	v_cmp_eq_u32_e32 vcc, s14, v7
	s_add_i32 s13, s13, 63
	s_or_b64 s[10:11], vcc, s[10:11]
	v_mov_b32_e32 v193, s13
	s_mov_b32 s13, s14
	s_waitcnt vmcnt(0) lgkmcnt(0)
	v_mul_f64 v[198:199], v[4:5], v[196:197]
	v_mul_f64 v[196:197], v[2:3], v[196:197]
	v_fma_f64 v[198:199], v[2:3], v[194:195], -v[198:199]
	v_fmac_f64_e32 v[196:197], v[4:5], v[194:195]
	v_add_f64 v[2:3], v[10:11], v[198:199]
	v_add_f64 v[4:5], v[52:53], v[196:197]
	s_andn2_b64 exec, exec, s[10:11]
	s_cbranch_execnz .LBB60_67
; %bb.68:
	s_or_b64 exec, exec, s[10:11]
.LBB60_69:
	s_or_b64 exec, exec, s[4:5]
	v_and_b32_e32 v6, 7, v6
	v_cmp_ne_u32_e32 vcc, 0, v6
	s_and_saveexec_b64 s[4:5], vcc
	s_cbranch_execz .LBB60_73
; %bb.70:
	v_lshlrev_b32_e32 v10, 4, v193
	v_add_u32_e32 v7, 0x3d0, v10
	v_add_u32_e32 v192, 0, v10
	s_mov_b64 s[10:11], 0
.LBB60_71:                              ; =>This Inner Loop Header: Depth=1
	scratch_load_dwordx4 v[194:197], v192, off
	ds_read_b128 v[198:201], v7
	v_add_u32_e32 v6, -1, v6
	v_cmp_eq_u32_e32 vcc, 0, v6
	v_add_u32_e32 v7, 16, v7
	v_add_u32_e32 v192, 16, v192
	s_or_b64 s[10:11], vcc, s[10:11]
	s_waitcnt vmcnt(0) lgkmcnt(0)
	v_mul_f64 v[10:11], v[200:201], v[196:197]
	v_mul_f64 v[52:53], v[198:199], v[196:197]
	v_fma_f64 v[10:11], v[198:199], v[194:195], -v[10:11]
	v_fmac_f64_e32 v[52:53], v[200:201], v[194:195]
	v_add_f64 v[2:3], v[2:3], v[10:11]
	v_add_f64 v[4:5], v[4:5], v[52:53]
	s_andn2_b64 exec, exec, s[10:11]
	s_cbranch_execnz .LBB60_71
; %bb.72:
	s_or_b64 exec, exec, s[10:11]
.LBB60_73:
	s_or_b64 exec, exec, s[4:5]
.LBB60_74:
	s_or_b64 exec, exec, s[8:9]
	v_mov_b32_e32 v6, 0
	ds_read_b128 v[192:195], v6 offset:864
	s_waitcnt lgkmcnt(0)
	v_mul_f64 v[6:7], v[4:5], v[194:195]
	v_mul_f64 v[196:197], v[2:3], v[194:195]
	v_fma_f64 v[194:195], v[2:3], v[192:193], -v[6:7]
	v_fmac_f64_e32 v[196:197], v[4:5], v[192:193]
	scratch_store_dwordx4 off, v[194:197], off offset:864
.LBB60_75:
	s_or_b64 exec, exec, s[2:3]
	scratch_load_dwordx4 v[2:5], v139, off
	v_cmp_lt_u32_e64 s[2:3], 53, v0
	s_waitcnt vmcnt(0)
	ds_write_b128 v9, v[2:5]
	s_waitcnt lgkmcnt(0)
	; wave barrier
	s_waitcnt lgkmcnt(0)
	s_and_saveexec_b64 s[4:5], s[2:3]
	s_cbranch_execz .LBB60_89
; %bb.76:
	ds_read_b128 v[2:5], v9
	s_andn2_b64 vcc, exec, s[6:7]
	s_cbranch_vccnz .LBB60_78
; %bb.77:
	scratch_load_dwordx4 v[192:195], v8, off
	s_waitcnt vmcnt(0) lgkmcnt(0)
	v_mul_f64 v[10:11], v[2:3], v[194:195]
	v_mul_f64 v[6:7], v[4:5], v[194:195]
	v_fmac_f64_e32 v[10:11], v[4:5], v[192:193]
	v_fma_f64 v[2:3], v[2:3], v[192:193], -v[6:7]
	v_mov_b64_e32 v[4:5], v[10:11]
.LBB60_78:
	s_and_saveexec_b64 s[8:9], s[0:1]
	s_cbranch_execz .LBB60_88
; %bb.79:
	v_subrev_u32_e32 v7, 55, v0
	v_subrev_u32_e32 v6, 54, v0
	v_cmp_lt_u32_e32 vcc, 6, v7
	v_mov_b32_e32 v193, 54
	s_and_saveexec_b64 s[0:1], vcc
	s_cbranch_execz .LBB60_83
; %bb.80:
	v_and_b32_e32 v7, -8, v6
	s_mov_b32 s12, 0
	s_mov_b64 s[10:11], 0
	v_mov_b32_e32 v192, 0
	s_mov_b32 s13, 0
.LBB60_81:                              ; =>This Inner Loop Header: Depth=1
	v_readfirstlane_b32 s14, v192
	s_add_i32 s14, s14, s12
	s_add_i32 s15, s14, 0x360
	v_mov_b32_e32 v49, s12
	ds_read_b128 v[194:197], v49 offset:1840
	ds_read_b128 v[198:201], v49 offset:1856
	;; [unrolled: 1-line block ×4, first 2 shown]
	scratch_load_dwordx4 v[210:213], off, s15
	s_add_i32 s15, s14, 0x370
	s_addk_i32 s12, 0x80
	s_waitcnt vmcnt(0) lgkmcnt(3)
	v_mul_f64 v[10:11], v[196:197], v[212:213]
	v_mul_f64 v[52:53], v[194:195], v[212:213]
	v_fma_f64 v[10:11], v[194:195], v[210:211], -v[10:11]
	v_fmac_f64_e32 v[52:53], v[196:197], v[210:211]
	v_add_f64 v[10:11], v[2:3], v[10:11]
	v_add_f64 v[52:53], v[4:5], v[52:53]
	scratch_load_dwordx4 v[2:5], off, s15
	s_add_i32 s15, s14, 0x380
	s_waitcnt vmcnt(0) lgkmcnt(2)
	v_mul_f64 v[194:195], v[200:201], v[4:5]
	v_mul_f64 v[4:5], v[198:199], v[4:5]
	v_fmac_f64_e32 v[4:5], v[200:201], v[2:3]
	v_fma_f64 v[194:195], v[198:199], v[2:3], -v[194:195]
	v_add_f64 v[52:53], v[52:53], v[4:5]
	scratch_load_dwordx4 v[2:5], off, s15
	v_add_f64 v[10:11], v[10:11], v[194:195]
	s_add_i32 s15, s14, 0x390
	s_waitcnt vmcnt(0) lgkmcnt(1)
	v_mul_f64 v[194:195], v[204:205], v[4:5]
	v_mul_f64 v[4:5], v[202:203], v[4:5]
	v_fmac_f64_e32 v[4:5], v[204:205], v[2:3]
	v_fma_f64 v[194:195], v[202:203], v[2:3], -v[194:195]
	v_add_f64 v[52:53], v[52:53], v[4:5]
	scratch_load_dwordx4 v[2:5], off, s15
	v_add_f64 v[10:11], v[10:11], v[194:195]
	s_add_i32 s15, s14, 0x3a0
	s_waitcnt vmcnt(0) lgkmcnt(0)
	v_mul_f64 v[194:195], v[208:209], v[4:5]
	v_fma_f64 v[194:195], v[206:207], v[2:3], -v[194:195]
	v_add_f64 v[10:11], v[10:11], v[194:195]
	scratch_load_dwordx4 v[194:197], off, s15
	v_mul_f64 v[4:5], v[206:207], v[4:5]
	v_fmac_f64_e32 v[4:5], v[208:209], v[2:3]
	v_add_f64 v[52:53], v[52:53], v[4:5]
	ds_read_b128 v[2:5], v49 offset:1904
	s_add_i32 s15, s14, 0x3b0
	s_waitcnt vmcnt(0) lgkmcnt(0)
	v_mul_f64 v[198:199], v[4:5], v[196:197]
	v_fma_f64 v[198:199], v[2:3], v[194:195], -v[198:199]
	v_mul_f64 v[2:3], v[2:3], v[196:197]
	v_fmac_f64_e32 v[2:3], v[4:5], v[194:195]
	scratch_load_dwordx4 v[194:197], off, s15
	v_add_f64 v[52:53], v[52:53], v[2:3]
	ds_read_b128 v[2:5], v49 offset:1920
	v_add_f64 v[10:11], v[10:11], v[198:199]
	s_add_i32 s15, s14, 0x3c0
	s_addk_i32 s14, 0x3d0
	s_waitcnt vmcnt(0) lgkmcnt(0)
	v_mul_f64 v[198:199], v[4:5], v[196:197]
	v_fma_f64 v[198:199], v[2:3], v[194:195], -v[198:199]
	v_mul_f64 v[2:3], v[2:3], v[196:197]
	v_fmac_f64_e32 v[2:3], v[4:5], v[194:195]
	scratch_load_dwordx4 v[194:197], off, s15
	v_add_f64 v[52:53], v[52:53], v[2:3]
	ds_read_b128 v[2:5], v49 offset:1936
	v_add_f64 v[10:11], v[10:11], v[198:199]
	s_waitcnt vmcnt(0) lgkmcnt(0)
	v_mul_f64 v[198:199], v[4:5], v[196:197]
	v_fma_f64 v[198:199], v[2:3], v[194:195], -v[198:199]
	v_mul_f64 v[2:3], v[2:3], v[196:197]
	v_fmac_f64_e32 v[2:3], v[4:5], v[194:195]
	scratch_load_dwordx4 v[194:197], off, s14
	v_add_f64 v[52:53], v[52:53], v[2:3]
	ds_read_b128 v[2:5], v49 offset:1952
	v_add_f64 v[10:11], v[10:11], v[198:199]
	s_add_i32 s14, s13, 8
	v_cmp_eq_u32_e32 vcc, s14, v7
	s_add_i32 s13, s13, 62
	s_or_b64 s[10:11], vcc, s[10:11]
	v_mov_b32_e32 v193, s13
	s_mov_b32 s13, s14
	s_waitcnt vmcnt(0) lgkmcnt(0)
	v_mul_f64 v[198:199], v[4:5], v[196:197]
	v_mul_f64 v[196:197], v[2:3], v[196:197]
	v_fma_f64 v[198:199], v[2:3], v[194:195], -v[198:199]
	v_fmac_f64_e32 v[196:197], v[4:5], v[194:195]
	v_add_f64 v[2:3], v[10:11], v[198:199]
	v_add_f64 v[4:5], v[52:53], v[196:197]
	s_andn2_b64 exec, exec, s[10:11]
	s_cbranch_execnz .LBB60_81
; %bb.82:
	s_or_b64 exec, exec, s[10:11]
.LBB60_83:
	s_or_b64 exec, exec, s[0:1]
	v_and_b32_e32 v6, 7, v6
	v_cmp_ne_u32_e32 vcc, 0, v6
	s_and_saveexec_b64 s[0:1], vcc
	s_cbranch_execz .LBB60_87
; %bb.84:
	v_lshlrev_b32_e32 v10, 4, v193
	v_add_u32_e32 v7, 0x3d0, v10
	v_add_u32_e32 v192, 0, v10
	s_mov_b64 s[10:11], 0
.LBB60_85:                              ; =>This Inner Loop Header: Depth=1
	scratch_load_dwordx4 v[194:197], v192, off
	ds_read_b128 v[198:201], v7
	v_add_u32_e32 v6, -1, v6
	v_cmp_eq_u32_e32 vcc, 0, v6
	v_add_u32_e32 v7, 16, v7
	v_add_u32_e32 v192, 16, v192
	s_or_b64 s[10:11], vcc, s[10:11]
	s_waitcnt vmcnt(0) lgkmcnt(0)
	v_mul_f64 v[10:11], v[200:201], v[196:197]
	v_mul_f64 v[52:53], v[198:199], v[196:197]
	v_fma_f64 v[10:11], v[198:199], v[194:195], -v[10:11]
	v_fmac_f64_e32 v[52:53], v[200:201], v[194:195]
	v_add_f64 v[2:3], v[2:3], v[10:11]
	v_add_f64 v[4:5], v[4:5], v[52:53]
	s_andn2_b64 exec, exec, s[10:11]
	s_cbranch_execnz .LBB60_85
; %bb.86:
	s_or_b64 exec, exec, s[10:11]
.LBB60_87:
	s_or_b64 exec, exec, s[0:1]
.LBB60_88:
	s_or_b64 exec, exec, s[8:9]
	v_mov_b32_e32 v6, 0
	ds_read_b128 v[192:195], v6 offset:848
	s_waitcnt lgkmcnt(0)
	v_mul_f64 v[6:7], v[4:5], v[194:195]
	v_mul_f64 v[196:197], v[2:3], v[194:195]
	v_fma_f64 v[194:195], v[2:3], v[192:193], -v[6:7]
	v_fmac_f64_e32 v[196:197], v[4:5], v[192:193]
	scratch_store_dwordx4 off, v[194:197], off offset:848
.LBB60_89:
	s_or_b64 exec, exec, s[4:5]
	scratch_load_dwordx4 v[2:5], v140, off
	v_cmp_lt_u32_e64 s[0:1], 52, v0
	s_waitcnt vmcnt(0)
	ds_write_b128 v9, v[2:5]
	s_waitcnt lgkmcnt(0)
	; wave barrier
	s_waitcnt lgkmcnt(0)
	s_and_saveexec_b64 s[4:5], s[0:1]
	s_cbranch_execz .LBB60_103
; %bb.90:
	ds_read_b128 v[2:5], v9
	s_andn2_b64 vcc, exec, s[6:7]
	s_cbranch_vccnz .LBB60_92
; %bb.91:
	scratch_load_dwordx4 v[192:195], v8, off
	s_waitcnt vmcnt(0) lgkmcnt(0)
	v_mul_f64 v[10:11], v[2:3], v[194:195]
	v_mul_f64 v[6:7], v[4:5], v[194:195]
	v_fmac_f64_e32 v[10:11], v[4:5], v[192:193]
	v_fma_f64 v[2:3], v[2:3], v[192:193], -v[6:7]
	v_mov_b64_e32 v[4:5], v[10:11]
.LBB60_92:
	s_and_saveexec_b64 s[8:9], s[2:3]
	s_cbranch_execz .LBB60_102
; %bb.93:
	v_subrev_u32_e32 v7, 54, v0
	v_subrev_u32_e32 v6, 53, v0
	v_cmp_lt_u32_e32 vcc, 6, v7
	v_mov_b32_e32 v193, 53
	s_and_saveexec_b64 s[2:3], vcc
	s_cbranch_execz .LBB60_97
; %bb.94:
	v_and_b32_e32 v7, -8, v6
	s_mov_b32 s12, 0
	s_mov_b64 s[10:11], 0
	v_mov_b32_e32 v192, 0
	s_mov_b32 s13, 0
.LBB60_95:                              ; =>This Inner Loop Header: Depth=1
	v_readfirstlane_b32 s14, v192
	s_add_i32 s14, s14, s12
	s_add_i32 s15, s14, 0x350
	v_mov_b32_e32 v49, s12
	ds_read_b128 v[194:197], v49 offset:1824
	ds_read_b128 v[198:201], v49 offset:1840
	;; [unrolled: 1-line block ×4, first 2 shown]
	scratch_load_dwordx4 v[210:213], off, s15
	s_add_i32 s15, s14, 0x360
	s_addk_i32 s12, 0x80
	s_waitcnt vmcnt(0) lgkmcnt(3)
	v_mul_f64 v[10:11], v[196:197], v[212:213]
	v_mul_f64 v[52:53], v[194:195], v[212:213]
	v_fma_f64 v[10:11], v[194:195], v[210:211], -v[10:11]
	v_fmac_f64_e32 v[52:53], v[196:197], v[210:211]
	v_add_f64 v[10:11], v[2:3], v[10:11]
	v_add_f64 v[52:53], v[4:5], v[52:53]
	scratch_load_dwordx4 v[2:5], off, s15
	s_add_i32 s15, s14, 0x370
	s_waitcnt vmcnt(0) lgkmcnt(2)
	v_mul_f64 v[194:195], v[200:201], v[4:5]
	v_mul_f64 v[4:5], v[198:199], v[4:5]
	v_fmac_f64_e32 v[4:5], v[200:201], v[2:3]
	v_fma_f64 v[194:195], v[198:199], v[2:3], -v[194:195]
	v_add_f64 v[52:53], v[52:53], v[4:5]
	scratch_load_dwordx4 v[2:5], off, s15
	v_add_f64 v[10:11], v[10:11], v[194:195]
	s_add_i32 s15, s14, 0x380
	s_waitcnt vmcnt(0) lgkmcnt(1)
	v_mul_f64 v[194:195], v[204:205], v[4:5]
	v_mul_f64 v[4:5], v[202:203], v[4:5]
	v_fmac_f64_e32 v[4:5], v[204:205], v[2:3]
	v_fma_f64 v[194:195], v[202:203], v[2:3], -v[194:195]
	v_add_f64 v[52:53], v[52:53], v[4:5]
	scratch_load_dwordx4 v[2:5], off, s15
	v_add_f64 v[10:11], v[10:11], v[194:195]
	s_add_i32 s15, s14, 0x390
	s_waitcnt vmcnt(0) lgkmcnt(0)
	v_mul_f64 v[194:195], v[208:209], v[4:5]
	v_fma_f64 v[194:195], v[206:207], v[2:3], -v[194:195]
	v_add_f64 v[10:11], v[10:11], v[194:195]
	scratch_load_dwordx4 v[194:197], off, s15
	v_mul_f64 v[4:5], v[206:207], v[4:5]
	v_fmac_f64_e32 v[4:5], v[208:209], v[2:3]
	v_add_f64 v[52:53], v[52:53], v[4:5]
	ds_read_b128 v[2:5], v49 offset:1888
	s_add_i32 s15, s14, 0x3a0
	s_waitcnt vmcnt(0) lgkmcnt(0)
	v_mul_f64 v[198:199], v[4:5], v[196:197]
	v_fma_f64 v[198:199], v[2:3], v[194:195], -v[198:199]
	v_mul_f64 v[2:3], v[2:3], v[196:197]
	v_fmac_f64_e32 v[2:3], v[4:5], v[194:195]
	scratch_load_dwordx4 v[194:197], off, s15
	v_add_f64 v[52:53], v[52:53], v[2:3]
	ds_read_b128 v[2:5], v49 offset:1904
	v_add_f64 v[10:11], v[10:11], v[198:199]
	s_add_i32 s15, s14, 0x3b0
	s_addk_i32 s14, 0x3c0
	s_waitcnt vmcnt(0) lgkmcnt(0)
	v_mul_f64 v[198:199], v[4:5], v[196:197]
	v_fma_f64 v[198:199], v[2:3], v[194:195], -v[198:199]
	v_mul_f64 v[2:3], v[2:3], v[196:197]
	v_fmac_f64_e32 v[2:3], v[4:5], v[194:195]
	scratch_load_dwordx4 v[194:197], off, s15
	v_add_f64 v[52:53], v[52:53], v[2:3]
	ds_read_b128 v[2:5], v49 offset:1920
	v_add_f64 v[10:11], v[10:11], v[198:199]
	s_waitcnt vmcnt(0) lgkmcnt(0)
	v_mul_f64 v[198:199], v[4:5], v[196:197]
	v_fma_f64 v[198:199], v[2:3], v[194:195], -v[198:199]
	v_mul_f64 v[2:3], v[2:3], v[196:197]
	v_fmac_f64_e32 v[2:3], v[4:5], v[194:195]
	scratch_load_dwordx4 v[194:197], off, s14
	v_add_f64 v[52:53], v[52:53], v[2:3]
	ds_read_b128 v[2:5], v49 offset:1936
	v_add_f64 v[10:11], v[10:11], v[198:199]
	s_add_i32 s14, s13, 8
	v_cmp_eq_u32_e32 vcc, s14, v7
	s_add_i32 s13, s13, 61
	s_or_b64 s[10:11], vcc, s[10:11]
	v_mov_b32_e32 v193, s13
	s_mov_b32 s13, s14
	s_waitcnt vmcnt(0) lgkmcnt(0)
	v_mul_f64 v[198:199], v[4:5], v[196:197]
	v_mul_f64 v[196:197], v[2:3], v[196:197]
	v_fma_f64 v[198:199], v[2:3], v[194:195], -v[198:199]
	v_fmac_f64_e32 v[196:197], v[4:5], v[194:195]
	v_add_f64 v[2:3], v[10:11], v[198:199]
	v_add_f64 v[4:5], v[52:53], v[196:197]
	s_andn2_b64 exec, exec, s[10:11]
	s_cbranch_execnz .LBB60_95
; %bb.96:
	s_or_b64 exec, exec, s[10:11]
.LBB60_97:
	s_or_b64 exec, exec, s[2:3]
	v_and_b32_e32 v6, 7, v6
	v_cmp_ne_u32_e32 vcc, 0, v6
	s_and_saveexec_b64 s[2:3], vcc
	s_cbranch_execz .LBB60_101
; %bb.98:
	v_lshlrev_b32_e32 v10, 4, v193
	v_add_u32_e32 v7, 0x3d0, v10
	v_add_u32_e32 v192, 0, v10
	s_mov_b64 s[10:11], 0
.LBB60_99:                              ; =>This Inner Loop Header: Depth=1
	scratch_load_dwordx4 v[194:197], v192, off
	ds_read_b128 v[198:201], v7
	v_add_u32_e32 v6, -1, v6
	v_cmp_eq_u32_e32 vcc, 0, v6
	v_add_u32_e32 v7, 16, v7
	v_add_u32_e32 v192, 16, v192
	s_or_b64 s[10:11], vcc, s[10:11]
	s_waitcnt vmcnt(0) lgkmcnt(0)
	v_mul_f64 v[10:11], v[200:201], v[196:197]
	v_mul_f64 v[52:53], v[198:199], v[196:197]
	v_fma_f64 v[10:11], v[198:199], v[194:195], -v[10:11]
	v_fmac_f64_e32 v[52:53], v[200:201], v[194:195]
	v_add_f64 v[2:3], v[2:3], v[10:11]
	v_add_f64 v[4:5], v[4:5], v[52:53]
	s_andn2_b64 exec, exec, s[10:11]
	s_cbranch_execnz .LBB60_99
; %bb.100:
	s_or_b64 exec, exec, s[10:11]
.LBB60_101:
	s_or_b64 exec, exec, s[2:3]
.LBB60_102:
	s_or_b64 exec, exec, s[8:9]
	v_mov_b32_e32 v6, 0
	ds_read_b128 v[192:195], v6 offset:832
	s_waitcnt lgkmcnt(0)
	v_mul_f64 v[6:7], v[4:5], v[194:195]
	v_mul_f64 v[196:197], v[2:3], v[194:195]
	v_fma_f64 v[194:195], v[2:3], v[192:193], -v[6:7]
	v_fmac_f64_e32 v[196:197], v[4:5], v[192:193]
	scratch_store_dwordx4 off, v[194:197], off offset:832
.LBB60_103:
	s_or_b64 exec, exec, s[4:5]
	scratch_load_dwordx4 v[2:5], v141, off
	v_cmp_lt_u32_e64 s[2:3], 51, v0
	s_waitcnt vmcnt(0)
	ds_write_b128 v9, v[2:5]
	s_waitcnt lgkmcnt(0)
	; wave barrier
	s_waitcnt lgkmcnt(0)
	s_and_saveexec_b64 s[4:5], s[2:3]
	s_cbranch_execz .LBB60_117
; %bb.104:
	ds_read_b128 v[2:5], v9
	s_andn2_b64 vcc, exec, s[6:7]
	s_cbranch_vccnz .LBB60_106
; %bb.105:
	scratch_load_dwordx4 v[192:195], v8, off
	s_waitcnt vmcnt(0) lgkmcnt(0)
	v_mul_f64 v[10:11], v[2:3], v[194:195]
	v_mul_f64 v[6:7], v[4:5], v[194:195]
	v_fmac_f64_e32 v[10:11], v[4:5], v[192:193]
	v_fma_f64 v[2:3], v[2:3], v[192:193], -v[6:7]
	v_mov_b64_e32 v[4:5], v[10:11]
.LBB60_106:
	s_and_saveexec_b64 s[8:9], s[0:1]
	s_cbranch_execz .LBB60_116
; %bb.107:
	v_subrev_u32_e32 v7, 53, v0
	v_subrev_u32_e32 v6, 52, v0
	v_cmp_lt_u32_e32 vcc, 6, v7
	v_mov_b32_e32 v193, 52
	s_and_saveexec_b64 s[0:1], vcc
	s_cbranch_execz .LBB60_111
; %bb.108:
	v_and_b32_e32 v7, -8, v6
	s_mov_b32 s12, 0
	s_mov_b64 s[10:11], 0
	v_mov_b32_e32 v192, 0
	s_mov_b32 s13, 0
.LBB60_109:                             ; =>This Inner Loop Header: Depth=1
	v_readfirstlane_b32 s14, v192
	s_add_i32 s14, s14, s12
	s_add_i32 s15, s14, 0x340
	v_mov_b32_e32 v49, s12
	ds_read_b128 v[194:197], v49 offset:1808
	ds_read_b128 v[198:201], v49 offset:1824
	;; [unrolled: 1-line block ×4, first 2 shown]
	scratch_load_dwordx4 v[210:213], off, s15
	s_add_i32 s15, s14, 0x350
	s_addk_i32 s12, 0x80
	s_waitcnt vmcnt(0) lgkmcnt(3)
	v_mul_f64 v[10:11], v[196:197], v[212:213]
	v_mul_f64 v[52:53], v[194:195], v[212:213]
	v_fma_f64 v[10:11], v[194:195], v[210:211], -v[10:11]
	v_fmac_f64_e32 v[52:53], v[196:197], v[210:211]
	v_add_f64 v[10:11], v[2:3], v[10:11]
	v_add_f64 v[52:53], v[4:5], v[52:53]
	scratch_load_dwordx4 v[2:5], off, s15
	s_add_i32 s15, s14, 0x360
	s_waitcnt vmcnt(0) lgkmcnt(2)
	v_mul_f64 v[194:195], v[200:201], v[4:5]
	v_mul_f64 v[4:5], v[198:199], v[4:5]
	v_fmac_f64_e32 v[4:5], v[200:201], v[2:3]
	v_fma_f64 v[194:195], v[198:199], v[2:3], -v[194:195]
	v_add_f64 v[52:53], v[52:53], v[4:5]
	scratch_load_dwordx4 v[2:5], off, s15
	v_add_f64 v[10:11], v[10:11], v[194:195]
	s_add_i32 s15, s14, 0x370
	s_waitcnt vmcnt(0) lgkmcnt(1)
	v_mul_f64 v[194:195], v[204:205], v[4:5]
	v_mul_f64 v[4:5], v[202:203], v[4:5]
	v_fmac_f64_e32 v[4:5], v[204:205], v[2:3]
	v_fma_f64 v[194:195], v[202:203], v[2:3], -v[194:195]
	v_add_f64 v[52:53], v[52:53], v[4:5]
	scratch_load_dwordx4 v[2:5], off, s15
	v_add_f64 v[10:11], v[10:11], v[194:195]
	s_add_i32 s15, s14, 0x380
	s_waitcnt vmcnt(0) lgkmcnt(0)
	v_mul_f64 v[194:195], v[208:209], v[4:5]
	v_fma_f64 v[194:195], v[206:207], v[2:3], -v[194:195]
	v_add_f64 v[10:11], v[10:11], v[194:195]
	scratch_load_dwordx4 v[194:197], off, s15
	v_mul_f64 v[4:5], v[206:207], v[4:5]
	v_fmac_f64_e32 v[4:5], v[208:209], v[2:3]
	v_add_f64 v[52:53], v[52:53], v[4:5]
	ds_read_b128 v[2:5], v49 offset:1872
	s_add_i32 s15, s14, 0x390
	s_waitcnt vmcnt(0) lgkmcnt(0)
	v_mul_f64 v[198:199], v[4:5], v[196:197]
	v_fma_f64 v[198:199], v[2:3], v[194:195], -v[198:199]
	v_mul_f64 v[2:3], v[2:3], v[196:197]
	v_fmac_f64_e32 v[2:3], v[4:5], v[194:195]
	scratch_load_dwordx4 v[194:197], off, s15
	v_add_f64 v[52:53], v[52:53], v[2:3]
	ds_read_b128 v[2:5], v49 offset:1888
	v_add_f64 v[10:11], v[10:11], v[198:199]
	s_add_i32 s15, s14, 0x3a0
	s_addk_i32 s14, 0x3b0
	s_waitcnt vmcnt(0) lgkmcnt(0)
	v_mul_f64 v[198:199], v[4:5], v[196:197]
	v_fma_f64 v[198:199], v[2:3], v[194:195], -v[198:199]
	v_mul_f64 v[2:3], v[2:3], v[196:197]
	v_fmac_f64_e32 v[2:3], v[4:5], v[194:195]
	scratch_load_dwordx4 v[194:197], off, s15
	v_add_f64 v[52:53], v[52:53], v[2:3]
	ds_read_b128 v[2:5], v49 offset:1904
	v_add_f64 v[10:11], v[10:11], v[198:199]
	s_waitcnt vmcnt(0) lgkmcnt(0)
	v_mul_f64 v[198:199], v[4:5], v[196:197]
	v_fma_f64 v[198:199], v[2:3], v[194:195], -v[198:199]
	v_mul_f64 v[2:3], v[2:3], v[196:197]
	v_fmac_f64_e32 v[2:3], v[4:5], v[194:195]
	scratch_load_dwordx4 v[194:197], off, s14
	v_add_f64 v[52:53], v[52:53], v[2:3]
	ds_read_b128 v[2:5], v49 offset:1920
	v_add_f64 v[10:11], v[10:11], v[198:199]
	s_add_i32 s14, s13, 8
	v_cmp_eq_u32_e32 vcc, s14, v7
	s_add_i32 s13, s13, 60
	s_or_b64 s[10:11], vcc, s[10:11]
	v_mov_b32_e32 v193, s13
	s_mov_b32 s13, s14
	s_waitcnt vmcnt(0) lgkmcnt(0)
	v_mul_f64 v[198:199], v[4:5], v[196:197]
	v_mul_f64 v[196:197], v[2:3], v[196:197]
	v_fma_f64 v[198:199], v[2:3], v[194:195], -v[198:199]
	v_fmac_f64_e32 v[196:197], v[4:5], v[194:195]
	v_add_f64 v[2:3], v[10:11], v[198:199]
	v_add_f64 v[4:5], v[52:53], v[196:197]
	s_andn2_b64 exec, exec, s[10:11]
	s_cbranch_execnz .LBB60_109
; %bb.110:
	s_or_b64 exec, exec, s[10:11]
.LBB60_111:
	s_or_b64 exec, exec, s[0:1]
	v_and_b32_e32 v6, 7, v6
	v_cmp_ne_u32_e32 vcc, 0, v6
	s_and_saveexec_b64 s[0:1], vcc
	s_cbranch_execz .LBB60_115
; %bb.112:
	v_lshlrev_b32_e32 v10, 4, v193
	v_add_u32_e32 v7, 0x3d0, v10
	v_add_u32_e32 v192, 0, v10
	s_mov_b64 s[10:11], 0
.LBB60_113:                             ; =>This Inner Loop Header: Depth=1
	scratch_load_dwordx4 v[194:197], v192, off
	ds_read_b128 v[198:201], v7
	v_add_u32_e32 v6, -1, v6
	v_cmp_eq_u32_e32 vcc, 0, v6
	v_add_u32_e32 v7, 16, v7
	v_add_u32_e32 v192, 16, v192
	s_or_b64 s[10:11], vcc, s[10:11]
	s_waitcnt vmcnt(0) lgkmcnt(0)
	v_mul_f64 v[10:11], v[200:201], v[196:197]
	v_mul_f64 v[52:53], v[198:199], v[196:197]
	v_fma_f64 v[10:11], v[198:199], v[194:195], -v[10:11]
	v_fmac_f64_e32 v[52:53], v[200:201], v[194:195]
	v_add_f64 v[2:3], v[2:3], v[10:11]
	v_add_f64 v[4:5], v[4:5], v[52:53]
	s_andn2_b64 exec, exec, s[10:11]
	s_cbranch_execnz .LBB60_113
; %bb.114:
	s_or_b64 exec, exec, s[10:11]
.LBB60_115:
	s_or_b64 exec, exec, s[0:1]
.LBB60_116:
	s_or_b64 exec, exec, s[8:9]
	v_mov_b32_e32 v6, 0
	ds_read_b128 v[192:195], v6 offset:816
	s_waitcnt lgkmcnt(0)
	v_mul_f64 v[6:7], v[4:5], v[194:195]
	v_mul_f64 v[196:197], v[2:3], v[194:195]
	v_fma_f64 v[194:195], v[2:3], v[192:193], -v[6:7]
	v_fmac_f64_e32 v[196:197], v[4:5], v[192:193]
	scratch_store_dwordx4 off, v[194:197], off offset:816
.LBB60_117:
	s_or_b64 exec, exec, s[4:5]
	scratch_load_dwordx4 v[2:5], v142, off
	v_cmp_lt_u32_e64 s[0:1], 50, v0
	s_waitcnt vmcnt(0)
	ds_write_b128 v9, v[2:5]
	s_waitcnt lgkmcnt(0)
	; wave barrier
	s_waitcnt lgkmcnt(0)
	s_and_saveexec_b64 s[4:5], s[0:1]
	s_cbranch_execz .LBB60_131
; %bb.118:
	ds_read_b128 v[2:5], v9
	s_andn2_b64 vcc, exec, s[6:7]
	s_cbranch_vccnz .LBB60_120
; %bb.119:
	scratch_load_dwordx4 v[192:195], v8, off
	s_waitcnt vmcnt(0) lgkmcnt(0)
	v_mul_f64 v[10:11], v[2:3], v[194:195]
	v_mul_f64 v[6:7], v[4:5], v[194:195]
	v_fmac_f64_e32 v[10:11], v[4:5], v[192:193]
	v_fma_f64 v[2:3], v[2:3], v[192:193], -v[6:7]
	v_mov_b64_e32 v[4:5], v[10:11]
.LBB60_120:
	s_and_saveexec_b64 s[8:9], s[2:3]
	s_cbranch_execz .LBB60_130
; %bb.121:
	v_subrev_u32_e32 v7, 52, v0
	v_subrev_u32_e32 v6, 51, v0
	v_cmp_lt_u32_e32 vcc, 6, v7
	v_mov_b32_e32 v193, 51
	s_and_saveexec_b64 s[2:3], vcc
	s_cbranch_execz .LBB60_125
; %bb.122:
	v_and_b32_e32 v7, -8, v6
	s_mov_b32 s12, 0
	s_mov_b64 s[10:11], 0
	v_mov_b32_e32 v192, 0
	s_mov_b32 s13, 0
.LBB60_123:                             ; =>This Inner Loop Header: Depth=1
	v_readfirstlane_b32 s14, v192
	s_add_i32 s14, s14, s12
	s_add_i32 s15, s14, 0x330
	v_mov_b32_e32 v49, s12
	ds_read_b128 v[194:197], v49 offset:1792
	ds_read_b128 v[198:201], v49 offset:1808
	;; [unrolled: 1-line block ×4, first 2 shown]
	scratch_load_dwordx4 v[210:213], off, s15
	s_add_i32 s15, s14, 0x340
	s_addk_i32 s12, 0x80
	s_waitcnt vmcnt(0) lgkmcnt(3)
	v_mul_f64 v[10:11], v[196:197], v[212:213]
	v_mul_f64 v[52:53], v[194:195], v[212:213]
	v_fma_f64 v[10:11], v[194:195], v[210:211], -v[10:11]
	v_fmac_f64_e32 v[52:53], v[196:197], v[210:211]
	v_add_f64 v[10:11], v[2:3], v[10:11]
	v_add_f64 v[52:53], v[4:5], v[52:53]
	scratch_load_dwordx4 v[2:5], off, s15
	s_add_i32 s15, s14, 0x350
	s_waitcnt vmcnt(0) lgkmcnt(2)
	v_mul_f64 v[194:195], v[200:201], v[4:5]
	v_mul_f64 v[4:5], v[198:199], v[4:5]
	v_fmac_f64_e32 v[4:5], v[200:201], v[2:3]
	v_fma_f64 v[194:195], v[198:199], v[2:3], -v[194:195]
	v_add_f64 v[52:53], v[52:53], v[4:5]
	scratch_load_dwordx4 v[2:5], off, s15
	v_add_f64 v[10:11], v[10:11], v[194:195]
	s_add_i32 s15, s14, 0x360
	s_waitcnt vmcnt(0) lgkmcnt(1)
	v_mul_f64 v[194:195], v[204:205], v[4:5]
	v_mul_f64 v[4:5], v[202:203], v[4:5]
	v_fmac_f64_e32 v[4:5], v[204:205], v[2:3]
	v_fma_f64 v[194:195], v[202:203], v[2:3], -v[194:195]
	v_add_f64 v[52:53], v[52:53], v[4:5]
	scratch_load_dwordx4 v[2:5], off, s15
	v_add_f64 v[10:11], v[10:11], v[194:195]
	s_add_i32 s15, s14, 0x370
	s_waitcnt vmcnt(0) lgkmcnt(0)
	v_mul_f64 v[194:195], v[208:209], v[4:5]
	v_fma_f64 v[194:195], v[206:207], v[2:3], -v[194:195]
	v_add_f64 v[10:11], v[10:11], v[194:195]
	scratch_load_dwordx4 v[194:197], off, s15
	v_mul_f64 v[4:5], v[206:207], v[4:5]
	v_fmac_f64_e32 v[4:5], v[208:209], v[2:3]
	v_add_f64 v[52:53], v[52:53], v[4:5]
	ds_read_b128 v[2:5], v49 offset:1856
	s_add_i32 s15, s14, 0x380
	s_waitcnt vmcnt(0) lgkmcnt(0)
	v_mul_f64 v[198:199], v[4:5], v[196:197]
	v_fma_f64 v[198:199], v[2:3], v[194:195], -v[198:199]
	v_mul_f64 v[2:3], v[2:3], v[196:197]
	v_fmac_f64_e32 v[2:3], v[4:5], v[194:195]
	scratch_load_dwordx4 v[194:197], off, s15
	v_add_f64 v[52:53], v[52:53], v[2:3]
	ds_read_b128 v[2:5], v49 offset:1872
	v_add_f64 v[10:11], v[10:11], v[198:199]
	s_add_i32 s15, s14, 0x390
	s_addk_i32 s14, 0x3a0
	s_waitcnt vmcnt(0) lgkmcnt(0)
	v_mul_f64 v[198:199], v[4:5], v[196:197]
	v_fma_f64 v[198:199], v[2:3], v[194:195], -v[198:199]
	v_mul_f64 v[2:3], v[2:3], v[196:197]
	v_fmac_f64_e32 v[2:3], v[4:5], v[194:195]
	scratch_load_dwordx4 v[194:197], off, s15
	v_add_f64 v[52:53], v[52:53], v[2:3]
	ds_read_b128 v[2:5], v49 offset:1888
	v_add_f64 v[10:11], v[10:11], v[198:199]
	s_waitcnt vmcnt(0) lgkmcnt(0)
	v_mul_f64 v[198:199], v[4:5], v[196:197]
	v_fma_f64 v[198:199], v[2:3], v[194:195], -v[198:199]
	v_mul_f64 v[2:3], v[2:3], v[196:197]
	v_fmac_f64_e32 v[2:3], v[4:5], v[194:195]
	scratch_load_dwordx4 v[194:197], off, s14
	v_add_f64 v[52:53], v[52:53], v[2:3]
	ds_read_b128 v[2:5], v49 offset:1904
	v_add_f64 v[10:11], v[10:11], v[198:199]
	s_add_i32 s14, s13, 8
	v_cmp_eq_u32_e32 vcc, s14, v7
	s_add_i32 s13, s13, 59
	s_or_b64 s[10:11], vcc, s[10:11]
	v_mov_b32_e32 v193, s13
	s_mov_b32 s13, s14
	s_waitcnt vmcnt(0) lgkmcnt(0)
	v_mul_f64 v[198:199], v[4:5], v[196:197]
	v_mul_f64 v[196:197], v[2:3], v[196:197]
	v_fma_f64 v[198:199], v[2:3], v[194:195], -v[198:199]
	v_fmac_f64_e32 v[196:197], v[4:5], v[194:195]
	v_add_f64 v[2:3], v[10:11], v[198:199]
	v_add_f64 v[4:5], v[52:53], v[196:197]
	s_andn2_b64 exec, exec, s[10:11]
	s_cbranch_execnz .LBB60_123
; %bb.124:
	s_or_b64 exec, exec, s[10:11]
.LBB60_125:
	s_or_b64 exec, exec, s[2:3]
	v_and_b32_e32 v6, 7, v6
	v_cmp_ne_u32_e32 vcc, 0, v6
	s_and_saveexec_b64 s[2:3], vcc
	s_cbranch_execz .LBB60_129
; %bb.126:
	v_lshlrev_b32_e32 v10, 4, v193
	v_add_u32_e32 v7, 0x3d0, v10
	v_add_u32_e32 v192, 0, v10
	s_mov_b64 s[10:11], 0
.LBB60_127:                             ; =>This Inner Loop Header: Depth=1
	scratch_load_dwordx4 v[194:197], v192, off
	ds_read_b128 v[198:201], v7
	v_add_u32_e32 v6, -1, v6
	v_cmp_eq_u32_e32 vcc, 0, v6
	v_add_u32_e32 v7, 16, v7
	v_add_u32_e32 v192, 16, v192
	s_or_b64 s[10:11], vcc, s[10:11]
	s_waitcnt vmcnt(0) lgkmcnt(0)
	v_mul_f64 v[10:11], v[200:201], v[196:197]
	v_mul_f64 v[52:53], v[198:199], v[196:197]
	v_fma_f64 v[10:11], v[198:199], v[194:195], -v[10:11]
	v_fmac_f64_e32 v[52:53], v[200:201], v[194:195]
	v_add_f64 v[2:3], v[2:3], v[10:11]
	v_add_f64 v[4:5], v[4:5], v[52:53]
	s_andn2_b64 exec, exec, s[10:11]
	s_cbranch_execnz .LBB60_127
; %bb.128:
	s_or_b64 exec, exec, s[10:11]
.LBB60_129:
	s_or_b64 exec, exec, s[2:3]
.LBB60_130:
	s_or_b64 exec, exec, s[8:9]
	v_mov_b32_e32 v6, 0
	ds_read_b128 v[192:195], v6 offset:800
	s_waitcnt lgkmcnt(0)
	v_mul_f64 v[6:7], v[4:5], v[194:195]
	v_mul_f64 v[196:197], v[2:3], v[194:195]
	v_fma_f64 v[194:195], v[2:3], v[192:193], -v[6:7]
	v_fmac_f64_e32 v[196:197], v[4:5], v[192:193]
	scratch_store_dwordx4 off, v[194:197], off offset:800
.LBB60_131:
	s_or_b64 exec, exec, s[4:5]
	scratch_load_dwordx4 v[2:5], v143, off
	v_cmp_lt_u32_e64 s[2:3], 49, v0
	s_waitcnt vmcnt(0)
	ds_write_b128 v9, v[2:5]
	s_waitcnt lgkmcnt(0)
	; wave barrier
	s_waitcnt lgkmcnt(0)
	s_and_saveexec_b64 s[4:5], s[2:3]
	s_cbranch_execz .LBB60_145
; %bb.132:
	ds_read_b128 v[2:5], v9
	s_andn2_b64 vcc, exec, s[6:7]
	s_cbranch_vccnz .LBB60_134
; %bb.133:
	scratch_load_dwordx4 v[192:195], v8, off
	s_waitcnt vmcnt(0) lgkmcnt(0)
	v_mul_f64 v[10:11], v[2:3], v[194:195]
	v_mul_f64 v[6:7], v[4:5], v[194:195]
	v_fmac_f64_e32 v[10:11], v[4:5], v[192:193]
	v_fma_f64 v[2:3], v[2:3], v[192:193], -v[6:7]
	v_mov_b64_e32 v[4:5], v[10:11]
.LBB60_134:
	s_and_saveexec_b64 s[8:9], s[0:1]
	s_cbranch_execz .LBB60_144
; %bb.135:
	v_subrev_u32_e32 v7, 51, v0
	v_subrev_u32_e32 v6, 50, v0
	v_cmp_lt_u32_e32 vcc, 6, v7
	v_mov_b32_e32 v193, 50
	s_and_saveexec_b64 s[0:1], vcc
	s_cbranch_execz .LBB60_139
; %bb.136:
	v_and_b32_e32 v7, -8, v6
	s_mov_b32 s12, 0
	s_mov_b64 s[10:11], 0
	v_mov_b32_e32 v192, 0
	s_mov_b32 s13, 0
.LBB60_137:                             ; =>This Inner Loop Header: Depth=1
	v_readfirstlane_b32 s14, v192
	s_add_i32 s14, s14, s12
	s_add_i32 s15, s14, 0x320
	v_mov_b32_e32 v49, s12
	ds_read_b128 v[194:197], v49 offset:1776
	ds_read_b128 v[198:201], v49 offset:1792
	;; [unrolled: 1-line block ×4, first 2 shown]
	scratch_load_dwordx4 v[210:213], off, s15
	s_add_i32 s15, s14, 0x330
	s_addk_i32 s12, 0x80
	s_waitcnt vmcnt(0) lgkmcnt(3)
	v_mul_f64 v[10:11], v[196:197], v[212:213]
	v_mul_f64 v[52:53], v[194:195], v[212:213]
	v_fma_f64 v[10:11], v[194:195], v[210:211], -v[10:11]
	v_fmac_f64_e32 v[52:53], v[196:197], v[210:211]
	v_add_f64 v[10:11], v[2:3], v[10:11]
	v_add_f64 v[52:53], v[4:5], v[52:53]
	scratch_load_dwordx4 v[2:5], off, s15
	s_add_i32 s15, s14, 0x340
	s_waitcnt vmcnt(0) lgkmcnt(2)
	v_mul_f64 v[194:195], v[200:201], v[4:5]
	v_mul_f64 v[4:5], v[198:199], v[4:5]
	v_fmac_f64_e32 v[4:5], v[200:201], v[2:3]
	v_fma_f64 v[194:195], v[198:199], v[2:3], -v[194:195]
	v_add_f64 v[52:53], v[52:53], v[4:5]
	scratch_load_dwordx4 v[2:5], off, s15
	v_add_f64 v[10:11], v[10:11], v[194:195]
	s_add_i32 s15, s14, 0x350
	s_waitcnt vmcnt(0) lgkmcnt(1)
	v_mul_f64 v[194:195], v[204:205], v[4:5]
	v_mul_f64 v[4:5], v[202:203], v[4:5]
	v_fmac_f64_e32 v[4:5], v[204:205], v[2:3]
	v_fma_f64 v[194:195], v[202:203], v[2:3], -v[194:195]
	v_add_f64 v[52:53], v[52:53], v[4:5]
	scratch_load_dwordx4 v[2:5], off, s15
	v_add_f64 v[10:11], v[10:11], v[194:195]
	s_add_i32 s15, s14, 0x360
	s_waitcnt vmcnt(0) lgkmcnt(0)
	v_mul_f64 v[194:195], v[208:209], v[4:5]
	v_fma_f64 v[194:195], v[206:207], v[2:3], -v[194:195]
	v_add_f64 v[10:11], v[10:11], v[194:195]
	scratch_load_dwordx4 v[194:197], off, s15
	v_mul_f64 v[4:5], v[206:207], v[4:5]
	v_fmac_f64_e32 v[4:5], v[208:209], v[2:3]
	v_add_f64 v[52:53], v[52:53], v[4:5]
	ds_read_b128 v[2:5], v49 offset:1840
	s_add_i32 s15, s14, 0x370
	s_waitcnt vmcnt(0) lgkmcnt(0)
	v_mul_f64 v[198:199], v[4:5], v[196:197]
	v_fma_f64 v[198:199], v[2:3], v[194:195], -v[198:199]
	v_mul_f64 v[2:3], v[2:3], v[196:197]
	v_fmac_f64_e32 v[2:3], v[4:5], v[194:195]
	scratch_load_dwordx4 v[194:197], off, s15
	v_add_f64 v[52:53], v[52:53], v[2:3]
	ds_read_b128 v[2:5], v49 offset:1856
	v_add_f64 v[10:11], v[10:11], v[198:199]
	s_add_i32 s15, s14, 0x380
	s_addk_i32 s14, 0x390
	s_waitcnt vmcnt(0) lgkmcnt(0)
	v_mul_f64 v[198:199], v[4:5], v[196:197]
	v_fma_f64 v[198:199], v[2:3], v[194:195], -v[198:199]
	v_mul_f64 v[2:3], v[2:3], v[196:197]
	v_fmac_f64_e32 v[2:3], v[4:5], v[194:195]
	scratch_load_dwordx4 v[194:197], off, s15
	v_add_f64 v[52:53], v[52:53], v[2:3]
	ds_read_b128 v[2:5], v49 offset:1872
	v_add_f64 v[10:11], v[10:11], v[198:199]
	s_waitcnt vmcnt(0) lgkmcnt(0)
	v_mul_f64 v[198:199], v[4:5], v[196:197]
	v_fma_f64 v[198:199], v[2:3], v[194:195], -v[198:199]
	v_mul_f64 v[2:3], v[2:3], v[196:197]
	v_fmac_f64_e32 v[2:3], v[4:5], v[194:195]
	scratch_load_dwordx4 v[194:197], off, s14
	v_add_f64 v[52:53], v[52:53], v[2:3]
	ds_read_b128 v[2:5], v49 offset:1888
	v_add_f64 v[10:11], v[10:11], v[198:199]
	s_add_i32 s14, s13, 8
	v_cmp_eq_u32_e32 vcc, s14, v7
	s_add_i32 s13, s13, 58
	s_or_b64 s[10:11], vcc, s[10:11]
	v_mov_b32_e32 v193, s13
	s_mov_b32 s13, s14
	s_waitcnt vmcnt(0) lgkmcnt(0)
	v_mul_f64 v[198:199], v[4:5], v[196:197]
	v_mul_f64 v[196:197], v[2:3], v[196:197]
	v_fma_f64 v[198:199], v[2:3], v[194:195], -v[198:199]
	v_fmac_f64_e32 v[196:197], v[4:5], v[194:195]
	v_add_f64 v[2:3], v[10:11], v[198:199]
	v_add_f64 v[4:5], v[52:53], v[196:197]
	s_andn2_b64 exec, exec, s[10:11]
	s_cbranch_execnz .LBB60_137
; %bb.138:
	s_or_b64 exec, exec, s[10:11]
.LBB60_139:
	s_or_b64 exec, exec, s[0:1]
	v_and_b32_e32 v6, 7, v6
	v_cmp_ne_u32_e32 vcc, 0, v6
	s_and_saveexec_b64 s[0:1], vcc
	s_cbranch_execz .LBB60_143
; %bb.140:
	v_lshlrev_b32_e32 v10, 4, v193
	v_add_u32_e32 v7, 0x3d0, v10
	v_add_u32_e32 v192, 0, v10
	s_mov_b64 s[10:11], 0
.LBB60_141:                             ; =>This Inner Loop Header: Depth=1
	scratch_load_dwordx4 v[194:197], v192, off
	ds_read_b128 v[198:201], v7
	v_add_u32_e32 v6, -1, v6
	v_cmp_eq_u32_e32 vcc, 0, v6
	v_add_u32_e32 v7, 16, v7
	v_add_u32_e32 v192, 16, v192
	s_or_b64 s[10:11], vcc, s[10:11]
	s_waitcnt vmcnt(0) lgkmcnt(0)
	v_mul_f64 v[10:11], v[200:201], v[196:197]
	v_mul_f64 v[52:53], v[198:199], v[196:197]
	v_fma_f64 v[10:11], v[198:199], v[194:195], -v[10:11]
	v_fmac_f64_e32 v[52:53], v[200:201], v[194:195]
	v_add_f64 v[2:3], v[2:3], v[10:11]
	v_add_f64 v[4:5], v[4:5], v[52:53]
	s_andn2_b64 exec, exec, s[10:11]
	s_cbranch_execnz .LBB60_141
; %bb.142:
	s_or_b64 exec, exec, s[10:11]
.LBB60_143:
	s_or_b64 exec, exec, s[0:1]
.LBB60_144:
	s_or_b64 exec, exec, s[8:9]
	v_mov_b32_e32 v6, 0
	ds_read_b128 v[192:195], v6 offset:784
	s_waitcnt lgkmcnt(0)
	v_mul_f64 v[6:7], v[4:5], v[194:195]
	v_mul_f64 v[196:197], v[2:3], v[194:195]
	v_fma_f64 v[194:195], v[2:3], v[192:193], -v[6:7]
	v_fmac_f64_e32 v[196:197], v[4:5], v[192:193]
	scratch_store_dwordx4 off, v[194:197], off offset:784
.LBB60_145:
	s_or_b64 exec, exec, s[4:5]
	scratch_load_dwordx4 v[2:5], v144, off
	v_cmp_lt_u32_e64 s[0:1], 48, v0
	s_waitcnt vmcnt(0)
	ds_write_b128 v9, v[2:5]
	s_waitcnt lgkmcnt(0)
	; wave barrier
	s_waitcnt lgkmcnt(0)
	s_and_saveexec_b64 s[4:5], s[0:1]
	s_cbranch_execz .LBB60_159
; %bb.146:
	ds_read_b128 v[2:5], v9
	s_andn2_b64 vcc, exec, s[6:7]
	s_cbranch_vccnz .LBB60_148
; %bb.147:
	scratch_load_dwordx4 v[192:195], v8, off
	s_waitcnt vmcnt(0) lgkmcnt(0)
	v_mul_f64 v[10:11], v[2:3], v[194:195]
	v_mul_f64 v[6:7], v[4:5], v[194:195]
	v_fmac_f64_e32 v[10:11], v[4:5], v[192:193]
	v_fma_f64 v[2:3], v[2:3], v[192:193], -v[6:7]
	v_mov_b64_e32 v[4:5], v[10:11]
.LBB60_148:
	s_and_saveexec_b64 s[8:9], s[2:3]
	s_cbranch_execz .LBB60_158
; %bb.149:
	v_subrev_u32_e32 v7, 50, v0
	v_subrev_u32_e32 v6, 49, v0
	v_cmp_lt_u32_e32 vcc, 6, v7
	v_mov_b32_e32 v193, 49
	s_and_saveexec_b64 s[2:3], vcc
	s_cbranch_execz .LBB60_153
; %bb.150:
	v_and_b32_e32 v7, -8, v6
	s_mov_b32 s12, 0
	s_mov_b64 s[10:11], 0
	v_mov_b32_e32 v192, 0
	s_mov_b32 s13, 0
.LBB60_151:                             ; =>This Inner Loop Header: Depth=1
	v_readfirstlane_b32 s14, v192
	s_add_i32 s14, s14, s12
	s_add_i32 s15, s14, 0x310
	v_mov_b32_e32 v49, s12
	ds_read_b128 v[194:197], v49 offset:1760
	ds_read_b128 v[198:201], v49 offset:1776
	;; [unrolled: 1-line block ×4, first 2 shown]
	scratch_load_dwordx4 v[210:213], off, s15
	s_add_i32 s15, s14, 0x320
	s_addk_i32 s12, 0x80
	s_waitcnt vmcnt(0) lgkmcnt(3)
	v_mul_f64 v[10:11], v[196:197], v[212:213]
	v_mul_f64 v[52:53], v[194:195], v[212:213]
	v_fma_f64 v[10:11], v[194:195], v[210:211], -v[10:11]
	v_fmac_f64_e32 v[52:53], v[196:197], v[210:211]
	v_add_f64 v[10:11], v[2:3], v[10:11]
	v_add_f64 v[52:53], v[4:5], v[52:53]
	scratch_load_dwordx4 v[2:5], off, s15
	s_add_i32 s15, s14, 0x330
	s_waitcnt vmcnt(0) lgkmcnt(2)
	v_mul_f64 v[194:195], v[200:201], v[4:5]
	v_mul_f64 v[4:5], v[198:199], v[4:5]
	v_fmac_f64_e32 v[4:5], v[200:201], v[2:3]
	v_fma_f64 v[194:195], v[198:199], v[2:3], -v[194:195]
	v_add_f64 v[52:53], v[52:53], v[4:5]
	scratch_load_dwordx4 v[2:5], off, s15
	v_add_f64 v[10:11], v[10:11], v[194:195]
	s_add_i32 s15, s14, 0x340
	s_waitcnt vmcnt(0) lgkmcnt(1)
	v_mul_f64 v[194:195], v[204:205], v[4:5]
	v_mul_f64 v[4:5], v[202:203], v[4:5]
	v_fmac_f64_e32 v[4:5], v[204:205], v[2:3]
	v_fma_f64 v[194:195], v[202:203], v[2:3], -v[194:195]
	v_add_f64 v[52:53], v[52:53], v[4:5]
	scratch_load_dwordx4 v[2:5], off, s15
	v_add_f64 v[10:11], v[10:11], v[194:195]
	s_add_i32 s15, s14, 0x350
	s_waitcnt vmcnt(0) lgkmcnt(0)
	v_mul_f64 v[194:195], v[208:209], v[4:5]
	v_fma_f64 v[194:195], v[206:207], v[2:3], -v[194:195]
	v_add_f64 v[10:11], v[10:11], v[194:195]
	scratch_load_dwordx4 v[194:197], off, s15
	v_mul_f64 v[4:5], v[206:207], v[4:5]
	v_fmac_f64_e32 v[4:5], v[208:209], v[2:3]
	v_add_f64 v[52:53], v[52:53], v[4:5]
	ds_read_b128 v[2:5], v49 offset:1824
	s_add_i32 s15, s14, 0x360
	s_waitcnt vmcnt(0) lgkmcnt(0)
	v_mul_f64 v[198:199], v[4:5], v[196:197]
	v_fma_f64 v[198:199], v[2:3], v[194:195], -v[198:199]
	v_mul_f64 v[2:3], v[2:3], v[196:197]
	v_fmac_f64_e32 v[2:3], v[4:5], v[194:195]
	scratch_load_dwordx4 v[194:197], off, s15
	v_add_f64 v[52:53], v[52:53], v[2:3]
	ds_read_b128 v[2:5], v49 offset:1840
	v_add_f64 v[10:11], v[10:11], v[198:199]
	s_add_i32 s15, s14, 0x370
	s_addk_i32 s14, 0x380
	s_waitcnt vmcnt(0) lgkmcnt(0)
	v_mul_f64 v[198:199], v[4:5], v[196:197]
	v_fma_f64 v[198:199], v[2:3], v[194:195], -v[198:199]
	v_mul_f64 v[2:3], v[2:3], v[196:197]
	v_fmac_f64_e32 v[2:3], v[4:5], v[194:195]
	scratch_load_dwordx4 v[194:197], off, s15
	v_add_f64 v[52:53], v[52:53], v[2:3]
	ds_read_b128 v[2:5], v49 offset:1856
	v_add_f64 v[10:11], v[10:11], v[198:199]
	s_waitcnt vmcnt(0) lgkmcnt(0)
	v_mul_f64 v[198:199], v[4:5], v[196:197]
	v_fma_f64 v[198:199], v[2:3], v[194:195], -v[198:199]
	v_mul_f64 v[2:3], v[2:3], v[196:197]
	v_fmac_f64_e32 v[2:3], v[4:5], v[194:195]
	scratch_load_dwordx4 v[194:197], off, s14
	v_add_f64 v[52:53], v[52:53], v[2:3]
	ds_read_b128 v[2:5], v49 offset:1872
	v_add_f64 v[10:11], v[10:11], v[198:199]
	s_add_i32 s14, s13, 8
	v_cmp_eq_u32_e32 vcc, s14, v7
	s_add_i32 s13, s13, 57
	s_or_b64 s[10:11], vcc, s[10:11]
	v_mov_b32_e32 v193, s13
	s_mov_b32 s13, s14
	s_waitcnt vmcnt(0) lgkmcnt(0)
	v_mul_f64 v[198:199], v[4:5], v[196:197]
	v_mul_f64 v[196:197], v[2:3], v[196:197]
	v_fma_f64 v[198:199], v[2:3], v[194:195], -v[198:199]
	v_fmac_f64_e32 v[196:197], v[4:5], v[194:195]
	v_add_f64 v[2:3], v[10:11], v[198:199]
	v_add_f64 v[4:5], v[52:53], v[196:197]
	s_andn2_b64 exec, exec, s[10:11]
	s_cbranch_execnz .LBB60_151
; %bb.152:
	s_or_b64 exec, exec, s[10:11]
.LBB60_153:
	s_or_b64 exec, exec, s[2:3]
	v_and_b32_e32 v6, 7, v6
	v_cmp_ne_u32_e32 vcc, 0, v6
	s_and_saveexec_b64 s[2:3], vcc
	s_cbranch_execz .LBB60_157
; %bb.154:
	v_lshlrev_b32_e32 v10, 4, v193
	v_add_u32_e32 v7, 0x3d0, v10
	v_add_u32_e32 v192, 0, v10
	s_mov_b64 s[10:11], 0
.LBB60_155:                             ; =>This Inner Loop Header: Depth=1
	scratch_load_dwordx4 v[194:197], v192, off
	ds_read_b128 v[198:201], v7
	v_add_u32_e32 v6, -1, v6
	v_cmp_eq_u32_e32 vcc, 0, v6
	v_add_u32_e32 v7, 16, v7
	v_add_u32_e32 v192, 16, v192
	s_or_b64 s[10:11], vcc, s[10:11]
	s_waitcnt vmcnt(0) lgkmcnt(0)
	v_mul_f64 v[10:11], v[200:201], v[196:197]
	v_mul_f64 v[52:53], v[198:199], v[196:197]
	v_fma_f64 v[10:11], v[198:199], v[194:195], -v[10:11]
	v_fmac_f64_e32 v[52:53], v[200:201], v[194:195]
	v_add_f64 v[2:3], v[2:3], v[10:11]
	v_add_f64 v[4:5], v[4:5], v[52:53]
	s_andn2_b64 exec, exec, s[10:11]
	s_cbranch_execnz .LBB60_155
; %bb.156:
	s_or_b64 exec, exec, s[10:11]
.LBB60_157:
	s_or_b64 exec, exec, s[2:3]
.LBB60_158:
	s_or_b64 exec, exec, s[8:9]
	v_mov_b32_e32 v6, 0
	ds_read_b128 v[192:195], v6 offset:768
	s_waitcnt lgkmcnt(0)
	v_mul_f64 v[6:7], v[4:5], v[194:195]
	v_mul_f64 v[196:197], v[2:3], v[194:195]
	v_fma_f64 v[194:195], v[2:3], v[192:193], -v[6:7]
	v_fmac_f64_e32 v[196:197], v[4:5], v[192:193]
	scratch_store_dwordx4 off, v[194:197], off offset:768
.LBB60_159:
	s_or_b64 exec, exec, s[4:5]
	scratch_load_dwordx4 v[2:5], v145, off
	v_cmp_lt_u32_e64 s[2:3], 47, v0
	s_waitcnt vmcnt(0)
	ds_write_b128 v9, v[2:5]
	s_waitcnt lgkmcnt(0)
	; wave barrier
	s_waitcnt lgkmcnt(0)
	s_and_saveexec_b64 s[4:5], s[2:3]
	s_cbranch_execz .LBB60_173
; %bb.160:
	ds_read_b128 v[2:5], v9
	s_andn2_b64 vcc, exec, s[6:7]
	s_cbranch_vccnz .LBB60_162
; %bb.161:
	scratch_load_dwordx4 v[192:195], v8, off
	s_waitcnt vmcnt(0) lgkmcnt(0)
	v_mul_f64 v[10:11], v[2:3], v[194:195]
	v_mul_f64 v[6:7], v[4:5], v[194:195]
	v_fmac_f64_e32 v[10:11], v[4:5], v[192:193]
	v_fma_f64 v[2:3], v[2:3], v[192:193], -v[6:7]
	v_mov_b64_e32 v[4:5], v[10:11]
.LBB60_162:
	s_and_saveexec_b64 s[8:9], s[0:1]
	s_cbranch_execz .LBB60_172
; %bb.163:
	v_subrev_u32_e32 v6, 49, v0
	v_cmp_lt_u32_e32 vcc, 6, v6
	v_mov_b32_e32 v6, 48
	s_and_saveexec_b64 s[0:1], vcc
	s_cbranch_execz .LBB60_167
; %bb.164:
	v_and_b32_e32 v6, 56, v0
	s_mov_b32 s12, 48
	s_mov_b32 s13, 0
	s_mov_b64 s[10:11], 0
	v_mov_b32_e32 v7, 0
.LBB60_165:                             ; =>This Inner Loop Header: Depth=1
	s_nop 0
	v_readfirstlane_b32 s14, v7
	s_add_i32 s14, s14, s13
	s_add_i32 s15, s14, 0x300
	v_mov_b32_e32 v49, s13
	ds_read_b128 v[192:195], v49 offset:1744
	ds_read_b128 v[196:199], v49 offset:1760
	;; [unrolled: 1-line block ×4, first 2 shown]
	scratch_load_dwordx4 v[208:211], off, s15
	s_add_i32 s15, s14, 0x310
	s_add_i32 s12, s12, 8
	s_addk_i32 s13, 0x80
	v_cmp_eq_u32_e32 vcc, s12, v6
	s_waitcnt vmcnt(0) lgkmcnt(3)
	v_mul_f64 v[10:11], v[194:195], v[210:211]
	v_mul_f64 v[52:53], v[192:193], v[210:211]
	v_fma_f64 v[10:11], v[192:193], v[208:209], -v[10:11]
	v_fmac_f64_e32 v[52:53], v[194:195], v[208:209]
	v_add_f64 v[10:11], v[2:3], v[10:11]
	v_add_f64 v[52:53], v[4:5], v[52:53]
	scratch_load_dwordx4 v[2:5], off, s15
	s_add_i32 s15, s14, 0x320
	s_waitcnt vmcnt(0) lgkmcnt(2)
	v_mul_f64 v[192:193], v[198:199], v[4:5]
	v_mul_f64 v[4:5], v[196:197], v[4:5]
	v_fmac_f64_e32 v[4:5], v[198:199], v[2:3]
	v_fma_f64 v[192:193], v[196:197], v[2:3], -v[192:193]
	v_add_f64 v[52:53], v[52:53], v[4:5]
	scratch_load_dwordx4 v[2:5], off, s15
	v_add_f64 v[10:11], v[10:11], v[192:193]
	s_add_i32 s15, s14, 0x330
	s_waitcnt vmcnt(0) lgkmcnt(1)
	v_mul_f64 v[192:193], v[202:203], v[4:5]
	v_mul_f64 v[4:5], v[200:201], v[4:5]
	v_fmac_f64_e32 v[4:5], v[202:203], v[2:3]
	v_fma_f64 v[192:193], v[200:201], v[2:3], -v[192:193]
	v_add_f64 v[52:53], v[52:53], v[4:5]
	scratch_load_dwordx4 v[2:5], off, s15
	v_add_f64 v[10:11], v[10:11], v[192:193]
	s_add_i32 s15, s14, 0x340
	s_waitcnt vmcnt(0) lgkmcnt(0)
	v_mul_f64 v[192:193], v[206:207], v[4:5]
	v_fma_f64 v[192:193], v[204:205], v[2:3], -v[192:193]
	v_add_f64 v[10:11], v[10:11], v[192:193]
	scratch_load_dwordx4 v[192:195], off, s15
	v_mul_f64 v[4:5], v[204:205], v[4:5]
	v_fmac_f64_e32 v[4:5], v[206:207], v[2:3]
	v_add_f64 v[52:53], v[52:53], v[4:5]
	ds_read_b128 v[2:5], v49 offset:1808
	s_add_i32 s15, s14, 0x350
	s_waitcnt vmcnt(0) lgkmcnt(0)
	v_mul_f64 v[196:197], v[4:5], v[194:195]
	v_fma_f64 v[196:197], v[2:3], v[192:193], -v[196:197]
	v_mul_f64 v[2:3], v[2:3], v[194:195]
	v_fmac_f64_e32 v[2:3], v[4:5], v[192:193]
	scratch_load_dwordx4 v[192:195], off, s15
	v_add_f64 v[52:53], v[52:53], v[2:3]
	ds_read_b128 v[2:5], v49 offset:1824
	v_add_f64 v[10:11], v[10:11], v[196:197]
	s_add_i32 s15, s14, 0x360
	s_addk_i32 s14, 0x370
	s_or_b64 s[10:11], vcc, s[10:11]
	s_waitcnt vmcnt(0) lgkmcnt(0)
	v_mul_f64 v[196:197], v[4:5], v[194:195]
	v_fma_f64 v[196:197], v[2:3], v[192:193], -v[196:197]
	v_mul_f64 v[2:3], v[2:3], v[194:195]
	v_fmac_f64_e32 v[2:3], v[4:5], v[192:193]
	scratch_load_dwordx4 v[192:195], off, s15
	v_add_f64 v[52:53], v[52:53], v[2:3]
	ds_read_b128 v[2:5], v49 offset:1840
	v_add_f64 v[10:11], v[10:11], v[196:197]
	s_waitcnt vmcnt(0) lgkmcnt(0)
	v_mul_f64 v[196:197], v[4:5], v[194:195]
	v_fma_f64 v[196:197], v[2:3], v[192:193], -v[196:197]
	v_mul_f64 v[2:3], v[2:3], v[194:195]
	v_fmac_f64_e32 v[2:3], v[4:5], v[192:193]
	scratch_load_dwordx4 v[192:195], off, s14
	v_add_f64 v[52:53], v[52:53], v[2:3]
	ds_read_b128 v[2:5], v49 offset:1856
	v_add_f64 v[10:11], v[10:11], v[196:197]
	s_waitcnt vmcnt(0) lgkmcnt(0)
	v_mul_f64 v[196:197], v[4:5], v[194:195]
	v_mul_f64 v[194:195], v[2:3], v[194:195]
	v_fma_f64 v[196:197], v[2:3], v[192:193], -v[196:197]
	v_fmac_f64_e32 v[194:195], v[4:5], v[192:193]
	v_add_f64 v[2:3], v[10:11], v[196:197]
	v_add_f64 v[4:5], v[52:53], v[194:195]
	s_andn2_b64 exec, exec, s[10:11]
	s_cbranch_execnz .LBB60_165
; %bb.166:
	s_or_b64 exec, exec, s[10:11]
.LBB60_167:
	s_or_b64 exec, exec, s[0:1]
	v_and_b32_e32 v7, 7, v0
	v_cmp_ne_u32_e32 vcc, 0, v7
	s_and_saveexec_b64 s[0:1], vcc
	s_cbranch_execz .LBB60_171
; %bb.168:
	v_lshlrev_b32_e32 v10, 4, v6
	v_add_u32_e32 v6, 0x3d0, v10
	v_add_u32_e32 v192, 0, v10
	s_mov_b64 s[10:11], 0
.LBB60_169:                             ; =>This Inner Loop Header: Depth=1
	scratch_load_dwordx4 v[194:197], v192, off
	ds_read_b128 v[198:201], v6
	v_add_u32_e32 v7, -1, v7
	v_cmp_eq_u32_e32 vcc, 0, v7
	v_add_u32_e32 v6, 16, v6
	v_add_u32_e32 v192, 16, v192
	s_or_b64 s[10:11], vcc, s[10:11]
	s_waitcnt vmcnt(0) lgkmcnt(0)
	v_mul_f64 v[10:11], v[200:201], v[196:197]
	v_mul_f64 v[52:53], v[198:199], v[196:197]
	v_fma_f64 v[10:11], v[198:199], v[194:195], -v[10:11]
	v_fmac_f64_e32 v[52:53], v[200:201], v[194:195]
	v_add_f64 v[2:3], v[2:3], v[10:11]
	v_add_f64 v[4:5], v[4:5], v[52:53]
	s_andn2_b64 exec, exec, s[10:11]
	s_cbranch_execnz .LBB60_169
; %bb.170:
	s_or_b64 exec, exec, s[10:11]
.LBB60_171:
	s_or_b64 exec, exec, s[0:1]
.LBB60_172:
	s_or_b64 exec, exec, s[8:9]
	v_mov_b32_e32 v6, 0
	ds_read_b128 v[192:195], v6 offset:752
	s_waitcnt lgkmcnt(0)
	v_mul_f64 v[6:7], v[4:5], v[194:195]
	v_mul_f64 v[196:197], v[2:3], v[194:195]
	v_fma_f64 v[194:195], v[2:3], v[192:193], -v[6:7]
	v_fmac_f64_e32 v[196:197], v[4:5], v[192:193]
	scratch_store_dwordx4 off, v[194:197], off offset:752
.LBB60_173:
	s_or_b64 exec, exec, s[4:5]
	scratch_load_dwordx4 v[2:5], v146, off
	v_cmp_lt_u32_e64 s[0:1], 46, v0
	s_waitcnt vmcnt(0)
	ds_write_b128 v9, v[2:5]
	s_waitcnt lgkmcnt(0)
	; wave barrier
	s_waitcnt lgkmcnt(0)
	s_and_saveexec_b64 s[4:5], s[0:1]
	s_cbranch_execz .LBB60_187
; %bb.174:
	ds_read_b128 v[2:5], v9
	s_andn2_b64 vcc, exec, s[6:7]
	s_cbranch_vccnz .LBB60_176
; %bb.175:
	scratch_load_dwordx4 v[192:195], v8, off
	s_waitcnt vmcnt(0) lgkmcnt(0)
	v_mul_f64 v[10:11], v[2:3], v[194:195]
	v_mul_f64 v[6:7], v[4:5], v[194:195]
	v_fmac_f64_e32 v[10:11], v[4:5], v[192:193]
	v_fma_f64 v[2:3], v[2:3], v[192:193], -v[6:7]
	v_mov_b64_e32 v[4:5], v[10:11]
.LBB60_176:
	s_and_saveexec_b64 s[8:9], s[2:3]
	s_cbranch_execz .LBB60_186
; %bb.177:
	v_subrev_u32_e32 v7, 48, v0
	v_subrev_u32_e32 v6, 47, v0
	v_cmp_lt_u32_e32 vcc, 6, v7
	v_mov_b32_e32 v193, 47
	s_and_saveexec_b64 s[2:3], vcc
	s_cbranch_execz .LBB60_181
; %bb.178:
	v_and_b32_e32 v7, -8, v6
	s_mov_b32 s12, 0
	s_mov_b64 s[10:11], 0
	v_mov_b32_e32 v192, 0
	s_mov_b32 s13, 0
.LBB60_179:                             ; =>This Inner Loop Header: Depth=1
	v_readfirstlane_b32 s14, v192
	s_add_i32 s14, s14, s12
	s_add_i32 s15, s14, 0x2f0
	v_mov_b32_e32 v49, s12
	ds_read_b128 v[194:197], v49 offset:1728
	ds_read_b128 v[198:201], v49 offset:1744
	;; [unrolled: 1-line block ×4, first 2 shown]
	scratch_load_dwordx4 v[210:213], off, s15
	s_add_i32 s15, s14, 0x300
	s_addk_i32 s12, 0x80
	s_waitcnt vmcnt(0) lgkmcnt(3)
	v_mul_f64 v[10:11], v[196:197], v[212:213]
	v_mul_f64 v[52:53], v[194:195], v[212:213]
	v_fma_f64 v[10:11], v[194:195], v[210:211], -v[10:11]
	v_fmac_f64_e32 v[52:53], v[196:197], v[210:211]
	v_add_f64 v[10:11], v[2:3], v[10:11]
	v_add_f64 v[52:53], v[4:5], v[52:53]
	scratch_load_dwordx4 v[2:5], off, s15
	s_add_i32 s15, s14, 0x310
	s_waitcnt vmcnt(0) lgkmcnt(2)
	v_mul_f64 v[194:195], v[200:201], v[4:5]
	v_mul_f64 v[4:5], v[198:199], v[4:5]
	v_fmac_f64_e32 v[4:5], v[200:201], v[2:3]
	v_fma_f64 v[194:195], v[198:199], v[2:3], -v[194:195]
	v_add_f64 v[52:53], v[52:53], v[4:5]
	scratch_load_dwordx4 v[2:5], off, s15
	v_add_f64 v[10:11], v[10:11], v[194:195]
	s_add_i32 s15, s14, 0x320
	s_waitcnt vmcnt(0) lgkmcnt(1)
	v_mul_f64 v[194:195], v[204:205], v[4:5]
	v_mul_f64 v[4:5], v[202:203], v[4:5]
	v_fmac_f64_e32 v[4:5], v[204:205], v[2:3]
	v_fma_f64 v[194:195], v[202:203], v[2:3], -v[194:195]
	v_add_f64 v[52:53], v[52:53], v[4:5]
	scratch_load_dwordx4 v[2:5], off, s15
	v_add_f64 v[10:11], v[10:11], v[194:195]
	s_add_i32 s15, s14, 0x330
	s_waitcnt vmcnt(0) lgkmcnt(0)
	v_mul_f64 v[194:195], v[208:209], v[4:5]
	v_fma_f64 v[194:195], v[206:207], v[2:3], -v[194:195]
	v_add_f64 v[10:11], v[10:11], v[194:195]
	scratch_load_dwordx4 v[194:197], off, s15
	v_mul_f64 v[4:5], v[206:207], v[4:5]
	v_fmac_f64_e32 v[4:5], v[208:209], v[2:3]
	v_add_f64 v[52:53], v[52:53], v[4:5]
	ds_read_b128 v[2:5], v49 offset:1792
	s_add_i32 s15, s14, 0x340
	s_waitcnt vmcnt(0) lgkmcnt(0)
	v_mul_f64 v[198:199], v[4:5], v[196:197]
	v_fma_f64 v[198:199], v[2:3], v[194:195], -v[198:199]
	v_mul_f64 v[2:3], v[2:3], v[196:197]
	v_fmac_f64_e32 v[2:3], v[4:5], v[194:195]
	scratch_load_dwordx4 v[194:197], off, s15
	v_add_f64 v[52:53], v[52:53], v[2:3]
	ds_read_b128 v[2:5], v49 offset:1808
	v_add_f64 v[10:11], v[10:11], v[198:199]
	s_add_i32 s15, s14, 0x350
	s_addk_i32 s14, 0x360
	s_waitcnt vmcnt(0) lgkmcnt(0)
	v_mul_f64 v[198:199], v[4:5], v[196:197]
	v_fma_f64 v[198:199], v[2:3], v[194:195], -v[198:199]
	v_mul_f64 v[2:3], v[2:3], v[196:197]
	v_fmac_f64_e32 v[2:3], v[4:5], v[194:195]
	scratch_load_dwordx4 v[194:197], off, s15
	v_add_f64 v[52:53], v[52:53], v[2:3]
	ds_read_b128 v[2:5], v49 offset:1824
	v_add_f64 v[10:11], v[10:11], v[198:199]
	s_waitcnt vmcnt(0) lgkmcnt(0)
	v_mul_f64 v[198:199], v[4:5], v[196:197]
	v_fma_f64 v[198:199], v[2:3], v[194:195], -v[198:199]
	v_mul_f64 v[2:3], v[2:3], v[196:197]
	v_fmac_f64_e32 v[2:3], v[4:5], v[194:195]
	scratch_load_dwordx4 v[194:197], off, s14
	v_add_f64 v[52:53], v[52:53], v[2:3]
	ds_read_b128 v[2:5], v49 offset:1840
	v_add_f64 v[10:11], v[10:11], v[198:199]
	s_add_i32 s14, s13, 8
	v_cmp_eq_u32_e32 vcc, s14, v7
	s_add_i32 s13, s13, 55
	s_or_b64 s[10:11], vcc, s[10:11]
	v_mov_b32_e32 v193, s13
	s_mov_b32 s13, s14
	s_waitcnt vmcnt(0) lgkmcnt(0)
	v_mul_f64 v[198:199], v[4:5], v[196:197]
	v_mul_f64 v[196:197], v[2:3], v[196:197]
	v_fma_f64 v[198:199], v[2:3], v[194:195], -v[198:199]
	v_fmac_f64_e32 v[196:197], v[4:5], v[194:195]
	v_add_f64 v[2:3], v[10:11], v[198:199]
	v_add_f64 v[4:5], v[52:53], v[196:197]
	s_andn2_b64 exec, exec, s[10:11]
	s_cbranch_execnz .LBB60_179
; %bb.180:
	s_or_b64 exec, exec, s[10:11]
.LBB60_181:
	s_or_b64 exec, exec, s[2:3]
	v_and_b32_e32 v6, 7, v6
	v_cmp_ne_u32_e32 vcc, 0, v6
	s_and_saveexec_b64 s[2:3], vcc
	s_cbranch_execz .LBB60_185
; %bb.182:
	v_lshlrev_b32_e32 v10, 4, v193
	v_add_u32_e32 v7, 0x3d0, v10
	v_add_u32_e32 v192, 0, v10
	s_mov_b64 s[10:11], 0
.LBB60_183:                             ; =>This Inner Loop Header: Depth=1
	scratch_load_dwordx4 v[194:197], v192, off
	ds_read_b128 v[198:201], v7
	v_add_u32_e32 v6, -1, v6
	v_cmp_eq_u32_e32 vcc, 0, v6
	v_add_u32_e32 v7, 16, v7
	v_add_u32_e32 v192, 16, v192
	s_or_b64 s[10:11], vcc, s[10:11]
	s_waitcnt vmcnt(0) lgkmcnt(0)
	v_mul_f64 v[10:11], v[200:201], v[196:197]
	v_mul_f64 v[52:53], v[198:199], v[196:197]
	v_fma_f64 v[10:11], v[198:199], v[194:195], -v[10:11]
	v_fmac_f64_e32 v[52:53], v[200:201], v[194:195]
	v_add_f64 v[2:3], v[2:3], v[10:11]
	v_add_f64 v[4:5], v[4:5], v[52:53]
	s_andn2_b64 exec, exec, s[10:11]
	s_cbranch_execnz .LBB60_183
; %bb.184:
	s_or_b64 exec, exec, s[10:11]
.LBB60_185:
	s_or_b64 exec, exec, s[2:3]
.LBB60_186:
	s_or_b64 exec, exec, s[8:9]
	v_mov_b32_e32 v6, 0
	ds_read_b128 v[192:195], v6 offset:736
	s_waitcnt lgkmcnt(0)
	v_mul_f64 v[6:7], v[4:5], v[194:195]
	v_mul_f64 v[196:197], v[2:3], v[194:195]
	v_fma_f64 v[194:195], v[2:3], v[192:193], -v[6:7]
	v_fmac_f64_e32 v[196:197], v[4:5], v[192:193]
	scratch_store_dwordx4 off, v[194:197], off offset:736
.LBB60_187:
	s_or_b64 exec, exec, s[4:5]
	scratch_load_dwordx4 v[2:5], v147, off
	v_cmp_lt_u32_e64 s[2:3], 45, v0
	s_waitcnt vmcnt(0)
	ds_write_b128 v9, v[2:5]
	s_waitcnt lgkmcnt(0)
	; wave barrier
	s_waitcnt lgkmcnt(0)
	s_and_saveexec_b64 s[4:5], s[2:3]
	s_cbranch_execz .LBB60_201
; %bb.188:
	ds_read_b128 v[2:5], v9
	s_andn2_b64 vcc, exec, s[6:7]
	s_cbranch_vccnz .LBB60_190
; %bb.189:
	scratch_load_dwordx4 v[192:195], v8, off
	s_waitcnt vmcnt(0) lgkmcnt(0)
	v_mul_f64 v[10:11], v[2:3], v[194:195]
	v_mul_f64 v[6:7], v[4:5], v[194:195]
	v_fmac_f64_e32 v[10:11], v[4:5], v[192:193]
	v_fma_f64 v[2:3], v[2:3], v[192:193], -v[6:7]
	v_mov_b64_e32 v[4:5], v[10:11]
.LBB60_190:
	s_and_saveexec_b64 s[8:9], s[0:1]
	s_cbranch_execz .LBB60_200
; %bb.191:
	v_subrev_u32_e32 v7, 47, v0
	v_subrev_u32_e32 v6, 46, v0
	v_cmp_lt_u32_e32 vcc, 6, v7
	v_mov_b32_e32 v193, 46
	s_and_saveexec_b64 s[0:1], vcc
	s_cbranch_execz .LBB60_195
; %bb.192:
	v_and_b32_e32 v7, -8, v6
	s_mov_b32 s12, 0
	s_mov_b64 s[10:11], 0
	v_mov_b32_e32 v192, 0
	s_mov_b32 s13, 0
.LBB60_193:                             ; =>This Inner Loop Header: Depth=1
	v_readfirstlane_b32 s14, v192
	s_add_i32 s14, s14, s12
	s_add_i32 s15, s14, 0x2e0
	v_mov_b32_e32 v49, s12
	ds_read_b128 v[194:197], v49 offset:1712
	ds_read_b128 v[198:201], v49 offset:1728
	;; [unrolled: 1-line block ×4, first 2 shown]
	scratch_load_dwordx4 v[210:213], off, s15
	s_add_i32 s15, s14, 0x2f0
	s_addk_i32 s12, 0x80
	s_waitcnt vmcnt(0) lgkmcnt(3)
	v_mul_f64 v[10:11], v[196:197], v[212:213]
	v_mul_f64 v[52:53], v[194:195], v[212:213]
	v_fma_f64 v[10:11], v[194:195], v[210:211], -v[10:11]
	v_fmac_f64_e32 v[52:53], v[196:197], v[210:211]
	v_add_f64 v[10:11], v[2:3], v[10:11]
	v_add_f64 v[52:53], v[4:5], v[52:53]
	scratch_load_dwordx4 v[2:5], off, s15
	s_add_i32 s15, s14, 0x300
	s_waitcnt vmcnt(0) lgkmcnt(2)
	v_mul_f64 v[194:195], v[200:201], v[4:5]
	v_mul_f64 v[4:5], v[198:199], v[4:5]
	v_fmac_f64_e32 v[4:5], v[200:201], v[2:3]
	v_fma_f64 v[194:195], v[198:199], v[2:3], -v[194:195]
	v_add_f64 v[52:53], v[52:53], v[4:5]
	scratch_load_dwordx4 v[2:5], off, s15
	v_add_f64 v[10:11], v[10:11], v[194:195]
	s_add_i32 s15, s14, 0x310
	s_waitcnt vmcnt(0) lgkmcnt(1)
	v_mul_f64 v[194:195], v[204:205], v[4:5]
	v_mul_f64 v[4:5], v[202:203], v[4:5]
	v_fmac_f64_e32 v[4:5], v[204:205], v[2:3]
	v_fma_f64 v[194:195], v[202:203], v[2:3], -v[194:195]
	v_add_f64 v[52:53], v[52:53], v[4:5]
	scratch_load_dwordx4 v[2:5], off, s15
	v_add_f64 v[10:11], v[10:11], v[194:195]
	s_add_i32 s15, s14, 0x320
	s_waitcnt vmcnt(0) lgkmcnt(0)
	v_mul_f64 v[194:195], v[208:209], v[4:5]
	v_fma_f64 v[194:195], v[206:207], v[2:3], -v[194:195]
	v_add_f64 v[10:11], v[10:11], v[194:195]
	scratch_load_dwordx4 v[194:197], off, s15
	v_mul_f64 v[4:5], v[206:207], v[4:5]
	v_fmac_f64_e32 v[4:5], v[208:209], v[2:3]
	v_add_f64 v[52:53], v[52:53], v[4:5]
	ds_read_b128 v[2:5], v49 offset:1776
	s_add_i32 s15, s14, 0x330
	s_waitcnt vmcnt(0) lgkmcnt(0)
	v_mul_f64 v[198:199], v[4:5], v[196:197]
	v_fma_f64 v[198:199], v[2:3], v[194:195], -v[198:199]
	v_mul_f64 v[2:3], v[2:3], v[196:197]
	v_fmac_f64_e32 v[2:3], v[4:5], v[194:195]
	scratch_load_dwordx4 v[194:197], off, s15
	v_add_f64 v[52:53], v[52:53], v[2:3]
	ds_read_b128 v[2:5], v49 offset:1792
	v_add_f64 v[10:11], v[10:11], v[198:199]
	s_add_i32 s15, s14, 0x340
	s_addk_i32 s14, 0x350
	s_waitcnt vmcnt(0) lgkmcnt(0)
	v_mul_f64 v[198:199], v[4:5], v[196:197]
	v_fma_f64 v[198:199], v[2:3], v[194:195], -v[198:199]
	v_mul_f64 v[2:3], v[2:3], v[196:197]
	v_fmac_f64_e32 v[2:3], v[4:5], v[194:195]
	scratch_load_dwordx4 v[194:197], off, s15
	v_add_f64 v[52:53], v[52:53], v[2:3]
	ds_read_b128 v[2:5], v49 offset:1808
	v_add_f64 v[10:11], v[10:11], v[198:199]
	s_waitcnt vmcnt(0) lgkmcnt(0)
	v_mul_f64 v[198:199], v[4:5], v[196:197]
	v_fma_f64 v[198:199], v[2:3], v[194:195], -v[198:199]
	v_mul_f64 v[2:3], v[2:3], v[196:197]
	v_fmac_f64_e32 v[2:3], v[4:5], v[194:195]
	scratch_load_dwordx4 v[194:197], off, s14
	v_add_f64 v[52:53], v[52:53], v[2:3]
	ds_read_b128 v[2:5], v49 offset:1824
	v_add_f64 v[10:11], v[10:11], v[198:199]
	s_add_i32 s14, s13, 8
	v_cmp_eq_u32_e32 vcc, s14, v7
	s_add_i32 s13, s13, 54
	s_or_b64 s[10:11], vcc, s[10:11]
	v_mov_b32_e32 v193, s13
	s_mov_b32 s13, s14
	s_waitcnt vmcnt(0) lgkmcnt(0)
	v_mul_f64 v[198:199], v[4:5], v[196:197]
	v_mul_f64 v[196:197], v[2:3], v[196:197]
	v_fma_f64 v[198:199], v[2:3], v[194:195], -v[198:199]
	v_fmac_f64_e32 v[196:197], v[4:5], v[194:195]
	v_add_f64 v[2:3], v[10:11], v[198:199]
	v_add_f64 v[4:5], v[52:53], v[196:197]
	s_andn2_b64 exec, exec, s[10:11]
	s_cbranch_execnz .LBB60_193
; %bb.194:
	s_or_b64 exec, exec, s[10:11]
.LBB60_195:
	s_or_b64 exec, exec, s[0:1]
	v_and_b32_e32 v6, 7, v6
	v_cmp_ne_u32_e32 vcc, 0, v6
	s_and_saveexec_b64 s[0:1], vcc
	s_cbranch_execz .LBB60_199
; %bb.196:
	v_lshlrev_b32_e32 v10, 4, v193
	v_add_u32_e32 v7, 0x3d0, v10
	v_add_u32_e32 v192, 0, v10
	s_mov_b64 s[10:11], 0
.LBB60_197:                             ; =>This Inner Loop Header: Depth=1
	scratch_load_dwordx4 v[194:197], v192, off
	ds_read_b128 v[198:201], v7
	v_add_u32_e32 v6, -1, v6
	v_cmp_eq_u32_e32 vcc, 0, v6
	v_add_u32_e32 v7, 16, v7
	v_add_u32_e32 v192, 16, v192
	s_or_b64 s[10:11], vcc, s[10:11]
	s_waitcnt vmcnt(0) lgkmcnt(0)
	v_mul_f64 v[10:11], v[200:201], v[196:197]
	v_mul_f64 v[52:53], v[198:199], v[196:197]
	v_fma_f64 v[10:11], v[198:199], v[194:195], -v[10:11]
	v_fmac_f64_e32 v[52:53], v[200:201], v[194:195]
	v_add_f64 v[2:3], v[2:3], v[10:11]
	v_add_f64 v[4:5], v[4:5], v[52:53]
	s_andn2_b64 exec, exec, s[10:11]
	s_cbranch_execnz .LBB60_197
; %bb.198:
	s_or_b64 exec, exec, s[10:11]
.LBB60_199:
	s_or_b64 exec, exec, s[0:1]
.LBB60_200:
	s_or_b64 exec, exec, s[8:9]
	v_mov_b32_e32 v6, 0
	ds_read_b128 v[192:195], v6 offset:720
	s_waitcnt lgkmcnt(0)
	v_mul_f64 v[6:7], v[4:5], v[194:195]
	v_mul_f64 v[196:197], v[2:3], v[194:195]
	v_fma_f64 v[194:195], v[2:3], v[192:193], -v[6:7]
	v_fmac_f64_e32 v[196:197], v[4:5], v[192:193]
	scratch_store_dwordx4 off, v[194:197], off offset:720
.LBB60_201:
	s_or_b64 exec, exec, s[4:5]
	scratch_load_dwordx4 v[2:5], v148, off
	v_cmp_lt_u32_e64 s[0:1], 44, v0
	s_waitcnt vmcnt(0)
	ds_write_b128 v9, v[2:5]
	s_waitcnt lgkmcnt(0)
	; wave barrier
	s_waitcnt lgkmcnt(0)
	s_and_saveexec_b64 s[4:5], s[0:1]
	s_cbranch_execz .LBB60_215
; %bb.202:
	ds_read_b128 v[2:5], v9
	s_andn2_b64 vcc, exec, s[6:7]
	s_cbranch_vccnz .LBB60_204
; %bb.203:
	scratch_load_dwordx4 v[192:195], v8, off
	s_waitcnt vmcnt(0) lgkmcnt(0)
	v_mul_f64 v[10:11], v[2:3], v[194:195]
	v_mul_f64 v[6:7], v[4:5], v[194:195]
	v_fmac_f64_e32 v[10:11], v[4:5], v[192:193]
	v_fma_f64 v[2:3], v[2:3], v[192:193], -v[6:7]
	v_mov_b64_e32 v[4:5], v[10:11]
.LBB60_204:
	s_and_saveexec_b64 s[8:9], s[2:3]
	s_cbranch_execz .LBB60_214
; %bb.205:
	v_subrev_u32_e32 v7, 46, v0
	v_subrev_u32_e32 v6, 45, v0
	v_cmp_lt_u32_e32 vcc, 6, v7
	v_mov_b32_e32 v193, 45
	s_and_saveexec_b64 s[2:3], vcc
	s_cbranch_execz .LBB60_209
; %bb.206:
	v_and_b32_e32 v7, -8, v6
	s_mov_b32 s12, 0
	s_mov_b64 s[10:11], 0
	v_mov_b32_e32 v192, 0
	s_mov_b32 s13, 0
.LBB60_207:                             ; =>This Inner Loop Header: Depth=1
	v_readfirstlane_b32 s14, v192
	s_add_i32 s14, s14, s12
	s_add_i32 s15, s14, 0x2d0
	v_mov_b32_e32 v49, s12
	ds_read_b128 v[194:197], v49 offset:1696
	ds_read_b128 v[198:201], v49 offset:1712
	;; [unrolled: 1-line block ×4, first 2 shown]
	scratch_load_dwordx4 v[210:213], off, s15
	s_add_i32 s15, s14, 0x2e0
	s_addk_i32 s12, 0x80
	s_waitcnt vmcnt(0) lgkmcnt(3)
	v_mul_f64 v[10:11], v[196:197], v[212:213]
	v_mul_f64 v[52:53], v[194:195], v[212:213]
	v_fma_f64 v[10:11], v[194:195], v[210:211], -v[10:11]
	v_fmac_f64_e32 v[52:53], v[196:197], v[210:211]
	v_add_f64 v[10:11], v[2:3], v[10:11]
	v_add_f64 v[52:53], v[4:5], v[52:53]
	scratch_load_dwordx4 v[2:5], off, s15
	s_add_i32 s15, s14, 0x2f0
	s_waitcnt vmcnt(0) lgkmcnt(2)
	v_mul_f64 v[194:195], v[200:201], v[4:5]
	v_mul_f64 v[4:5], v[198:199], v[4:5]
	v_fmac_f64_e32 v[4:5], v[200:201], v[2:3]
	v_fma_f64 v[194:195], v[198:199], v[2:3], -v[194:195]
	v_add_f64 v[52:53], v[52:53], v[4:5]
	scratch_load_dwordx4 v[2:5], off, s15
	v_add_f64 v[10:11], v[10:11], v[194:195]
	s_add_i32 s15, s14, 0x300
	s_waitcnt vmcnt(0) lgkmcnt(1)
	v_mul_f64 v[194:195], v[204:205], v[4:5]
	v_mul_f64 v[4:5], v[202:203], v[4:5]
	v_fmac_f64_e32 v[4:5], v[204:205], v[2:3]
	v_fma_f64 v[194:195], v[202:203], v[2:3], -v[194:195]
	v_add_f64 v[52:53], v[52:53], v[4:5]
	scratch_load_dwordx4 v[2:5], off, s15
	v_add_f64 v[10:11], v[10:11], v[194:195]
	s_add_i32 s15, s14, 0x310
	s_waitcnt vmcnt(0) lgkmcnt(0)
	v_mul_f64 v[194:195], v[208:209], v[4:5]
	v_fma_f64 v[194:195], v[206:207], v[2:3], -v[194:195]
	v_add_f64 v[10:11], v[10:11], v[194:195]
	scratch_load_dwordx4 v[194:197], off, s15
	v_mul_f64 v[4:5], v[206:207], v[4:5]
	v_fmac_f64_e32 v[4:5], v[208:209], v[2:3]
	v_add_f64 v[52:53], v[52:53], v[4:5]
	ds_read_b128 v[2:5], v49 offset:1760
	s_add_i32 s15, s14, 0x320
	s_waitcnt vmcnt(0) lgkmcnt(0)
	v_mul_f64 v[198:199], v[4:5], v[196:197]
	v_fma_f64 v[198:199], v[2:3], v[194:195], -v[198:199]
	v_mul_f64 v[2:3], v[2:3], v[196:197]
	v_fmac_f64_e32 v[2:3], v[4:5], v[194:195]
	scratch_load_dwordx4 v[194:197], off, s15
	v_add_f64 v[52:53], v[52:53], v[2:3]
	ds_read_b128 v[2:5], v49 offset:1776
	v_add_f64 v[10:11], v[10:11], v[198:199]
	s_add_i32 s15, s14, 0x330
	s_addk_i32 s14, 0x340
	s_waitcnt vmcnt(0) lgkmcnt(0)
	v_mul_f64 v[198:199], v[4:5], v[196:197]
	v_fma_f64 v[198:199], v[2:3], v[194:195], -v[198:199]
	v_mul_f64 v[2:3], v[2:3], v[196:197]
	v_fmac_f64_e32 v[2:3], v[4:5], v[194:195]
	scratch_load_dwordx4 v[194:197], off, s15
	v_add_f64 v[52:53], v[52:53], v[2:3]
	ds_read_b128 v[2:5], v49 offset:1792
	v_add_f64 v[10:11], v[10:11], v[198:199]
	s_waitcnt vmcnt(0) lgkmcnt(0)
	v_mul_f64 v[198:199], v[4:5], v[196:197]
	v_fma_f64 v[198:199], v[2:3], v[194:195], -v[198:199]
	v_mul_f64 v[2:3], v[2:3], v[196:197]
	v_fmac_f64_e32 v[2:3], v[4:5], v[194:195]
	scratch_load_dwordx4 v[194:197], off, s14
	v_add_f64 v[52:53], v[52:53], v[2:3]
	ds_read_b128 v[2:5], v49 offset:1808
	v_add_f64 v[10:11], v[10:11], v[198:199]
	s_add_i32 s14, s13, 8
	v_cmp_eq_u32_e32 vcc, s14, v7
	s_add_i32 s13, s13, 53
	s_or_b64 s[10:11], vcc, s[10:11]
	v_mov_b32_e32 v193, s13
	s_mov_b32 s13, s14
	s_waitcnt vmcnt(0) lgkmcnt(0)
	v_mul_f64 v[198:199], v[4:5], v[196:197]
	v_mul_f64 v[196:197], v[2:3], v[196:197]
	v_fma_f64 v[198:199], v[2:3], v[194:195], -v[198:199]
	v_fmac_f64_e32 v[196:197], v[4:5], v[194:195]
	v_add_f64 v[2:3], v[10:11], v[198:199]
	v_add_f64 v[4:5], v[52:53], v[196:197]
	s_andn2_b64 exec, exec, s[10:11]
	s_cbranch_execnz .LBB60_207
; %bb.208:
	s_or_b64 exec, exec, s[10:11]
.LBB60_209:
	s_or_b64 exec, exec, s[2:3]
	v_and_b32_e32 v6, 7, v6
	v_cmp_ne_u32_e32 vcc, 0, v6
	s_and_saveexec_b64 s[2:3], vcc
	s_cbranch_execz .LBB60_213
; %bb.210:
	v_lshlrev_b32_e32 v10, 4, v193
	v_add_u32_e32 v7, 0x3d0, v10
	v_add_u32_e32 v192, 0, v10
	s_mov_b64 s[10:11], 0
.LBB60_211:                             ; =>This Inner Loop Header: Depth=1
	scratch_load_dwordx4 v[194:197], v192, off
	ds_read_b128 v[198:201], v7
	v_add_u32_e32 v6, -1, v6
	v_cmp_eq_u32_e32 vcc, 0, v6
	v_add_u32_e32 v7, 16, v7
	v_add_u32_e32 v192, 16, v192
	s_or_b64 s[10:11], vcc, s[10:11]
	s_waitcnt vmcnt(0) lgkmcnt(0)
	v_mul_f64 v[10:11], v[200:201], v[196:197]
	v_mul_f64 v[52:53], v[198:199], v[196:197]
	v_fma_f64 v[10:11], v[198:199], v[194:195], -v[10:11]
	v_fmac_f64_e32 v[52:53], v[200:201], v[194:195]
	v_add_f64 v[2:3], v[2:3], v[10:11]
	v_add_f64 v[4:5], v[4:5], v[52:53]
	s_andn2_b64 exec, exec, s[10:11]
	s_cbranch_execnz .LBB60_211
; %bb.212:
	s_or_b64 exec, exec, s[10:11]
.LBB60_213:
	s_or_b64 exec, exec, s[2:3]
.LBB60_214:
	s_or_b64 exec, exec, s[8:9]
	v_mov_b32_e32 v6, 0
	ds_read_b128 v[192:195], v6 offset:704
	s_waitcnt lgkmcnt(0)
	v_mul_f64 v[6:7], v[4:5], v[194:195]
	v_mul_f64 v[196:197], v[2:3], v[194:195]
	v_fma_f64 v[194:195], v[2:3], v[192:193], -v[6:7]
	v_fmac_f64_e32 v[196:197], v[4:5], v[192:193]
	scratch_store_dwordx4 off, v[194:197], off offset:704
.LBB60_215:
	s_or_b64 exec, exec, s[4:5]
	scratch_load_dwordx4 v[2:5], v149, off
	v_cmp_lt_u32_e64 s[2:3], 43, v0
	s_waitcnt vmcnt(0)
	ds_write_b128 v9, v[2:5]
	s_waitcnt lgkmcnt(0)
	; wave barrier
	s_waitcnt lgkmcnt(0)
	s_and_saveexec_b64 s[4:5], s[2:3]
	s_cbranch_execz .LBB60_229
; %bb.216:
	ds_read_b128 v[2:5], v9
	s_andn2_b64 vcc, exec, s[6:7]
	s_cbranch_vccnz .LBB60_218
; %bb.217:
	scratch_load_dwordx4 v[192:195], v8, off
	s_waitcnt vmcnt(0) lgkmcnt(0)
	v_mul_f64 v[10:11], v[2:3], v[194:195]
	v_mul_f64 v[6:7], v[4:5], v[194:195]
	v_fmac_f64_e32 v[10:11], v[4:5], v[192:193]
	v_fma_f64 v[2:3], v[2:3], v[192:193], -v[6:7]
	v_mov_b64_e32 v[4:5], v[10:11]
.LBB60_218:
	s_and_saveexec_b64 s[8:9], s[0:1]
	s_cbranch_execz .LBB60_228
; %bb.219:
	v_subrev_u32_e32 v7, 45, v0
	v_subrev_u32_e32 v6, 44, v0
	v_cmp_lt_u32_e32 vcc, 6, v7
	v_mov_b32_e32 v193, 44
	s_and_saveexec_b64 s[0:1], vcc
	s_cbranch_execz .LBB60_223
; %bb.220:
	v_and_b32_e32 v7, -8, v6
	s_mov_b32 s12, 0
	s_mov_b64 s[10:11], 0
	v_mov_b32_e32 v192, 0
	s_mov_b32 s13, 0
.LBB60_221:                             ; =>This Inner Loop Header: Depth=1
	v_readfirstlane_b32 s14, v192
	s_add_i32 s14, s14, s12
	s_add_i32 s15, s14, 0x2c0
	v_mov_b32_e32 v49, s12
	ds_read_b128 v[194:197], v49 offset:1680
	ds_read_b128 v[198:201], v49 offset:1696
	;; [unrolled: 1-line block ×4, first 2 shown]
	scratch_load_dwordx4 v[210:213], off, s15
	s_add_i32 s15, s14, 0x2d0
	s_addk_i32 s12, 0x80
	s_waitcnt vmcnt(0) lgkmcnt(3)
	v_mul_f64 v[10:11], v[196:197], v[212:213]
	v_mul_f64 v[52:53], v[194:195], v[212:213]
	v_fma_f64 v[10:11], v[194:195], v[210:211], -v[10:11]
	v_fmac_f64_e32 v[52:53], v[196:197], v[210:211]
	v_add_f64 v[10:11], v[2:3], v[10:11]
	v_add_f64 v[52:53], v[4:5], v[52:53]
	scratch_load_dwordx4 v[2:5], off, s15
	s_add_i32 s15, s14, 0x2e0
	s_waitcnt vmcnt(0) lgkmcnt(2)
	v_mul_f64 v[194:195], v[200:201], v[4:5]
	v_mul_f64 v[4:5], v[198:199], v[4:5]
	v_fmac_f64_e32 v[4:5], v[200:201], v[2:3]
	v_fma_f64 v[194:195], v[198:199], v[2:3], -v[194:195]
	v_add_f64 v[52:53], v[52:53], v[4:5]
	scratch_load_dwordx4 v[2:5], off, s15
	v_add_f64 v[10:11], v[10:11], v[194:195]
	s_add_i32 s15, s14, 0x2f0
	s_waitcnt vmcnt(0) lgkmcnt(1)
	v_mul_f64 v[194:195], v[204:205], v[4:5]
	v_mul_f64 v[4:5], v[202:203], v[4:5]
	v_fmac_f64_e32 v[4:5], v[204:205], v[2:3]
	v_fma_f64 v[194:195], v[202:203], v[2:3], -v[194:195]
	v_add_f64 v[52:53], v[52:53], v[4:5]
	scratch_load_dwordx4 v[2:5], off, s15
	v_add_f64 v[10:11], v[10:11], v[194:195]
	s_add_i32 s15, s14, 0x300
	s_waitcnt vmcnt(0) lgkmcnt(0)
	v_mul_f64 v[194:195], v[208:209], v[4:5]
	v_fma_f64 v[194:195], v[206:207], v[2:3], -v[194:195]
	v_add_f64 v[10:11], v[10:11], v[194:195]
	scratch_load_dwordx4 v[194:197], off, s15
	v_mul_f64 v[4:5], v[206:207], v[4:5]
	v_fmac_f64_e32 v[4:5], v[208:209], v[2:3]
	v_add_f64 v[52:53], v[52:53], v[4:5]
	ds_read_b128 v[2:5], v49 offset:1744
	s_add_i32 s15, s14, 0x310
	s_waitcnt vmcnt(0) lgkmcnt(0)
	v_mul_f64 v[198:199], v[4:5], v[196:197]
	v_fma_f64 v[198:199], v[2:3], v[194:195], -v[198:199]
	v_mul_f64 v[2:3], v[2:3], v[196:197]
	v_fmac_f64_e32 v[2:3], v[4:5], v[194:195]
	scratch_load_dwordx4 v[194:197], off, s15
	v_add_f64 v[52:53], v[52:53], v[2:3]
	ds_read_b128 v[2:5], v49 offset:1760
	v_add_f64 v[10:11], v[10:11], v[198:199]
	s_add_i32 s15, s14, 0x320
	s_addk_i32 s14, 0x330
	s_waitcnt vmcnt(0) lgkmcnt(0)
	v_mul_f64 v[198:199], v[4:5], v[196:197]
	v_fma_f64 v[198:199], v[2:3], v[194:195], -v[198:199]
	v_mul_f64 v[2:3], v[2:3], v[196:197]
	v_fmac_f64_e32 v[2:3], v[4:5], v[194:195]
	scratch_load_dwordx4 v[194:197], off, s15
	v_add_f64 v[52:53], v[52:53], v[2:3]
	ds_read_b128 v[2:5], v49 offset:1776
	v_add_f64 v[10:11], v[10:11], v[198:199]
	s_waitcnt vmcnt(0) lgkmcnt(0)
	v_mul_f64 v[198:199], v[4:5], v[196:197]
	v_fma_f64 v[198:199], v[2:3], v[194:195], -v[198:199]
	v_mul_f64 v[2:3], v[2:3], v[196:197]
	v_fmac_f64_e32 v[2:3], v[4:5], v[194:195]
	scratch_load_dwordx4 v[194:197], off, s14
	v_add_f64 v[52:53], v[52:53], v[2:3]
	ds_read_b128 v[2:5], v49 offset:1792
	v_add_f64 v[10:11], v[10:11], v[198:199]
	s_add_i32 s14, s13, 8
	v_cmp_eq_u32_e32 vcc, s14, v7
	s_add_i32 s13, s13, 52
	s_or_b64 s[10:11], vcc, s[10:11]
	v_mov_b32_e32 v193, s13
	s_mov_b32 s13, s14
	s_waitcnt vmcnt(0) lgkmcnt(0)
	v_mul_f64 v[198:199], v[4:5], v[196:197]
	v_mul_f64 v[196:197], v[2:3], v[196:197]
	v_fma_f64 v[198:199], v[2:3], v[194:195], -v[198:199]
	v_fmac_f64_e32 v[196:197], v[4:5], v[194:195]
	v_add_f64 v[2:3], v[10:11], v[198:199]
	v_add_f64 v[4:5], v[52:53], v[196:197]
	s_andn2_b64 exec, exec, s[10:11]
	s_cbranch_execnz .LBB60_221
; %bb.222:
	s_or_b64 exec, exec, s[10:11]
.LBB60_223:
	s_or_b64 exec, exec, s[0:1]
	v_and_b32_e32 v6, 7, v6
	v_cmp_ne_u32_e32 vcc, 0, v6
	s_and_saveexec_b64 s[0:1], vcc
	s_cbranch_execz .LBB60_227
; %bb.224:
	v_lshlrev_b32_e32 v10, 4, v193
	v_add_u32_e32 v7, 0x3d0, v10
	v_add_u32_e32 v192, 0, v10
	s_mov_b64 s[10:11], 0
.LBB60_225:                             ; =>This Inner Loop Header: Depth=1
	scratch_load_dwordx4 v[194:197], v192, off
	ds_read_b128 v[198:201], v7
	v_add_u32_e32 v6, -1, v6
	v_cmp_eq_u32_e32 vcc, 0, v6
	v_add_u32_e32 v7, 16, v7
	v_add_u32_e32 v192, 16, v192
	s_or_b64 s[10:11], vcc, s[10:11]
	s_waitcnt vmcnt(0) lgkmcnt(0)
	v_mul_f64 v[10:11], v[200:201], v[196:197]
	v_mul_f64 v[52:53], v[198:199], v[196:197]
	v_fma_f64 v[10:11], v[198:199], v[194:195], -v[10:11]
	v_fmac_f64_e32 v[52:53], v[200:201], v[194:195]
	v_add_f64 v[2:3], v[2:3], v[10:11]
	v_add_f64 v[4:5], v[4:5], v[52:53]
	s_andn2_b64 exec, exec, s[10:11]
	s_cbranch_execnz .LBB60_225
; %bb.226:
	s_or_b64 exec, exec, s[10:11]
.LBB60_227:
	s_or_b64 exec, exec, s[0:1]
.LBB60_228:
	s_or_b64 exec, exec, s[8:9]
	v_mov_b32_e32 v6, 0
	ds_read_b128 v[192:195], v6 offset:688
	s_waitcnt lgkmcnt(0)
	v_mul_f64 v[6:7], v[4:5], v[194:195]
	v_mul_f64 v[196:197], v[2:3], v[194:195]
	v_fma_f64 v[194:195], v[2:3], v[192:193], -v[6:7]
	v_fmac_f64_e32 v[196:197], v[4:5], v[192:193]
	scratch_store_dwordx4 off, v[194:197], off offset:688
.LBB60_229:
	s_or_b64 exec, exec, s[4:5]
	scratch_load_dwordx4 v[2:5], v150, off
	v_cmp_lt_u32_e64 s[0:1], 42, v0
	s_waitcnt vmcnt(0)
	ds_write_b128 v9, v[2:5]
	s_waitcnt lgkmcnt(0)
	; wave barrier
	s_waitcnt lgkmcnt(0)
	s_and_saveexec_b64 s[4:5], s[0:1]
	s_cbranch_execz .LBB60_243
; %bb.230:
	ds_read_b128 v[2:5], v9
	s_andn2_b64 vcc, exec, s[6:7]
	s_cbranch_vccnz .LBB60_232
; %bb.231:
	scratch_load_dwordx4 v[192:195], v8, off
	s_waitcnt vmcnt(0) lgkmcnt(0)
	v_mul_f64 v[10:11], v[2:3], v[194:195]
	v_mul_f64 v[6:7], v[4:5], v[194:195]
	v_fmac_f64_e32 v[10:11], v[4:5], v[192:193]
	v_fma_f64 v[2:3], v[2:3], v[192:193], -v[6:7]
	v_mov_b64_e32 v[4:5], v[10:11]
.LBB60_232:
	s_and_saveexec_b64 s[8:9], s[2:3]
	s_cbranch_execz .LBB60_242
; %bb.233:
	v_subrev_u32_e32 v7, 44, v0
	v_subrev_u32_e32 v6, 43, v0
	v_cmp_lt_u32_e32 vcc, 6, v7
	v_mov_b32_e32 v193, 43
	s_and_saveexec_b64 s[2:3], vcc
	s_cbranch_execz .LBB60_237
; %bb.234:
	v_and_b32_e32 v7, -8, v6
	s_mov_b32 s12, 0
	s_mov_b64 s[10:11], 0
	v_mov_b32_e32 v192, 0
	s_mov_b32 s13, 0
.LBB60_235:                             ; =>This Inner Loop Header: Depth=1
	v_readfirstlane_b32 s14, v192
	s_add_i32 s14, s14, s12
	s_add_i32 s15, s14, 0x2b0
	v_mov_b32_e32 v49, s12
	ds_read_b128 v[194:197], v49 offset:1664
	ds_read_b128 v[198:201], v49 offset:1680
	;; [unrolled: 1-line block ×4, first 2 shown]
	scratch_load_dwordx4 v[210:213], off, s15
	s_add_i32 s15, s14, 0x2c0
	s_addk_i32 s12, 0x80
	s_waitcnt vmcnt(0) lgkmcnt(3)
	v_mul_f64 v[10:11], v[196:197], v[212:213]
	v_mul_f64 v[52:53], v[194:195], v[212:213]
	v_fma_f64 v[10:11], v[194:195], v[210:211], -v[10:11]
	v_fmac_f64_e32 v[52:53], v[196:197], v[210:211]
	v_add_f64 v[10:11], v[2:3], v[10:11]
	v_add_f64 v[52:53], v[4:5], v[52:53]
	scratch_load_dwordx4 v[2:5], off, s15
	s_add_i32 s15, s14, 0x2d0
	s_waitcnt vmcnt(0) lgkmcnt(2)
	v_mul_f64 v[194:195], v[200:201], v[4:5]
	v_mul_f64 v[4:5], v[198:199], v[4:5]
	v_fmac_f64_e32 v[4:5], v[200:201], v[2:3]
	v_fma_f64 v[194:195], v[198:199], v[2:3], -v[194:195]
	v_add_f64 v[52:53], v[52:53], v[4:5]
	scratch_load_dwordx4 v[2:5], off, s15
	v_add_f64 v[10:11], v[10:11], v[194:195]
	s_add_i32 s15, s14, 0x2e0
	s_waitcnt vmcnt(0) lgkmcnt(1)
	v_mul_f64 v[194:195], v[204:205], v[4:5]
	v_mul_f64 v[4:5], v[202:203], v[4:5]
	v_fmac_f64_e32 v[4:5], v[204:205], v[2:3]
	v_fma_f64 v[194:195], v[202:203], v[2:3], -v[194:195]
	v_add_f64 v[52:53], v[52:53], v[4:5]
	scratch_load_dwordx4 v[2:5], off, s15
	v_add_f64 v[10:11], v[10:11], v[194:195]
	s_add_i32 s15, s14, 0x2f0
	s_waitcnt vmcnt(0) lgkmcnt(0)
	v_mul_f64 v[194:195], v[208:209], v[4:5]
	v_fma_f64 v[194:195], v[206:207], v[2:3], -v[194:195]
	v_add_f64 v[10:11], v[10:11], v[194:195]
	scratch_load_dwordx4 v[194:197], off, s15
	v_mul_f64 v[4:5], v[206:207], v[4:5]
	v_fmac_f64_e32 v[4:5], v[208:209], v[2:3]
	v_add_f64 v[52:53], v[52:53], v[4:5]
	ds_read_b128 v[2:5], v49 offset:1728
	s_add_i32 s15, s14, 0x300
	s_waitcnt vmcnt(0) lgkmcnt(0)
	v_mul_f64 v[198:199], v[4:5], v[196:197]
	v_fma_f64 v[198:199], v[2:3], v[194:195], -v[198:199]
	v_mul_f64 v[2:3], v[2:3], v[196:197]
	v_fmac_f64_e32 v[2:3], v[4:5], v[194:195]
	scratch_load_dwordx4 v[194:197], off, s15
	v_add_f64 v[52:53], v[52:53], v[2:3]
	ds_read_b128 v[2:5], v49 offset:1744
	v_add_f64 v[10:11], v[10:11], v[198:199]
	s_add_i32 s15, s14, 0x310
	s_addk_i32 s14, 0x320
	s_waitcnt vmcnt(0) lgkmcnt(0)
	v_mul_f64 v[198:199], v[4:5], v[196:197]
	v_fma_f64 v[198:199], v[2:3], v[194:195], -v[198:199]
	v_mul_f64 v[2:3], v[2:3], v[196:197]
	v_fmac_f64_e32 v[2:3], v[4:5], v[194:195]
	scratch_load_dwordx4 v[194:197], off, s15
	v_add_f64 v[52:53], v[52:53], v[2:3]
	ds_read_b128 v[2:5], v49 offset:1760
	v_add_f64 v[10:11], v[10:11], v[198:199]
	s_waitcnt vmcnt(0) lgkmcnt(0)
	v_mul_f64 v[198:199], v[4:5], v[196:197]
	v_fma_f64 v[198:199], v[2:3], v[194:195], -v[198:199]
	v_mul_f64 v[2:3], v[2:3], v[196:197]
	v_fmac_f64_e32 v[2:3], v[4:5], v[194:195]
	scratch_load_dwordx4 v[194:197], off, s14
	v_add_f64 v[52:53], v[52:53], v[2:3]
	ds_read_b128 v[2:5], v49 offset:1776
	v_add_f64 v[10:11], v[10:11], v[198:199]
	s_add_i32 s14, s13, 8
	v_cmp_eq_u32_e32 vcc, s14, v7
	s_add_i32 s13, s13, 51
	s_or_b64 s[10:11], vcc, s[10:11]
	v_mov_b32_e32 v193, s13
	s_mov_b32 s13, s14
	s_waitcnt vmcnt(0) lgkmcnt(0)
	v_mul_f64 v[198:199], v[4:5], v[196:197]
	v_mul_f64 v[196:197], v[2:3], v[196:197]
	v_fma_f64 v[198:199], v[2:3], v[194:195], -v[198:199]
	v_fmac_f64_e32 v[196:197], v[4:5], v[194:195]
	v_add_f64 v[2:3], v[10:11], v[198:199]
	v_add_f64 v[4:5], v[52:53], v[196:197]
	s_andn2_b64 exec, exec, s[10:11]
	s_cbranch_execnz .LBB60_235
; %bb.236:
	s_or_b64 exec, exec, s[10:11]
.LBB60_237:
	s_or_b64 exec, exec, s[2:3]
	v_and_b32_e32 v6, 7, v6
	v_cmp_ne_u32_e32 vcc, 0, v6
	s_and_saveexec_b64 s[2:3], vcc
	s_cbranch_execz .LBB60_241
; %bb.238:
	v_lshlrev_b32_e32 v10, 4, v193
	v_add_u32_e32 v7, 0x3d0, v10
	v_add_u32_e32 v192, 0, v10
	s_mov_b64 s[10:11], 0
.LBB60_239:                             ; =>This Inner Loop Header: Depth=1
	scratch_load_dwordx4 v[194:197], v192, off
	ds_read_b128 v[198:201], v7
	v_add_u32_e32 v6, -1, v6
	v_cmp_eq_u32_e32 vcc, 0, v6
	v_add_u32_e32 v7, 16, v7
	v_add_u32_e32 v192, 16, v192
	s_or_b64 s[10:11], vcc, s[10:11]
	s_waitcnt vmcnt(0) lgkmcnt(0)
	v_mul_f64 v[10:11], v[200:201], v[196:197]
	v_mul_f64 v[52:53], v[198:199], v[196:197]
	v_fma_f64 v[10:11], v[198:199], v[194:195], -v[10:11]
	v_fmac_f64_e32 v[52:53], v[200:201], v[194:195]
	v_add_f64 v[2:3], v[2:3], v[10:11]
	v_add_f64 v[4:5], v[4:5], v[52:53]
	s_andn2_b64 exec, exec, s[10:11]
	s_cbranch_execnz .LBB60_239
; %bb.240:
	s_or_b64 exec, exec, s[10:11]
.LBB60_241:
	s_or_b64 exec, exec, s[2:3]
.LBB60_242:
	s_or_b64 exec, exec, s[8:9]
	v_mov_b32_e32 v6, 0
	ds_read_b128 v[192:195], v6 offset:672
	s_waitcnt lgkmcnt(0)
	v_mul_f64 v[6:7], v[4:5], v[194:195]
	v_mul_f64 v[196:197], v[2:3], v[194:195]
	v_fma_f64 v[194:195], v[2:3], v[192:193], -v[6:7]
	v_fmac_f64_e32 v[196:197], v[4:5], v[192:193]
	scratch_store_dwordx4 off, v[194:197], off offset:672
.LBB60_243:
	s_or_b64 exec, exec, s[4:5]
	scratch_load_dwordx4 v[2:5], v151, off
	v_cmp_lt_u32_e64 s[2:3], 41, v0
	s_waitcnt vmcnt(0)
	ds_write_b128 v9, v[2:5]
	s_waitcnt lgkmcnt(0)
	; wave barrier
	s_waitcnt lgkmcnt(0)
	s_and_saveexec_b64 s[4:5], s[2:3]
	s_cbranch_execz .LBB60_257
; %bb.244:
	ds_read_b128 v[2:5], v9
	s_andn2_b64 vcc, exec, s[6:7]
	s_cbranch_vccnz .LBB60_246
; %bb.245:
	scratch_load_dwordx4 v[192:195], v8, off
	s_waitcnt vmcnt(0) lgkmcnt(0)
	v_mul_f64 v[10:11], v[2:3], v[194:195]
	v_mul_f64 v[6:7], v[4:5], v[194:195]
	v_fmac_f64_e32 v[10:11], v[4:5], v[192:193]
	v_fma_f64 v[2:3], v[2:3], v[192:193], -v[6:7]
	v_mov_b64_e32 v[4:5], v[10:11]
.LBB60_246:
	s_and_saveexec_b64 s[8:9], s[0:1]
	s_cbranch_execz .LBB60_256
; %bb.247:
	v_subrev_u32_e32 v7, 43, v0
	v_subrev_u32_e32 v6, 42, v0
	v_cmp_lt_u32_e32 vcc, 6, v7
	v_mov_b32_e32 v193, 42
	s_and_saveexec_b64 s[0:1], vcc
	s_cbranch_execz .LBB60_251
; %bb.248:
	v_and_b32_e32 v7, -8, v6
	s_mov_b32 s12, 0
	s_mov_b64 s[10:11], 0
	v_mov_b32_e32 v192, 0
	s_mov_b32 s13, 0
.LBB60_249:                             ; =>This Inner Loop Header: Depth=1
	v_readfirstlane_b32 s14, v192
	s_add_i32 s14, s14, s12
	s_add_i32 s15, s14, 0x2a0
	v_mov_b32_e32 v49, s12
	ds_read_b128 v[194:197], v49 offset:1648
	ds_read_b128 v[198:201], v49 offset:1664
	ds_read_b128 v[202:205], v49 offset:1680
	ds_read_b128 v[206:209], v49 offset:1696
	scratch_load_dwordx4 v[210:213], off, s15
	s_add_i32 s15, s14, 0x2b0
	s_addk_i32 s12, 0x80
	s_waitcnt vmcnt(0) lgkmcnt(3)
	v_mul_f64 v[10:11], v[196:197], v[212:213]
	v_mul_f64 v[52:53], v[194:195], v[212:213]
	v_fma_f64 v[10:11], v[194:195], v[210:211], -v[10:11]
	v_fmac_f64_e32 v[52:53], v[196:197], v[210:211]
	v_add_f64 v[10:11], v[2:3], v[10:11]
	v_add_f64 v[52:53], v[4:5], v[52:53]
	scratch_load_dwordx4 v[2:5], off, s15
	s_add_i32 s15, s14, 0x2c0
	s_waitcnt vmcnt(0) lgkmcnt(2)
	v_mul_f64 v[194:195], v[200:201], v[4:5]
	v_mul_f64 v[4:5], v[198:199], v[4:5]
	v_fmac_f64_e32 v[4:5], v[200:201], v[2:3]
	v_fma_f64 v[194:195], v[198:199], v[2:3], -v[194:195]
	v_add_f64 v[52:53], v[52:53], v[4:5]
	scratch_load_dwordx4 v[2:5], off, s15
	v_add_f64 v[10:11], v[10:11], v[194:195]
	s_add_i32 s15, s14, 0x2d0
	s_waitcnt vmcnt(0) lgkmcnt(1)
	v_mul_f64 v[194:195], v[204:205], v[4:5]
	v_mul_f64 v[4:5], v[202:203], v[4:5]
	v_fmac_f64_e32 v[4:5], v[204:205], v[2:3]
	v_fma_f64 v[194:195], v[202:203], v[2:3], -v[194:195]
	v_add_f64 v[52:53], v[52:53], v[4:5]
	scratch_load_dwordx4 v[2:5], off, s15
	v_add_f64 v[10:11], v[10:11], v[194:195]
	s_add_i32 s15, s14, 0x2e0
	s_waitcnt vmcnt(0) lgkmcnt(0)
	v_mul_f64 v[194:195], v[208:209], v[4:5]
	v_fma_f64 v[194:195], v[206:207], v[2:3], -v[194:195]
	v_add_f64 v[10:11], v[10:11], v[194:195]
	scratch_load_dwordx4 v[194:197], off, s15
	v_mul_f64 v[4:5], v[206:207], v[4:5]
	v_fmac_f64_e32 v[4:5], v[208:209], v[2:3]
	v_add_f64 v[52:53], v[52:53], v[4:5]
	ds_read_b128 v[2:5], v49 offset:1712
	s_add_i32 s15, s14, 0x2f0
	s_waitcnt vmcnt(0) lgkmcnt(0)
	v_mul_f64 v[198:199], v[4:5], v[196:197]
	v_fma_f64 v[198:199], v[2:3], v[194:195], -v[198:199]
	v_mul_f64 v[2:3], v[2:3], v[196:197]
	v_fmac_f64_e32 v[2:3], v[4:5], v[194:195]
	scratch_load_dwordx4 v[194:197], off, s15
	v_add_f64 v[52:53], v[52:53], v[2:3]
	ds_read_b128 v[2:5], v49 offset:1728
	v_add_f64 v[10:11], v[10:11], v[198:199]
	s_add_i32 s15, s14, 0x300
	s_addk_i32 s14, 0x310
	s_waitcnt vmcnt(0) lgkmcnt(0)
	v_mul_f64 v[198:199], v[4:5], v[196:197]
	v_fma_f64 v[198:199], v[2:3], v[194:195], -v[198:199]
	v_mul_f64 v[2:3], v[2:3], v[196:197]
	v_fmac_f64_e32 v[2:3], v[4:5], v[194:195]
	scratch_load_dwordx4 v[194:197], off, s15
	v_add_f64 v[52:53], v[52:53], v[2:3]
	ds_read_b128 v[2:5], v49 offset:1744
	v_add_f64 v[10:11], v[10:11], v[198:199]
	s_waitcnt vmcnt(0) lgkmcnt(0)
	v_mul_f64 v[198:199], v[4:5], v[196:197]
	v_fma_f64 v[198:199], v[2:3], v[194:195], -v[198:199]
	v_mul_f64 v[2:3], v[2:3], v[196:197]
	v_fmac_f64_e32 v[2:3], v[4:5], v[194:195]
	scratch_load_dwordx4 v[194:197], off, s14
	v_add_f64 v[52:53], v[52:53], v[2:3]
	ds_read_b128 v[2:5], v49 offset:1760
	v_add_f64 v[10:11], v[10:11], v[198:199]
	s_add_i32 s14, s13, 8
	v_cmp_eq_u32_e32 vcc, s14, v7
	s_add_i32 s13, s13, 50
	s_or_b64 s[10:11], vcc, s[10:11]
	v_mov_b32_e32 v193, s13
	s_mov_b32 s13, s14
	s_waitcnt vmcnt(0) lgkmcnt(0)
	v_mul_f64 v[198:199], v[4:5], v[196:197]
	v_mul_f64 v[196:197], v[2:3], v[196:197]
	v_fma_f64 v[198:199], v[2:3], v[194:195], -v[198:199]
	v_fmac_f64_e32 v[196:197], v[4:5], v[194:195]
	v_add_f64 v[2:3], v[10:11], v[198:199]
	v_add_f64 v[4:5], v[52:53], v[196:197]
	s_andn2_b64 exec, exec, s[10:11]
	s_cbranch_execnz .LBB60_249
; %bb.250:
	s_or_b64 exec, exec, s[10:11]
.LBB60_251:
	s_or_b64 exec, exec, s[0:1]
	v_and_b32_e32 v6, 7, v6
	v_cmp_ne_u32_e32 vcc, 0, v6
	s_and_saveexec_b64 s[0:1], vcc
	s_cbranch_execz .LBB60_255
; %bb.252:
	v_lshlrev_b32_e32 v10, 4, v193
	v_add_u32_e32 v7, 0x3d0, v10
	v_add_u32_e32 v192, 0, v10
	s_mov_b64 s[10:11], 0
.LBB60_253:                             ; =>This Inner Loop Header: Depth=1
	scratch_load_dwordx4 v[194:197], v192, off
	ds_read_b128 v[198:201], v7
	v_add_u32_e32 v6, -1, v6
	v_cmp_eq_u32_e32 vcc, 0, v6
	v_add_u32_e32 v7, 16, v7
	v_add_u32_e32 v192, 16, v192
	s_or_b64 s[10:11], vcc, s[10:11]
	s_waitcnt vmcnt(0) lgkmcnt(0)
	v_mul_f64 v[10:11], v[200:201], v[196:197]
	v_mul_f64 v[52:53], v[198:199], v[196:197]
	v_fma_f64 v[10:11], v[198:199], v[194:195], -v[10:11]
	v_fmac_f64_e32 v[52:53], v[200:201], v[194:195]
	v_add_f64 v[2:3], v[2:3], v[10:11]
	v_add_f64 v[4:5], v[4:5], v[52:53]
	s_andn2_b64 exec, exec, s[10:11]
	s_cbranch_execnz .LBB60_253
; %bb.254:
	s_or_b64 exec, exec, s[10:11]
.LBB60_255:
	s_or_b64 exec, exec, s[0:1]
.LBB60_256:
	s_or_b64 exec, exec, s[8:9]
	v_mov_b32_e32 v6, 0
	ds_read_b128 v[192:195], v6 offset:656
	s_waitcnt lgkmcnt(0)
	v_mul_f64 v[6:7], v[4:5], v[194:195]
	v_mul_f64 v[196:197], v[2:3], v[194:195]
	v_fma_f64 v[194:195], v[2:3], v[192:193], -v[6:7]
	v_fmac_f64_e32 v[196:197], v[4:5], v[192:193]
	scratch_store_dwordx4 off, v[194:197], off offset:656
.LBB60_257:
	s_or_b64 exec, exec, s[4:5]
	scratch_load_dwordx4 v[2:5], v152, off
	v_cmp_lt_u32_e64 s[0:1], 40, v0
	s_waitcnt vmcnt(0)
	ds_write_b128 v9, v[2:5]
	s_waitcnt lgkmcnt(0)
	; wave barrier
	s_waitcnt lgkmcnt(0)
	s_and_saveexec_b64 s[4:5], s[0:1]
	s_cbranch_execz .LBB60_271
; %bb.258:
	ds_read_b128 v[2:5], v9
	s_andn2_b64 vcc, exec, s[6:7]
	s_cbranch_vccnz .LBB60_260
; %bb.259:
	scratch_load_dwordx4 v[192:195], v8, off
	s_waitcnt vmcnt(0) lgkmcnt(0)
	v_mul_f64 v[10:11], v[2:3], v[194:195]
	v_mul_f64 v[6:7], v[4:5], v[194:195]
	v_fmac_f64_e32 v[10:11], v[4:5], v[192:193]
	v_fma_f64 v[2:3], v[2:3], v[192:193], -v[6:7]
	v_mov_b64_e32 v[4:5], v[10:11]
.LBB60_260:
	s_and_saveexec_b64 s[8:9], s[2:3]
	s_cbranch_execz .LBB60_270
; %bb.261:
	v_subrev_u32_e32 v7, 42, v0
	v_subrev_u32_e32 v6, 41, v0
	v_cmp_lt_u32_e32 vcc, 6, v7
	v_mov_b32_e32 v193, 41
	s_and_saveexec_b64 s[2:3], vcc
	s_cbranch_execz .LBB60_265
; %bb.262:
	v_and_b32_e32 v7, -8, v6
	s_mov_b32 s12, 0
	s_mov_b64 s[10:11], 0
	v_mov_b32_e32 v192, 0
	s_mov_b32 s13, 0
.LBB60_263:                             ; =>This Inner Loop Header: Depth=1
	v_readfirstlane_b32 s14, v192
	s_add_i32 s14, s14, s12
	s_add_i32 s15, s14, 0x290
	v_mov_b32_e32 v49, s12
	ds_read_b128 v[194:197], v49 offset:1632
	ds_read_b128 v[198:201], v49 offset:1648
	;; [unrolled: 1-line block ×4, first 2 shown]
	scratch_load_dwordx4 v[210:213], off, s15
	s_add_i32 s15, s14, 0x2a0
	s_addk_i32 s12, 0x80
	s_waitcnt vmcnt(0) lgkmcnt(3)
	v_mul_f64 v[10:11], v[196:197], v[212:213]
	v_mul_f64 v[52:53], v[194:195], v[212:213]
	v_fma_f64 v[10:11], v[194:195], v[210:211], -v[10:11]
	v_fmac_f64_e32 v[52:53], v[196:197], v[210:211]
	v_add_f64 v[10:11], v[2:3], v[10:11]
	v_add_f64 v[52:53], v[4:5], v[52:53]
	scratch_load_dwordx4 v[2:5], off, s15
	s_add_i32 s15, s14, 0x2b0
	s_waitcnt vmcnt(0) lgkmcnt(2)
	v_mul_f64 v[194:195], v[200:201], v[4:5]
	v_mul_f64 v[4:5], v[198:199], v[4:5]
	v_fmac_f64_e32 v[4:5], v[200:201], v[2:3]
	v_fma_f64 v[194:195], v[198:199], v[2:3], -v[194:195]
	v_add_f64 v[52:53], v[52:53], v[4:5]
	scratch_load_dwordx4 v[2:5], off, s15
	v_add_f64 v[10:11], v[10:11], v[194:195]
	s_add_i32 s15, s14, 0x2c0
	s_waitcnt vmcnt(0) lgkmcnt(1)
	v_mul_f64 v[194:195], v[204:205], v[4:5]
	v_mul_f64 v[4:5], v[202:203], v[4:5]
	v_fmac_f64_e32 v[4:5], v[204:205], v[2:3]
	v_fma_f64 v[194:195], v[202:203], v[2:3], -v[194:195]
	v_add_f64 v[52:53], v[52:53], v[4:5]
	scratch_load_dwordx4 v[2:5], off, s15
	v_add_f64 v[10:11], v[10:11], v[194:195]
	s_add_i32 s15, s14, 0x2d0
	s_waitcnt vmcnt(0) lgkmcnt(0)
	v_mul_f64 v[194:195], v[208:209], v[4:5]
	v_fma_f64 v[194:195], v[206:207], v[2:3], -v[194:195]
	v_add_f64 v[10:11], v[10:11], v[194:195]
	scratch_load_dwordx4 v[194:197], off, s15
	v_mul_f64 v[4:5], v[206:207], v[4:5]
	v_fmac_f64_e32 v[4:5], v[208:209], v[2:3]
	v_add_f64 v[52:53], v[52:53], v[4:5]
	ds_read_b128 v[2:5], v49 offset:1696
	s_add_i32 s15, s14, 0x2e0
	s_waitcnt vmcnt(0) lgkmcnt(0)
	v_mul_f64 v[198:199], v[4:5], v[196:197]
	v_fma_f64 v[198:199], v[2:3], v[194:195], -v[198:199]
	v_mul_f64 v[2:3], v[2:3], v[196:197]
	v_fmac_f64_e32 v[2:3], v[4:5], v[194:195]
	scratch_load_dwordx4 v[194:197], off, s15
	v_add_f64 v[52:53], v[52:53], v[2:3]
	ds_read_b128 v[2:5], v49 offset:1712
	v_add_f64 v[10:11], v[10:11], v[198:199]
	s_add_i32 s15, s14, 0x2f0
	s_addk_i32 s14, 0x300
	s_waitcnt vmcnt(0) lgkmcnt(0)
	v_mul_f64 v[198:199], v[4:5], v[196:197]
	v_fma_f64 v[198:199], v[2:3], v[194:195], -v[198:199]
	v_mul_f64 v[2:3], v[2:3], v[196:197]
	v_fmac_f64_e32 v[2:3], v[4:5], v[194:195]
	scratch_load_dwordx4 v[194:197], off, s15
	v_add_f64 v[52:53], v[52:53], v[2:3]
	ds_read_b128 v[2:5], v49 offset:1728
	v_add_f64 v[10:11], v[10:11], v[198:199]
	s_waitcnt vmcnt(0) lgkmcnt(0)
	v_mul_f64 v[198:199], v[4:5], v[196:197]
	v_fma_f64 v[198:199], v[2:3], v[194:195], -v[198:199]
	v_mul_f64 v[2:3], v[2:3], v[196:197]
	v_fmac_f64_e32 v[2:3], v[4:5], v[194:195]
	scratch_load_dwordx4 v[194:197], off, s14
	v_add_f64 v[52:53], v[52:53], v[2:3]
	ds_read_b128 v[2:5], v49 offset:1744
	v_add_f64 v[10:11], v[10:11], v[198:199]
	s_add_i32 s14, s13, 8
	v_cmp_eq_u32_e32 vcc, s14, v7
	s_add_i32 s13, s13, 49
	s_or_b64 s[10:11], vcc, s[10:11]
	v_mov_b32_e32 v193, s13
	s_mov_b32 s13, s14
	s_waitcnt vmcnt(0) lgkmcnt(0)
	v_mul_f64 v[198:199], v[4:5], v[196:197]
	v_mul_f64 v[196:197], v[2:3], v[196:197]
	v_fma_f64 v[198:199], v[2:3], v[194:195], -v[198:199]
	v_fmac_f64_e32 v[196:197], v[4:5], v[194:195]
	v_add_f64 v[2:3], v[10:11], v[198:199]
	v_add_f64 v[4:5], v[52:53], v[196:197]
	s_andn2_b64 exec, exec, s[10:11]
	s_cbranch_execnz .LBB60_263
; %bb.264:
	s_or_b64 exec, exec, s[10:11]
.LBB60_265:
	s_or_b64 exec, exec, s[2:3]
	v_and_b32_e32 v6, 7, v6
	v_cmp_ne_u32_e32 vcc, 0, v6
	s_and_saveexec_b64 s[2:3], vcc
	s_cbranch_execz .LBB60_269
; %bb.266:
	v_lshlrev_b32_e32 v10, 4, v193
	v_add_u32_e32 v7, 0x3d0, v10
	v_add_u32_e32 v192, 0, v10
	s_mov_b64 s[10:11], 0
.LBB60_267:                             ; =>This Inner Loop Header: Depth=1
	scratch_load_dwordx4 v[194:197], v192, off
	ds_read_b128 v[198:201], v7
	v_add_u32_e32 v6, -1, v6
	v_cmp_eq_u32_e32 vcc, 0, v6
	v_add_u32_e32 v7, 16, v7
	v_add_u32_e32 v192, 16, v192
	s_or_b64 s[10:11], vcc, s[10:11]
	s_waitcnt vmcnt(0) lgkmcnt(0)
	v_mul_f64 v[10:11], v[200:201], v[196:197]
	v_mul_f64 v[52:53], v[198:199], v[196:197]
	v_fma_f64 v[10:11], v[198:199], v[194:195], -v[10:11]
	v_fmac_f64_e32 v[52:53], v[200:201], v[194:195]
	v_add_f64 v[2:3], v[2:3], v[10:11]
	v_add_f64 v[4:5], v[4:5], v[52:53]
	s_andn2_b64 exec, exec, s[10:11]
	s_cbranch_execnz .LBB60_267
; %bb.268:
	s_or_b64 exec, exec, s[10:11]
.LBB60_269:
	s_or_b64 exec, exec, s[2:3]
.LBB60_270:
	s_or_b64 exec, exec, s[8:9]
	v_mov_b32_e32 v6, 0
	ds_read_b128 v[192:195], v6 offset:640
	s_waitcnt lgkmcnt(0)
	v_mul_f64 v[6:7], v[4:5], v[194:195]
	v_mul_f64 v[196:197], v[2:3], v[194:195]
	v_fma_f64 v[194:195], v[2:3], v[192:193], -v[6:7]
	v_fmac_f64_e32 v[196:197], v[4:5], v[192:193]
	scratch_store_dwordx4 off, v[194:197], off offset:640
.LBB60_271:
	s_or_b64 exec, exec, s[4:5]
	scratch_load_dwordx4 v[2:5], v153, off
	v_cmp_lt_u32_e64 s[2:3], 39, v0
	s_waitcnt vmcnt(0)
	ds_write_b128 v9, v[2:5]
	s_waitcnt lgkmcnt(0)
	; wave barrier
	s_waitcnt lgkmcnt(0)
	s_and_saveexec_b64 s[4:5], s[2:3]
	s_cbranch_execz .LBB60_285
; %bb.272:
	ds_read_b128 v[2:5], v9
	s_andn2_b64 vcc, exec, s[6:7]
	s_cbranch_vccnz .LBB60_274
; %bb.273:
	scratch_load_dwordx4 v[192:195], v8, off
	s_waitcnt vmcnt(0) lgkmcnt(0)
	v_mul_f64 v[10:11], v[2:3], v[194:195]
	v_mul_f64 v[6:7], v[4:5], v[194:195]
	v_fmac_f64_e32 v[10:11], v[4:5], v[192:193]
	v_fma_f64 v[2:3], v[2:3], v[192:193], -v[6:7]
	v_mov_b64_e32 v[4:5], v[10:11]
.LBB60_274:
	s_and_saveexec_b64 s[8:9], s[0:1]
	s_cbranch_execz .LBB60_284
; %bb.275:
	v_subrev_u32_e32 v6, 41, v0
	v_cmp_lt_u32_e32 vcc, 6, v6
	v_mov_b32_e32 v6, 40
	s_and_saveexec_b64 s[0:1], vcc
	s_cbranch_execz .LBB60_279
; %bb.276:
	v_and_b32_e32 v6, 56, v0
	s_mov_b32 s12, 40
	s_mov_b32 s13, 0
	s_mov_b64 s[10:11], 0
	v_mov_b32_e32 v7, 0
.LBB60_277:                             ; =>This Inner Loop Header: Depth=1
	s_nop 0
	v_readfirstlane_b32 s14, v7
	s_add_i32 s14, s14, s13
	s_add_i32 s15, s14, 0x280
	v_mov_b32_e32 v49, s13
	ds_read_b128 v[192:195], v49 offset:1616
	ds_read_b128 v[196:199], v49 offset:1632
	;; [unrolled: 1-line block ×4, first 2 shown]
	scratch_load_dwordx4 v[208:211], off, s15
	s_add_i32 s15, s14, 0x290
	s_add_i32 s12, s12, 8
	s_addk_i32 s13, 0x80
	v_cmp_eq_u32_e32 vcc, s12, v6
	s_waitcnt vmcnt(0) lgkmcnt(3)
	v_mul_f64 v[10:11], v[194:195], v[210:211]
	v_mul_f64 v[52:53], v[192:193], v[210:211]
	v_fma_f64 v[10:11], v[192:193], v[208:209], -v[10:11]
	v_fmac_f64_e32 v[52:53], v[194:195], v[208:209]
	v_add_f64 v[10:11], v[2:3], v[10:11]
	v_add_f64 v[52:53], v[4:5], v[52:53]
	scratch_load_dwordx4 v[2:5], off, s15
	s_add_i32 s15, s14, 0x2a0
	s_waitcnt vmcnt(0) lgkmcnt(2)
	v_mul_f64 v[192:193], v[198:199], v[4:5]
	v_mul_f64 v[4:5], v[196:197], v[4:5]
	v_fmac_f64_e32 v[4:5], v[198:199], v[2:3]
	v_fma_f64 v[192:193], v[196:197], v[2:3], -v[192:193]
	v_add_f64 v[52:53], v[52:53], v[4:5]
	scratch_load_dwordx4 v[2:5], off, s15
	v_add_f64 v[10:11], v[10:11], v[192:193]
	s_add_i32 s15, s14, 0x2b0
	s_waitcnt vmcnt(0) lgkmcnt(1)
	v_mul_f64 v[192:193], v[202:203], v[4:5]
	v_mul_f64 v[4:5], v[200:201], v[4:5]
	v_fmac_f64_e32 v[4:5], v[202:203], v[2:3]
	v_fma_f64 v[192:193], v[200:201], v[2:3], -v[192:193]
	v_add_f64 v[52:53], v[52:53], v[4:5]
	scratch_load_dwordx4 v[2:5], off, s15
	v_add_f64 v[10:11], v[10:11], v[192:193]
	s_add_i32 s15, s14, 0x2c0
	s_waitcnt vmcnt(0) lgkmcnt(0)
	v_mul_f64 v[192:193], v[206:207], v[4:5]
	v_fma_f64 v[192:193], v[204:205], v[2:3], -v[192:193]
	v_add_f64 v[10:11], v[10:11], v[192:193]
	scratch_load_dwordx4 v[192:195], off, s15
	v_mul_f64 v[4:5], v[204:205], v[4:5]
	v_fmac_f64_e32 v[4:5], v[206:207], v[2:3]
	v_add_f64 v[52:53], v[52:53], v[4:5]
	ds_read_b128 v[2:5], v49 offset:1680
	s_add_i32 s15, s14, 0x2d0
	s_waitcnt vmcnt(0) lgkmcnt(0)
	v_mul_f64 v[196:197], v[4:5], v[194:195]
	v_fma_f64 v[196:197], v[2:3], v[192:193], -v[196:197]
	v_mul_f64 v[2:3], v[2:3], v[194:195]
	v_fmac_f64_e32 v[2:3], v[4:5], v[192:193]
	scratch_load_dwordx4 v[192:195], off, s15
	v_add_f64 v[52:53], v[52:53], v[2:3]
	ds_read_b128 v[2:5], v49 offset:1696
	v_add_f64 v[10:11], v[10:11], v[196:197]
	s_add_i32 s15, s14, 0x2e0
	s_addk_i32 s14, 0x2f0
	s_or_b64 s[10:11], vcc, s[10:11]
	s_waitcnt vmcnt(0) lgkmcnt(0)
	v_mul_f64 v[196:197], v[4:5], v[194:195]
	v_fma_f64 v[196:197], v[2:3], v[192:193], -v[196:197]
	v_mul_f64 v[2:3], v[2:3], v[194:195]
	v_fmac_f64_e32 v[2:3], v[4:5], v[192:193]
	scratch_load_dwordx4 v[192:195], off, s15
	v_add_f64 v[52:53], v[52:53], v[2:3]
	ds_read_b128 v[2:5], v49 offset:1712
	v_add_f64 v[10:11], v[10:11], v[196:197]
	s_waitcnt vmcnt(0) lgkmcnt(0)
	v_mul_f64 v[196:197], v[4:5], v[194:195]
	v_fma_f64 v[196:197], v[2:3], v[192:193], -v[196:197]
	v_mul_f64 v[2:3], v[2:3], v[194:195]
	v_fmac_f64_e32 v[2:3], v[4:5], v[192:193]
	scratch_load_dwordx4 v[192:195], off, s14
	v_add_f64 v[52:53], v[52:53], v[2:3]
	ds_read_b128 v[2:5], v49 offset:1728
	v_add_f64 v[10:11], v[10:11], v[196:197]
	s_waitcnt vmcnt(0) lgkmcnt(0)
	v_mul_f64 v[196:197], v[4:5], v[194:195]
	v_mul_f64 v[194:195], v[2:3], v[194:195]
	v_fma_f64 v[196:197], v[2:3], v[192:193], -v[196:197]
	v_fmac_f64_e32 v[194:195], v[4:5], v[192:193]
	v_add_f64 v[2:3], v[10:11], v[196:197]
	v_add_f64 v[4:5], v[52:53], v[194:195]
	s_andn2_b64 exec, exec, s[10:11]
	s_cbranch_execnz .LBB60_277
; %bb.278:
	s_or_b64 exec, exec, s[10:11]
.LBB60_279:
	s_or_b64 exec, exec, s[0:1]
	v_and_b32_e32 v7, 7, v0
	v_cmp_ne_u32_e32 vcc, 0, v7
	s_and_saveexec_b64 s[0:1], vcc
	s_cbranch_execz .LBB60_283
; %bb.280:
	v_lshlrev_b32_e32 v10, 4, v6
	v_add_u32_e32 v6, 0x3d0, v10
	v_add_u32_e32 v192, 0, v10
	s_mov_b64 s[10:11], 0
.LBB60_281:                             ; =>This Inner Loop Header: Depth=1
	scratch_load_dwordx4 v[194:197], v192, off
	ds_read_b128 v[198:201], v6
	v_add_u32_e32 v7, -1, v7
	v_cmp_eq_u32_e32 vcc, 0, v7
	v_add_u32_e32 v6, 16, v6
	v_add_u32_e32 v192, 16, v192
	s_or_b64 s[10:11], vcc, s[10:11]
	s_waitcnt vmcnt(0) lgkmcnt(0)
	v_mul_f64 v[10:11], v[200:201], v[196:197]
	v_mul_f64 v[52:53], v[198:199], v[196:197]
	v_fma_f64 v[10:11], v[198:199], v[194:195], -v[10:11]
	v_fmac_f64_e32 v[52:53], v[200:201], v[194:195]
	v_add_f64 v[2:3], v[2:3], v[10:11]
	v_add_f64 v[4:5], v[4:5], v[52:53]
	s_andn2_b64 exec, exec, s[10:11]
	s_cbranch_execnz .LBB60_281
; %bb.282:
	s_or_b64 exec, exec, s[10:11]
.LBB60_283:
	s_or_b64 exec, exec, s[0:1]
.LBB60_284:
	s_or_b64 exec, exec, s[8:9]
	v_mov_b32_e32 v6, 0
	ds_read_b128 v[192:195], v6 offset:624
	s_waitcnt lgkmcnt(0)
	v_mul_f64 v[6:7], v[4:5], v[194:195]
	v_mul_f64 v[196:197], v[2:3], v[194:195]
	v_fma_f64 v[194:195], v[2:3], v[192:193], -v[6:7]
	v_fmac_f64_e32 v[196:197], v[4:5], v[192:193]
	scratch_store_dwordx4 off, v[194:197], off offset:624
.LBB60_285:
	s_or_b64 exec, exec, s[4:5]
	scratch_load_dwordx4 v[2:5], v154, off
	v_cmp_lt_u32_e64 s[0:1], 38, v0
	s_waitcnt vmcnt(0)
	ds_write_b128 v9, v[2:5]
	s_waitcnt lgkmcnt(0)
	; wave barrier
	s_waitcnt lgkmcnt(0)
	s_and_saveexec_b64 s[4:5], s[0:1]
	s_cbranch_execz .LBB60_299
; %bb.286:
	ds_read_b128 v[2:5], v9
	s_andn2_b64 vcc, exec, s[6:7]
	s_cbranch_vccnz .LBB60_288
; %bb.287:
	scratch_load_dwordx4 v[192:195], v8, off
	s_waitcnt vmcnt(0) lgkmcnt(0)
	v_mul_f64 v[10:11], v[2:3], v[194:195]
	v_mul_f64 v[6:7], v[4:5], v[194:195]
	v_fmac_f64_e32 v[10:11], v[4:5], v[192:193]
	v_fma_f64 v[2:3], v[2:3], v[192:193], -v[6:7]
	v_mov_b64_e32 v[4:5], v[10:11]
.LBB60_288:
	s_and_saveexec_b64 s[8:9], s[2:3]
	s_cbranch_execz .LBB60_298
; %bb.289:
	v_subrev_u32_e32 v7, 40, v0
	v_subrev_u32_e32 v6, 39, v0
	v_cmp_lt_u32_e32 vcc, 6, v7
	v_mov_b32_e32 v193, 39
	s_and_saveexec_b64 s[2:3], vcc
	s_cbranch_execz .LBB60_293
; %bb.290:
	v_and_b32_e32 v7, -8, v6
	s_mov_b32 s12, 0
	s_mov_b64 s[10:11], 0
	v_mov_b32_e32 v192, 0
	s_mov_b32 s13, 0
.LBB60_291:                             ; =>This Inner Loop Header: Depth=1
	v_readfirstlane_b32 s14, v192
	s_add_i32 s14, s14, s12
	s_add_i32 s15, s14, 0x270
	v_mov_b32_e32 v49, s12
	ds_read_b128 v[194:197], v49 offset:1600
	ds_read_b128 v[198:201], v49 offset:1616
	;; [unrolled: 1-line block ×4, first 2 shown]
	scratch_load_dwordx4 v[210:213], off, s15
	s_add_i32 s15, s14, 0x280
	s_addk_i32 s12, 0x80
	s_waitcnt vmcnt(0) lgkmcnt(3)
	v_mul_f64 v[10:11], v[196:197], v[212:213]
	v_mul_f64 v[52:53], v[194:195], v[212:213]
	v_fma_f64 v[10:11], v[194:195], v[210:211], -v[10:11]
	v_fmac_f64_e32 v[52:53], v[196:197], v[210:211]
	v_add_f64 v[10:11], v[2:3], v[10:11]
	v_add_f64 v[52:53], v[4:5], v[52:53]
	scratch_load_dwordx4 v[2:5], off, s15
	s_add_i32 s15, s14, 0x290
	s_waitcnt vmcnt(0) lgkmcnt(2)
	v_mul_f64 v[194:195], v[200:201], v[4:5]
	v_mul_f64 v[4:5], v[198:199], v[4:5]
	v_fmac_f64_e32 v[4:5], v[200:201], v[2:3]
	v_fma_f64 v[194:195], v[198:199], v[2:3], -v[194:195]
	v_add_f64 v[52:53], v[52:53], v[4:5]
	scratch_load_dwordx4 v[2:5], off, s15
	v_add_f64 v[10:11], v[10:11], v[194:195]
	s_add_i32 s15, s14, 0x2a0
	s_waitcnt vmcnt(0) lgkmcnt(1)
	v_mul_f64 v[194:195], v[204:205], v[4:5]
	v_mul_f64 v[4:5], v[202:203], v[4:5]
	v_fmac_f64_e32 v[4:5], v[204:205], v[2:3]
	v_fma_f64 v[194:195], v[202:203], v[2:3], -v[194:195]
	v_add_f64 v[52:53], v[52:53], v[4:5]
	scratch_load_dwordx4 v[2:5], off, s15
	v_add_f64 v[10:11], v[10:11], v[194:195]
	s_add_i32 s15, s14, 0x2b0
	s_waitcnt vmcnt(0) lgkmcnt(0)
	v_mul_f64 v[194:195], v[208:209], v[4:5]
	v_fma_f64 v[194:195], v[206:207], v[2:3], -v[194:195]
	v_add_f64 v[10:11], v[10:11], v[194:195]
	scratch_load_dwordx4 v[194:197], off, s15
	v_mul_f64 v[4:5], v[206:207], v[4:5]
	v_fmac_f64_e32 v[4:5], v[208:209], v[2:3]
	v_add_f64 v[52:53], v[52:53], v[4:5]
	ds_read_b128 v[2:5], v49 offset:1664
	s_add_i32 s15, s14, 0x2c0
	s_waitcnt vmcnt(0) lgkmcnt(0)
	v_mul_f64 v[198:199], v[4:5], v[196:197]
	v_fma_f64 v[198:199], v[2:3], v[194:195], -v[198:199]
	v_mul_f64 v[2:3], v[2:3], v[196:197]
	v_fmac_f64_e32 v[2:3], v[4:5], v[194:195]
	scratch_load_dwordx4 v[194:197], off, s15
	v_add_f64 v[52:53], v[52:53], v[2:3]
	ds_read_b128 v[2:5], v49 offset:1680
	v_add_f64 v[10:11], v[10:11], v[198:199]
	s_add_i32 s15, s14, 0x2d0
	s_addk_i32 s14, 0x2e0
	s_waitcnt vmcnt(0) lgkmcnt(0)
	v_mul_f64 v[198:199], v[4:5], v[196:197]
	v_fma_f64 v[198:199], v[2:3], v[194:195], -v[198:199]
	v_mul_f64 v[2:3], v[2:3], v[196:197]
	v_fmac_f64_e32 v[2:3], v[4:5], v[194:195]
	scratch_load_dwordx4 v[194:197], off, s15
	v_add_f64 v[52:53], v[52:53], v[2:3]
	ds_read_b128 v[2:5], v49 offset:1696
	v_add_f64 v[10:11], v[10:11], v[198:199]
	s_waitcnt vmcnt(0) lgkmcnt(0)
	v_mul_f64 v[198:199], v[4:5], v[196:197]
	v_fma_f64 v[198:199], v[2:3], v[194:195], -v[198:199]
	v_mul_f64 v[2:3], v[2:3], v[196:197]
	v_fmac_f64_e32 v[2:3], v[4:5], v[194:195]
	scratch_load_dwordx4 v[194:197], off, s14
	v_add_f64 v[52:53], v[52:53], v[2:3]
	ds_read_b128 v[2:5], v49 offset:1712
	v_add_f64 v[10:11], v[10:11], v[198:199]
	s_add_i32 s14, s13, 8
	v_cmp_eq_u32_e32 vcc, s14, v7
	s_add_i32 s13, s13, 47
	s_or_b64 s[10:11], vcc, s[10:11]
	v_mov_b32_e32 v193, s13
	s_mov_b32 s13, s14
	s_waitcnt vmcnt(0) lgkmcnt(0)
	v_mul_f64 v[198:199], v[4:5], v[196:197]
	v_mul_f64 v[196:197], v[2:3], v[196:197]
	v_fma_f64 v[198:199], v[2:3], v[194:195], -v[198:199]
	v_fmac_f64_e32 v[196:197], v[4:5], v[194:195]
	v_add_f64 v[2:3], v[10:11], v[198:199]
	v_add_f64 v[4:5], v[52:53], v[196:197]
	s_andn2_b64 exec, exec, s[10:11]
	s_cbranch_execnz .LBB60_291
; %bb.292:
	s_or_b64 exec, exec, s[10:11]
.LBB60_293:
	s_or_b64 exec, exec, s[2:3]
	v_and_b32_e32 v6, 7, v6
	v_cmp_ne_u32_e32 vcc, 0, v6
	s_and_saveexec_b64 s[2:3], vcc
	s_cbranch_execz .LBB60_297
; %bb.294:
	v_lshlrev_b32_e32 v10, 4, v193
	v_add_u32_e32 v7, 0x3d0, v10
	v_add_u32_e32 v192, 0, v10
	s_mov_b64 s[10:11], 0
.LBB60_295:                             ; =>This Inner Loop Header: Depth=1
	scratch_load_dwordx4 v[194:197], v192, off
	ds_read_b128 v[198:201], v7
	v_add_u32_e32 v6, -1, v6
	v_cmp_eq_u32_e32 vcc, 0, v6
	v_add_u32_e32 v7, 16, v7
	v_add_u32_e32 v192, 16, v192
	s_or_b64 s[10:11], vcc, s[10:11]
	s_waitcnt vmcnt(0) lgkmcnt(0)
	v_mul_f64 v[10:11], v[200:201], v[196:197]
	v_mul_f64 v[52:53], v[198:199], v[196:197]
	v_fma_f64 v[10:11], v[198:199], v[194:195], -v[10:11]
	v_fmac_f64_e32 v[52:53], v[200:201], v[194:195]
	v_add_f64 v[2:3], v[2:3], v[10:11]
	v_add_f64 v[4:5], v[4:5], v[52:53]
	s_andn2_b64 exec, exec, s[10:11]
	s_cbranch_execnz .LBB60_295
; %bb.296:
	s_or_b64 exec, exec, s[10:11]
.LBB60_297:
	s_or_b64 exec, exec, s[2:3]
.LBB60_298:
	s_or_b64 exec, exec, s[8:9]
	v_mov_b32_e32 v6, 0
	ds_read_b128 v[192:195], v6 offset:608
	s_waitcnt lgkmcnt(0)
	v_mul_f64 v[6:7], v[4:5], v[194:195]
	v_mul_f64 v[196:197], v[2:3], v[194:195]
	v_fma_f64 v[194:195], v[2:3], v[192:193], -v[6:7]
	v_fmac_f64_e32 v[196:197], v[4:5], v[192:193]
	scratch_store_dwordx4 off, v[194:197], off offset:608
.LBB60_299:
	s_or_b64 exec, exec, s[4:5]
	scratch_load_dwordx4 v[2:5], v155, off
	v_cmp_lt_u32_e64 s[2:3], 37, v0
	s_waitcnt vmcnt(0)
	ds_write_b128 v9, v[2:5]
	s_waitcnt lgkmcnt(0)
	; wave barrier
	s_waitcnt lgkmcnt(0)
	s_and_saveexec_b64 s[4:5], s[2:3]
	s_cbranch_execz .LBB60_313
; %bb.300:
	ds_read_b128 v[2:5], v9
	s_andn2_b64 vcc, exec, s[6:7]
	s_cbranch_vccnz .LBB60_302
; %bb.301:
	scratch_load_dwordx4 v[192:195], v8, off
	s_waitcnt vmcnt(0) lgkmcnt(0)
	v_mul_f64 v[10:11], v[2:3], v[194:195]
	v_mul_f64 v[6:7], v[4:5], v[194:195]
	v_fmac_f64_e32 v[10:11], v[4:5], v[192:193]
	v_fma_f64 v[2:3], v[2:3], v[192:193], -v[6:7]
	v_mov_b64_e32 v[4:5], v[10:11]
.LBB60_302:
	s_and_saveexec_b64 s[8:9], s[0:1]
	s_cbranch_execz .LBB60_312
; %bb.303:
	v_subrev_u32_e32 v7, 39, v0
	v_subrev_u32_e32 v6, 38, v0
	v_cmp_lt_u32_e32 vcc, 6, v7
	v_mov_b32_e32 v193, 38
	s_and_saveexec_b64 s[0:1], vcc
	s_cbranch_execz .LBB60_307
; %bb.304:
	v_and_b32_e32 v7, -8, v6
	s_mov_b32 s12, 0
	s_mov_b64 s[10:11], 0
	v_mov_b32_e32 v192, 0
	s_mov_b32 s13, 0
.LBB60_305:                             ; =>This Inner Loop Header: Depth=1
	v_readfirstlane_b32 s14, v192
	s_add_i32 s14, s14, s12
	s_add_i32 s15, s14, 0x260
	v_mov_b32_e32 v49, s12
	ds_read_b128 v[194:197], v49 offset:1584
	ds_read_b128 v[198:201], v49 offset:1600
	ds_read_b128 v[202:205], v49 offset:1616
	ds_read_b128 v[206:209], v49 offset:1632
	scratch_load_dwordx4 v[210:213], off, s15
	s_add_i32 s15, s14, 0x270
	s_addk_i32 s12, 0x80
	s_waitcnt vmcnt(0) lgkmcnt(3)
	v_mul_f64 v[10:11], v[196:197], v[212:213]
	v_mul_f64 v[52:53], v[194:195], v[212:213]
	v_fma_f64 v[10:11], v[194:195], v[210:211], -v[10:11]
	v_fmac_f64_e32 v[52:53], v[196:197], v[210:211]
	v_add_f64 v[10:11], v[2:3], v[10:11]
	v_add_f64 v[52:53], v[4:5], v[52:53]
	scratch_load_dwordx4 v[2:5], off, s15
	s_add_i32 s15, s14, 0x280
	s_waitcnt vmcnt(0) lgkmcnt(2)
	v_mul_f64 v[194:195], v[200:201], v[4:5]
	v_mul_f64 v[4:5], v[198:199], v[4:5]
	v_fmac_f64_e32 v[4:5], v[200:201], v[2:3]
	v_fma_f64 v[194:195], v[198:199], v[2:3], -v[194:195]
	v_add_f64 v[52:53], v[52:53], v[4:5]
	scratch_load_dwordx4 v[2:5], off, s15
	v_add_f64 v[10:11], v[10:11], v[194:195]
	s_add_i32 s15, s14, 0x290
	s_waitcnt vmcnt(0) lgkmcnt(1)
	v_mul_f64 v[194:195], v[204:205], v[4:5]
	v_mul_f64 v[4:5], v[202:203], v[4:5]
	v_fmac_f64_e32 v[4:5], v[204:205], v[2:3]
	v_fma_f64 v[194:195], v[202:203], v[2:3], -v[194:195]
	v_add_f64 v[52:53], v[52:53], v[4:5]
	scratch_load_dwordx4 v[2:5], off, s15
	v_add_f64 v[10:11], v[10:11], v[194:195]
	s_add_i32 s15, s14, 0x2a0
	s_waitcnt vmcnt(0) lgkmcnt(0)
	v_mul_f64 v[194:195], v[208:209], v[4:5]
	v_fma_f64 v[194:195], v[206:207], v[2:3], -v[194:195]
	v_add_f64 v[10:11], v[10:11], v[194:195]
	scratch_load_dwordx4 v[194:197], off, s15
	v_mul_f64 v[4:5], v[206:207], v[4:5]
	v_fmac_f64_e32 v[4:5], v[208:209], v[2:3]
	v_add_f64 v[52:53], v[52:53], v[4:5]
	ds_read_b128 v[2:5], v49 offset:1648
	s_add_i32 s15, s14, 0x2b0
	s_waitcnt vmcnt(0) lgkmcnt(0)
	v_mul_f64 v[198:199], v[4:5], v[196:197]
	v_fma_f64 v[198:199], v[2:3], v[194:195], -v[198:199]
	v_mul_f64 v[2:3], v[2:3], v[196:197]
	v_fmac_f64_e32 v[2:3], v[4:5], v[194:195]
	scratch_load_dwordx4 v[194:197], off, s15
	v_add_f64 v[52:53], v[52:53], v[2:3]
	ds_read_b128 v[2:5], v49 offset:1664
	v_add_f64 v[10:11], v[10:11], v[198:199]
	s_add_i32 s15, s14, 0x2c0
	s_addk_i32 s14, 0x2d0
	s_waitcnt vmcnt(0) lgkmcnt(0)
	v_mul_f64 v[198:199], v[4:5], v[196:197]
	v_fma_f64 v[198:199], v[2:3], v[194:195], -v[198:199]
	v_mul_f64 v[2:3], v[2:3], v[196:197]
	v_fmac_f64_e32 v[2:3], v[4:5], v[194:195]
	scratch_load_dwordx4 v[194:197], off, s15
	v_add_f64 v[52:53], v[52:53], v[2:3]
	ds_read_b128 v[2:5], v49 offset:1680
	v_add_f64 v[10:11], v[10:11], v[198:199]
	s_waitcnt vmcnt(0) lgkmcnt(0)
	v_mul_f64 v[198:199], v[4:5], v[196:197]
	v_fma_f64 v[198:199], v[2:3], v[194:195], -v[198:199]
	v_mul_f64 v[2:3], v[2:3], v[196:197]
	v_fmac_f64_e32 v[2:3], v[4:5], v[194:195]
	scratch_load_dwordx4 v[194:197], off, s14
	v_add_f64 v[52:53], v[52:53], v[2:3]
	ds_read_b128 v[2:5], v49 offset:1696
	v_add_f64 v[10:11], v[10:11], v[198:199]
	s_add_i32 s14, s13, 8
	v_cmp_eq_u32_e32 vcc, s14, v7
	s_add_i32 s13, s13, 46
	s_or_b64 s[10:11], vcc, s[10:11]
	v_mov_b32_e32 v193, s13
	s_mov_b32 s13, s14
	s_waitcnt vmcnt(0) lgkmcnt(0)
	v_mul_f64 v[198:199], v[4:5], v[196:197]
	v_mul_f64 v[196:197], v[2:3], v[196:197]
	v_fma_f64 v[198:199], v[2:3], v[194:195], -v[198:199]
	v_fmac_f64_e32 v[196:197], v[4:5], v[194:195]
	v_add_f64 v[2:3], v[10:11], v[198:199]
	v_add_f64 v[4:5], v[52:53], v[196:197]
	s_andn2_b64 exec, exec, s[10:11]
	s_cbranch_execnz .LBB60_305
; %bb.306:
	s_or_b64 exec, exec, s[10:11]
.LBB60_307:
	s_or_b64 exec, exec, s[0:1]
	v_and_b32_e32 v6, 7, v6
	v_cmp_ne_u32_e32 vcc, 0, v6
	s_and_saveexec_b64 s[0:1], vcc
	s_cbranch_execz .LBB60_311
; %bb.308:
	v_lshlrev_b32_e32 v10, 4, v193
	v_add_u32_e32 v7, 0x3d0, v10
	v_add_u32_e32 v192, 0, v10
	s_mov_b64 s[10:11], 0
.LBB60_309:                             ; =>This Inner Loop Header: Depth=1
	scratch_load_dwordx4 v[194:197], v192, off
	ds_read_b128 v[198:201], v7
	v_add_u32_e32 v6, -1, v6
	v_cmp_eq_u32_e32 vcc, 0, v6
	v_add_u32_e32 v7, 16, v7
	v_add_u32_e32 v192, 16, v192
	s_or_b64 s[10:11], vcc, s[10:11]
	s_waitcnt vmcnt(0) lgkmcnt(0)
	v_mul_f64 v[10:11], v[200:201], v[196:197]
	v_mul_f64 v[52:53], v[198:199], v[196:197]
	v_fma_f64 v[10:11], v[198:199], v[194:195], -v[10:11]
	v_fmac_f64_e32 v[52:53], v[200:201], v[194:195]
	v_add_f64 v[2:3], v[2:3], v[10:11]
	v_add_f64 v[4:5], v[4:5], v[52:53]
	s_andn2_b64 exec, exec, s[10:11]
	s_cbranch_execnz .LBB60_309
; %bb.310:
	s_or_b64 exec, exec, s[10:11]
.LBB60_311:
	s_or_b64 exec, exec, s[0:1]
.LBB60_312:
	s_or_b64 exec, exec, s[8:9]
	v_mov_b32_e32 v6, 0
	ds_read_b128 v[192:195], v6 offset:592
	s_waitcnt lgkmcnt(0)
	v_mul_f64 v[6:7], v[4:5], v[194:195]
	v_mul_f64 v[196:197], v[2:3], v[194:195]
	v_fma_f64 v[194:195], v[2:3], v[192:193], -v[6:7]
	v_fmac_f64_e32 v[196:197], v[4:5], v[192:193]
	scratch_store_dwordx4 off, v[194:197], off offset:592
.LBB60_313:
	s_or_b64 exec, exec, s[4:5]
	scratch_load_dwordx4 v[2:5], v156, off
	v_cmp_lt_u32_e64 s[0:1], 36, v0
	s_waitcnt vmcnt(0)
	ds_write_b128 v9, v[2:5]
	s_waitcnt lgkmcnt(0)
	; wave barrier
	s_waitcnt lgkmcnt(0)
	s_and_saveexec_b64 s[4:5], s[0:1]
	s_cbranch_execz .LBB60_327
; %bb.314:
	ds_read_b128 v[2:5], v9
	s_andn2_b64 vcc, exec, s[6:7]
	s_cbranch_vccnz .LBB60_316
; %bb.315:
	scratch_load_dwordx4 v[192:195], v8, off
	s_waitcnt vmcnt(0) lgkmcnt(0)
	v_mul_f64 v[10:11], v[2:3], v[194:195]
	v_mul_f64 v[6:7], v[4:5], v[194:195]
	v_fmac_f64_e32 v[10:11], v[4:5], v[192:193]
	v_fma_f64 v[2:3], v[2:3], v[192:193], -v[6:7]
	v_mov_b64_e32 v[4:5], v[10:11]
.LBB60_316:
	s_and_saveexec_b64 s[8:9], s[2:3]
	s_cbranch_execz .LBB60_326
; %bb.317:
	v_subrev_u32_e32 v7, 38, v0
	v_subrev_u32_e32 v6, 37, v0
	v_cmp_lt_u32_e32 vcc, 6, v7
	v_mov_b32_e32 v193, 37
	s_and_saveexec_b64 s[2:3], vcc
	s_cbranch_execz .LBB60_321
; %bb.318:
	v_and_b32_e32 v7, -8, v6
	s_mov_b32 s12, 0
	s_mov_b64 s[10:11], 0
	v_mov_b32_e32 v192, 0
	s_mov_b32 s13, 0
.LBB60_319:                             ; =>This Inner Loop Header: Depth=1
	v_readfirstlane_b32 s14, v192
	s_add_i32 s14, s14, s12
	s_add_i32 s15, s14, 0x250
	v_mov_b32_e32 v49, s12
	ds_read_b128 v[194:197], v49 offset:1568
	ds_read_b128 v[198:201], v49 offset:1584
	;; [unrolled: 1-line block ×4, first 2 shown]
	scratch_load_dwordx4 v[210:213], off, s15
	s_add_i32 s15, s14, 0x260
	s_addk_i32 s12, 0x80
	s_waitcnt vmcnt(0) lgkmcnt(3)
	v_mul_f64 v[10:11], v[196:197], v[212:213]
	v_mul_f64 v[52:53], v[194:195], v[212:213]
	v_fma_f64 v[10:11], v[194:195], v[210:211], -v[10:11]
	v_fmac_f64_e32 v[52:53], v[196:197], v[210:211]
	v_add_f64 v[10:11], v[2:3], v[10:11]
	v_add_f64 v[52:53], v[4:5], v[52:53]
	scratch_load_dwordx4 v[2:5], off, s15
	s_add_i32 s15, s14, 0x270
	s_waitcnt vmcnt(0) lgkmcnt(2)
	v_mul_f64 v[194:195], v[200:201], v[4:5]
	v_mul_f64 v[4:5], v[198:199], v[4:5]
	v_fmac_f64_e32 v[4:5], v[200:201], v[2:3]
	v_fma_f64 v[194:195], v[198:199], v[2:3], -v[194:195]
	v_add_f64 v[52:53], v[52:53], v[4:5]
	scratch_load_dwordx4 v[2:5], off, s15
	v_add_f64 v[10:11], v[10:11], v[194:195]
	s_add_i32 s15, s14, 0x280
	s_waitcnt vmcnt(0) lgkmcnt(1)
	v_mul_f64 v[194:195], v[204:205], v[4:5]
	v_mul_f64 v[4:5], v[202:203], v[4:5]
	v_fmac_f64_e32 v[4:5], v[204:205], v[2:3]
	v_fma_f64 v[194:195], v[202:203], v[2:3], -v[194:195]
	v_add_f64 v[52:53], v[52:53], v[4:5]
	scratch_load_dwordx4 v[2:5], off, s15
	v_add_f64 v[10:11], v[10:11], v[194:195]
	s_add_i32 s15, s14, 0x290
	s_waitcnt vmcnt(0) lgkmcnt(0)
	v_mul_f64 v[194:195], v[208:209], v[4:5]
	v_fma_f64 v[194:195], v[206:207], v[2:3], -v[194:195]
	v_add_f64 v[10:11], v[10:11], v[194:195]
	scratch_load_dwordx4 v[194:197], off, s15
	v_mul_f64 v[4:5], v[206:207], v[4:5]
	v_fmac_f64_e32 v[4:5], v[208:209], v[2:3]
	v_add_f64 v[52:53], v[52:53], v[4:5]
	ds_read_b128 v[2:5], v49 offset:1632
	s_add_i32 s15, s14, 0x2a0
	s_waitcnt vmcnt(0) lgkmcnt(0)
	v_mul_f64 v[198:199], v[4:5], v[196:197]
	v_fma_f64 v[198:199], v[2:3], v[194:195], -v[198:199]
	v_mul_f64 v[2:3], v[2:3], v[196:197]
	v_fmac_f64_e32 v[2:3], v[4:5], v[194:195]
	scratch_load_dwordx4 v[194:197], off, s15
	v_add_f64 v[52:53], v[52:53], v[2:3]
	ds_read_b128 v[2:5], v49 offset:1648
	v_add_f64 v[10:11], v[10:11], v[198:199]
	s_add_i32 s15, s14, 0x2b0
	s_addk_i32 s14, 0x2c0
	s_waitcnt vmcnt(0) lgkmcnt(0)
	v_mul_f64 v[198:199], v[4:5], v[196:197]
	v_fma_f64 v[198:199], v[2:3], v[194:195], -v[198:199]
	v_mul_f64 v[2:3], v[2:3], v[196:197]
	v_fmac_f64_e32 v[2:3], v[4:5], v[194:195]
	scratch_load_dwordx4 v[194:197], off, s15
	v_add_f64 v[52:53], v[52:53], v[2:3]
	ds_read_b128 v[2:5], v49 offset:1664
	v_add_f64 v[10:11], v[10:11], v[198:199]
	s_waitcnt vmcnt(0) lgkmcnt(0)
	v_mul_f64 v[198:199], v[4:5], v[196:197]
	v_fma_f64 v[198:199], v[2:3], v[194:195], -v[198:199]
	v_mul_f64 v[2:3], v[2:3], v[196:197]
	v_fmac_f64_e32 v[2:3], v[4:5], v[194:195]
	scratch_load_dwordx4 v[194:197], off, s14
	v_add_f64 v[52:53], v[52:53], v[2:3]
	ds_read_b128 v[2:5], v49 offset:1680
	v_add_f64 v[10:11], v[10:11], v[198:199]
	s_add_i32 s14, s13, 8
	v_cmp_eq_u32_e32 vcc, s14, v7
	s_add_i32 s13, s13, 45
	s_or_b64 s[10:11], vcc, s[10:11]
	v_mov_b32_e32 v193, s13
	s_mov_b32 s13, s14
	s_waitcnt vmcnt(0) lgkmcnt(0)
	v_mul_f64 v[198:199], v[4:5], v[196:197]
	v_mul_f64 v[196:197], v[2:3], v[196:197]
	v_fma_f64 v[198:199], v[2:3], v[194:195], -v[198:199]
	v_fmac_f64_e32 v[196:197], v[4:5], v[194:195]
	v_add_f64 v[2:3], v[10:11], v[198:199]
	v_add_f64 v[4:5], v[52:53], v[196:197]
	s_andn2_b64 exec, exec, s[10:11]
	s_cbranch_execnz .LBB60_319
; %bb.320:
	s_or_b64 exec, exec, s[10:11]
.LBB60_321:
	s_or_b64 exec, exec, s[2:3]
	v_and_b32_e32 v6, 7, v6
	v_cmp_ne_u32_e32 vcc, 0, v6
	s_and_saveexec_b64 s[2:3], vcc
	s_cbranch_execz .LBB60_325
; %bb.322:
	v_lshlrev_b32_e32 v10, 4, v193
	v_add_u32_e32 v7, 0x3d0, v10
	v_add_u32_e32 v192, 0, v10
	s_mov_b64 s[10:11], 0
.LBB60_323:                             ; =>This Inner Loop Header: Depth=1
	scratch_load_dwordx4 v[194:197], v192, off
	ds_read_b128 v[198:201], v7
	v_add_u32_e32 v6, -1, v6
	v_cmp_eq_u32_e32 vcc, 0, v6
	v_add_u32_e32 v7, 16, v7
	v_add_u32_e32 v192, 16, v192
	s_or_b64 s[10:11], vcc, s[10:11]
	s_waitcnt vmcnt(0) lgkmcnt(0)
	v_mul_f64 v[10:11], v[200:201], v[196:197]
	v_mul_f64 v[52:53], v[198:199], v[196:197]
	v_fma_f64 v[10:11], v[198:199], v[194:195], -v[10:11]
	v_fmac_f64_e32 v[52:53], v[200:201], v[194:195]
	v_add_f64 v[2:3], v[2:3], v[10:11]
	v_add_f64 v[4:5], v[4:5], v[52:53]
	s_andn2_b64 exec, exec, s[10:11]
	s_cbranch_execnz .LBB60_323
; %bb.324:
	s_or_b64 exec, exec, s[10:11]
.LBB60_325:
	s_or_b64 exec, exec, s[2:3]
.LBB60_326:
	s_or_b64 exec, exec, s[8:9]
	v_mov_b32_e32 v6, 0
	ds_read_b128 v[192:195], v6 offset:576
	s_waitcnt lgkmcnt(0)
	v_mul_f64 v[6:7], v[4:5], v[194:195]
	v_mul_f64 v[196:197], v[2:3], v[194:195]
	v_fma_f64 v[194:195], v[2:3], v[192:193], -v[6:7]
	v_fmac_f64_e32 v[196:197], v[4:5], v[192:193]
	scratch_store_dwordx4 off, v[194:197], off offset:576
.LBB60_327:
	s_or_b64 exec, exec, s[4:5]
	scratch_load_dwordx4 v[2:5], v157, off
	v_cmp_lt_u32_e64 s[2:3], 35, v0
	s_waitcnt vmcnt(0)
	ds_write_b128 v9, v[2:5]
	s_waitcnt lgkmcnt(0)
	; wave barrier
	s_waitcnt lgkmcnt(0)
	s_and_saveexec_b64 s[4:5], s[2:3]
	s_cbranch_execz .LBB60_341
; %bb.328:
	ds_read_b128 v[2:5], v9
	s_andn2_b64 vcc, exec, s[6:7]
	s_cbranch_vccnz .LBB60_330
; %bb.329:
	scratch_load_dwordx4 v[192:195], v8, off
	s_waitcnt vmcnt(0) lgkmcnt(0)
	v_mul_f64 v[10:11], v[2:3], v[194:195]
	v_mul_f64 v[6:7], v[4:5], v[194:195]
	v_fmac_f64_e32 v[10:11], v[4:5], v[192:193]
	v_fma_f64 v[2:3], v[2:3], v[192:193], -v[6:7]
	v_mov_b64_e32 v[4:5], v[10:11]
.LBB60_330:
	s_and_saveexec_b64 s[8:9], s[0:1]
	s_cbranch_execz .LBB60_340
; %bb.331:
	v_subrev_u32_e32 v7, 37, v0
	v_subrev_u32_e32 v6, 36, v0
	v_cmp_lt_u32_e32 vcc, 6, v7
	v_mov_b32_e32 v193, 36
	s_and_saveexec_b64 s[0:1], vcc
	s_cbranch_execz .LBB60_335
; %bb.332:
	v_and_b32_e32 v7, -8, v6
	s_mov_b32 s12, 0
	s_mov_b64 s[10:11], 0
	v_mov_b32_e32 v192, 0
	s_mov_b32 s13, 0
.LBB60_333:                             ; =>This Inner Loop Header: Depth=1
	v_readfirstlane_b32 s14, v192
	s_add_i32 s14, s14, s12
	s_add_i32 s15, s14, 0x240
	v_mov_b32_e32 v49, s12
	ds_read_b128 v[194:197], v49 offset:1552
	ds_read_b128 v[198:201], v49 offset:1568
	;; [unrolled: 1-line block ×4, first 2 shown]
	scratch_load_dwordx4 v[210:213], off, s15
	s_add_i32 s15, s14, 0x250
	s_addk_i32 s12, 0x80
	s_waitcnt vmcnt(0) lgkmcnt(3)
	v_mul_f64 v[10:11], v[196:197], v[212:213]
	v_mul_f64 v[52:53], v[194:195], v[212:213]
	v_fma_f64 v[10:11], v[194:195], v[210:211], -v[10:11]
	v_fmac_f64_e32 v[52:53], v[196:197], v[210:211]
	v_add_f64 v[10:11], v[2:3], v[10:11]
	v_add_f64 v[52:53], v[4:5], v[52:53]
	scratch_load_dwordx4 v[2:5], off, s15
	s_add_i32 s15, s14, 0x260
	s_waitcnt vmcnt(0) lgkmcnt(2)
	v_mul_f64 v[194:195], v[200:201], v[4:5]
	v_mul_f64 v[4:5], v[198:199], v[4:5]
	v_fmac_f64_e32 v[4:5], v[200:201], v[2:3]
	v_fma_f64 v[194:195], v[198:199], v[2:3], -v[194:195]
	v_add_f64 v[52:53], v[52:53], v[4:5]
	scratch_load_dwordx4 v[2:5], off, s15
	v_add_f64 v[10:11], v[10:11], v[194:195]
	s_add_i32 s15, s14, 0x270
	s_waitcnt vmcnt(0) lgkmcnt(1)
	v_mul_f64 v[194:195], v[204:205], v[4:5]
	v_mul_f64 v[4:5], v[202:203], v[4:5]
	v_fmac_f64_e32 v[4:5], v[204:205], v[2:3]
	v_fma_f64 v[194:195], v[202:203], v[2:3], -v[194:195]
	v_add_f64 v[52:53], v[52:53], v[4:5]
	scratch_load_dwordx4 v[2:5], off, s15
	v_add_f64 v[10:11], v[10:11], v[194:195]
	s_add_i32 s15, s14, 0x280
	s_waitcnt vmcnt(0) lgkmcnt(0)
	v_mul_f64 v[194:195], v[208:209], v[4:5]
	v_fma_f64 v[194:195], v[206:207], v[2:3], -v[194:195]
	v_add_f64 v[10:11], v[10:11], v[194:195]
	scratch_load_dwordx4 v[194:197], off, s15
	v_mul_f64 v[4:5], v[206:207], v[4:5]
	v_fmac_f64_e32 v[4:5], v[208:209], v[2:3]
	v_add_f64 v[52:53], v[52:53], v[4:5]
	ds_read_b128 v[2:5], v49 offset:1616
	s_add_i32 s15, s14, 0x290
	s_waitcnt vmcnt(0) lgkmcnt(0)
	v_mul_f64 v[198:199], v[4:5], v[196:197]
	v_fma_f64 v[198:199], v[2:3], v[194:195], -v[198:199]
	v_mul_f64 v[2:3], v[2:3], v[196:197]
	v_fmac_f64_e32 v[2:3], v[4:5], v[194:195]
	scratch_load_dwordx4 v[194:197], off, s15
	v_add_f64 v[52:53], v[52:53], v[2:3]
	ds_read_b128 v[2:5], v49 offset:1632
	v_add_f64 v[10:11], v[10:11], v[198:199]
	s_add_i32 s15, s14, 0x2a0
	s_addk_i32 s14, 0x2b0
	s_waitcnt vmcnt(0) lgkmcnt(0)
	v_mul_f64 v[198:199], v[4:5], v[196:197]
	v_fma_f64 v[198:199], v[2:3], v[194:195], -v[198:199]
	v_mul_f64 v[2:3], v[2:3], v[196:197]
	v_fmac_f64_e32 v[2:3], v[4:5], v[194:195]
	scratch_load_dwordx4 v[194:197], off, s15
	v_add_f64 v[52:53], v[52:53], v[2:3]
	ds_read_b128 v[2:5], v49 offset:1648
	v_add_f64 v[10:11], v[10:11], v[198:199]
	s_waitcnt vmcnt(0) lgkmcnt(0)
	v_mul_f64 v[198:199], v[4:5], v[196:197]
	v_fma_f64 v[198:199], v[2:3], v[194:195], -v[198:199]
	v_mul_f64 v[2:3], v[2:3], v[196:197]
	v_fmac_f64_e32 v[2:3], v[4:5], v[194:195]
	scratch_load_dwordx4 v[194:197], off, s14
	v_add_f64 v[52:53], v[52:53], v[2:3]
	ds_read_b128 v[2:5], v49 offset:1664
	v_add_f64 v[10:11], v[10:11], v[198:199]
	s_add_i32 s14, s13, 8
	v_cmp_eq_u32_e32 vcc, s14, v7
	s_add_i32 s13, s13, 44
	s_or_b64 s[10:11], vcc, s[10:11]
	v_mov_b32_e32 v193, s13
	s_mov_b32 s13, s14
	s_waitcnt vmcnt(0) lgkmcnt(0)
	v_mul_f64 v[198:199], v[4:5], v[196:197]
	v_mul_f64 v[196:197], v[2:3], v[196:197]
	v_fma_f64 v[198:199], v[2:3], v[194:195], -v[198:199]
	v_fmac_f64_e32 v[196:197], v[4:5], v[194:195]
	v_add_f64 v[2:3], v[10:11], v[198:199]
	v_add_f64 v[4:5], v[52:53], v[196:197]
	s_andn2_b64 exec, exec, s[10:11]
	s_cbranch_execnz .LBB60_333
; %bb.334:
	s_or_b64 exec, exec, s[10:11]
.LBB60_335:
	s_or_b64 exec, exec, s[0:1]
	v_and_b32_e32 v6, 7, v6
	v_cmp_ne_u32_e32 vcc, 0, v6
	s_and_saveexec_b64 s[0:1], vcc
	s_cbranch_execz .LBB60_339
; %bb.336:
	v_lshlrev_b32_e32 v10, 4, v193
	v_add_u32_e32 v7, 0x3d0, v10
	v_add_u32_e32 v192, 0, v10
	s_mov_b64 s[10:11], 0
.LBB60_337:                             ; =>This Inner Loop Header: Depth=1
	scratch_load_dwordx4 v[194:197], v192, off
	ds_read_b128 v[198:201], v7
	v_add_u32_e32 v6, -1, v6
	v_cmp_eq_u32_e32 vcc, 0, v6
	v_add_u32_e32 v7, 16, v7
	v_add_u32_e32 v192, 16, v192
	s_or_b64 s[10:11], vcc, s[10:11]
	s_waitcnt vmcnt(0) lgkmcnt(0)
	v_mul_f64 v[10:11], v[200:201], v[196:197]
	v_mul_f64 v[52:53], v[198:199], v[196:197]
	v_fma_f64 v[10:11], v[198:199], v[194:195], -v[10:11]
	v_fmac_f64_e32 v[52:53], v[200:201], v[194:195]
	v_add_f64 v[2:3], v[2:3], v[10:11]
	v_add_f64 v[4:5], v[4:5], v[52:53]
	s_andn2_b64 exec, exec, s[10:11]
	s_cbranch_execnz .LBB60_337
; %bb.338:
	s_or_b64 exec, exec, s[10:11]
.LBB60_339:
	s_or_b64 exec, exec, s[0:1]
.LBB60_340:
	s_or_b64 exec, exec, s[8:9]
	v_mov_b32_e32 v6, 0
	ds_read_b128 v[192:195], v6 offset:560
	s_waitcnt lgkmcnt(0)
	v_mul_f64 v[6:7], v[4:5], v[194:195]
	v_mul_f64 v[196:197], v[2:3], v[194:195]
	v_fma_f64 v[194:195], v[2:3], v[192:193], -v[6:7]
	v_fmac_f64_e32 v[196:197], v[4:5], v[192:193]
	scratch_store_dwordx4 off, v[194:197], off offset:560
.LBB60_341:
	s_or_b64 exec, exec, s[4:5]
	scratch_load_dwordx4 v[2:5], v158, off
	v_cmp_lt_u32_e64 s[0:1], 34, v0
	s_waitcnt vmcnt(0)
	ds_write_b128 v9, v[2:5]
	s_waitcnt lgkmcnt(0)
	; wave barrier
	s_waitcnt lgkmcnt(0)
	s_and_saveexec_b64 s[4:5], s[0:1]
	s_cbranch_execz .LBB60_355
; %bb.342:
	ds_read_b128 v[2:5], v9
	s_andn2_b64 vcc, exec, s[6:7]
	s_cbranch_vccnz .LBB60_344
; %bb.343:
	scratch_load_dwordx4 v[192:195], v8, off
	s_waitcnt vmcnt(0) lgkmcnt(0)
	v_mul_f64 v[10:11], v[2:3], v[194:195]
	v_mul_f64 v[6:7], v[4:5], v[194:195]
	v_fmac_f64_e32 v[10:11], v[4:5], v[192:193]
	v_fma_f64 v[2:3], v[2:3], v[192:193], -v[6:7]
	v_mov_b64_e32 v[4:5], v[10:11]
.LBB60_344:
	s_and_saveexec_b64 s[8:9], s[2:3]
	s_cbranch_execz .LBB60_354
; %bb.345:
	v_subrev_u32_e32 v7, 36, v0
	v_subrev_u32_e32 v6, 35, v0
	v_cmp_lt_u32_e32 vcc, 6, v7
	v_mov_b32_e32 v193, 35
	s_and_saveexec_b64 s[2:3], vcc
	s_cbranch_execz .LBB60_349
; %bb.346:
	v_and_b32_e32 v7, -8, v6
	s_mov_b32 s12, 0
	s_mov_b64 s[10:11], 0
	v_mov_b32_e32 v192, 0
	s_mov_b32 s13, 0
.LBB60_347:                             ; =>This Inner Loop Header: Depth=1
	v_readfirstlane_b32 s14, v192
	s_add_i32 s14, s14, s12
	s_add_i32 s15, s14, 0x230
	v_mov_b32_e32 v49, s12
	ds_read_b128 v[194:197], v49 offset:1536
	ds_read_b128 v[198:201], v49 offset:1552
	;; [unrolled: 1-line block ×4, first 2 shown]
	scratch_load_dwordx4 v[210:213], off, s15
	s_add_i32 s15, s14, 0x240
	s_addk_i32 s12, 0x80
	s_waitcnt vmcnt(0) lgkmcnt(3)
	v_mul_f64 v[10:11], v[196:197], v[212:213]
	v_mul_f64 v[52:53], v[194:195], v[212:213]
	v_fma_f64 v[10:11], v[194:195], v[210:211], -v[10:11]
	v_fmac_f64_e32 v[52:53], v[196:197], v[210:211]
	v_add_f64 v[10:11], v[2:3], v[10:11]
	v_add_f64 v[52:53], v[4:5], v[52:53]
	scratch_load_dwordx4 v[2:5], off, s15
	s_add_i32 s15, s14, 0x250
	s_waitcnt vmcnt(0) lgkmcnt(2)
	v_mul_f64 v[194:195], v[200:201], v[4:5]
	v_mul_f64 v[4:5], v[198:199], v[4:5]
	v_fmac_f64_e32 v[4:5], v[200:201], v[2:3]
	v_fma_f64 v[194:195], v[198:199], v[2:3], -v[194:195]
	v_add_f64 v[52:53], v[52:53], v[4:5]
	scratch_load_dwordx4 v[2:5], off, s15
	v_add_f64 v[10:11], v[10:11], v[194:195]
	s_add_i32 s15, s14, 0x260
	s_waitcnt vmcnt(0) lgkmcnt(1)
	v_mul_f64 v[194:195], v[204:205], v[4:5]
	v_mul_f64 v[4:5], v[202:203], v[4:5]
	v_fmac_f64_e32 v[4:5], v[204:205], v[2:3]
	v_fma_f64 v[194:195], v[202:203], v[2:3], -v[194:195]
	v_add_f64 v[52:53], v[52:53], v[4:5]
	scratch_load_dwordx4 v[2:5], off, s15
	v_add_f64 v[10:11], v[10:11], v[194:195]
	s_add_i32 s15, s14, 0x270
	s_waitcnt vmcnt(0) lgkmcnt(0)
	v_mul_f64 v[194:195], v[208:209], v[4:5]
	v_fma_f64 v[194:195], v[206:207], v[2:3], -v[194:195]
	v_add_f64 v[10:11], v[10:11], v[194:195]
	scratch_load_dwordx4 v[194:197], off, s15
	v_mul_f64 v[4:5], v[206:207], v[4:5]
	v_fmac_f64_e32 v[4:5], v[208:209], v[2:3]
	v_add_f64 v[52:53], v[52:53], v[4:5]
	ds_read_b128 v[2:5], v49 offset:1600
	s_add_i32 s15, s14, 0x280
	s_waitcnt vmcnt(0) lgkmcnt(0)
	v_mul_f64 v[198:199], v[4:5], v[196:197]
	v_fma_f64 v[198:199], v[2:3], v[194:195], -v[198:199]
	v_mul_f64 v[2:3], v[2:3], v[196:197]
	v_fmac_f64_e32 v[2:3], v[4:5], v[194:195]
	scratch_load_dwordx4 v[194:197], off, s15
	v_add_f64 v[52:53], v[52:53], v[2:3]
	ds_read_b128 v[2:5], v49 offset:1616
	v_add_f64 v[10:11], v[10:11], v[198:199]
	s_add_i32 s15, s14, 0x290
	s_addk_i32 s14, 0x2a0
	s_waitcnt vmcnt(0) lgkmcnt(0)
	v_mul_f64 v[198:199], v[4:5], v[196:197]
	v_fma_f64 v[198:199], v[2:3], v[194:195], -v[198:199]
	v_mul_f64 v[2:3], v[2:3], v[196:197]
	v_fmac_f64_e32 v[2:3], v[4:5], v[194:195]
	scratch_load_dwordx4 v[194:197], off, s15
	v_add_f64 v[52:53], v[52:53], v[2:3]
	ds_read_b128 v[2:5], v49 offset:1632
	v_add_f64 v[10:11], v[10:11], v[198:199]
	s_waitcnt vmcnt(0) lgkmcnt(0)
	v_mul_f64 v[198:199], v[4:5], v[196:197]
	v_fma_f64 v[198:199], v[2:3], v[194:195], -v[198:199]
	v_mul_f64 v[2:3], v[2:3], v[196:197]
	v_fmac_f64_e32 v[2:3], v[4:5], v[194:195]
	scratch_load_dwordx4 v[194:197], off, s14
	v_add_f64 v[52:53], v[52:53], v[2:3]
	ds_read_b128 v[2:5], v49 offset:1648
	v_add_f64 v[10:11], v[10:11], v[198:199]
	s_add_i32 s14, s13, 8
	v_cmp_eq_u32_e32 vcc, s14, v7
	s_add_i32 s13, s13, 43
	s_or_b64 s[10:11], vcc, s[10:11]
	v_mov_b32_e32 v193, s13
	s_mov_b32 s13, s14
	s_waitcnt vmcnt(0) lgkmcnt(0)
	v_mul_f64 v[198:199], v[4:5], v[196:197]
	v_mul_f64 v[196:197], v[2:3], v[196:197]
	v_fma_f64 v[198:199], v[2:3], v[194:195], -v[198:199]
	v_fmac_f64_e32 v[196:197], v[4:5], v[194:195]
	v_add_f64 v[2:3], v[10:11], v[198:199]
	v_add_f64 v[4:5], v[52:53], v[196:197]
	s_andn2_b64 exec, exec, s[10:11]
	s_cbranch_execnz .LBB60_347
; %bb.348:
	s_or_b64 exec, exec, s[10:11]
.LBB60_349:
	s_or_b64 exec, exec, s[2:3]
	v_and_b32_e32 v6, 7, v6
	v_cmp_ne_u32_e32 vcc, 0, v6
	s_and_saveexec_b64 s[2:3], vcc
	s_cbranch_execz .LBB60_353
; %bb.350:
	v_lshlrev_b32_e32 v10, 4, v193
	v_add_u32_e32 v7, 0x3d0, v10
	v_add_u32_e32 v192, 0, v10
	s_mov_b64 s[10:11], 0
.LBB60_351:                             ; =>This Inner Loop Header: Depth=1
	scratch_load_dwordx4 v[194:197], v192, off
	ds_read_b128 v[198:201], v7
	v_add_u32_e32 v6, -1, v6
	v_cmp_eq_u32_e32 vcc, 0, v6
	v_add_u32_e32 v7, 16, v7
	v_add_u32_e32 v192, 16, v192
	s_or_b64 s[10:11], vcc, s[10:11]
	s_waitcnt vmcnt(0) lgkmcnt(0)
	v_mul_f64 v[10:11], v[200:201], v[196:197]
	v_mul_f64 v[52:53], v[198:199], v[196:197]
	v_fma_f64 v[10:11], v[198:199], v[194:195], -v[10:11]
	v_fmac_f64_e32 v[52:53], v[200:201], v[194:195]
	v_add_f64 v[2:3], v[2:3], v[10:11]
	v_add_f64 v[4:5], v[4:5], v[52:53]
	s_andn2_b64 exec, exec, s[10:11]
	s_cbranch_execnz .LBB60_351
; %bb.352:
	s_or_b64 exec, exec, s[10:11]
.LBB60_353:
	s_or_b64 exec, exec, s[2:3]
.LBB60_354:
	s_or_b64 exec, exec, s[8:9]
	v_mov_b32_e32 v6, 0
	ds_read_b128 v[192:195], v6 offset:544
	s_waitcnt lgkmcnt(0)
	v_mul_f64 v[6:7], v[4:5], v[194:195]
	v_mul_f64 v[196:197], v[2:3], v[194:195]
	v_fma_f64 v[194:195], v[2:3], v[192:193], -v[6:7]
	v_fmac_f64_e32 v[196:197], v[4:5], v[192:193]
	scratch_store_dwordx4 off, v[194:197], off offset:544
.LBB60_355:
	s_or_b64 exec, exec, s[4:5]
	scratch_load_dwordx4 v[2:5], v159, off
	v_cmp_lt_u32_e64 s[2:3], 33, v0
	s_waitcnt vmcnt(0)
	ds_write_b128 v9, v[2:5]
	s_waitcnt lgkmcnt(0)
	; wave barrier
	s_waitcnt lgkmcnt(0)
	s_and_saveexec_b64 s[4:5], s[2:3]
	s_cbranch_execz .LBB60_369
; %bb.356:
	ds_read_b128 v[2:5], v9
	s_andn2_b64 vcc, exec, s[6:7]
	s_cbranch_vccnz .LBB60_358
; %bb.357:
	scratch_load_dwordx4 v[192:195], v8, off
	s_waitcnt vmcnt(0) lgkmcnt(0)
	v_mul_f64 v[10:11], v[2:3], v[194:195]
	v_mul_f64 v[6:7], v[4:5], v[194:195]
	v_fmac_f64_e32 v[10:11], v[4:5], v[192:193]
	v_fma_f64 v[2:3], v[2:3], v[192:193], -v[6:7]
	v_mov_b64_e32 v[4:5], v[10:11]
.LBB60_358:
	s_and_saveexec_b64 s[8:9], s[0:1]
	s_cbranch_execz .LBB60_368
; %bb.359:
	v_subrev_u32_e32 v7, 35, v0
	v_subrev_u32_e32 v6, 34, v0
	v_cmp_lt_u32_e32 vcc, 6, v7
	v_mov_b32_e32 v193, 34
	s_and_saveexec_b64 s[0:1], vcc
	s_cbranch_execz .LBB60_363
; %bb.360:
	v_and_b32_e32 v7, -8, v6
	s_mov_b32 s12, 0
	s_mov_b64 s[10:11], 0
	v_mov_b32_e32 v192, 0
	s_mov_b32 s13, 0
.LBB60_361:                             ; =>This Inner Loop Header: Depth=1
	v_readfirstlane_b32 s14, v192
	s_add_i32 s14, s14, s12
	s_add_i32 s15, s14, 0x220
	v_mov_b32_e32 v49, s12
	ds_read_b128 v[194:197], v49 offset:1520
	ds_read_b128 v[198:201], v49 offset:1536
	;; [unrolled: 1-line block ×4, first 2 shown]
	scratch_load_dwordx4 v[210:213], off, s15
	s_add_i32 s15, s14, 0x230
	s_addk_i32 s12, 0x80
	s_waitcnt vmcnt(0) lgkmcnt(3)
	v_mul_f64 v[10:11], v[196:197], v[212:213]
	v_mul_f64 v[52:53], v[194:195], v[212:213]
	v_fma_f64 v[10:11], v[194:195], v[210:211], -v[10:11]
	v_fmac_f64_e32 v[52:53], v[196:197], v[210:211]
	v_add_f64 v[10:11], v[2:3], v[10:11]
	v_add_f64 v[52:53], v[4:5], v[52:53]
	scratch_load_dwordx4 v[2:5], off, s15
	s_add_i32 s15, s14, 0x240
	s_waitcnt vmcnt(0) lgkmcnt(2)
	v_mul_f64 v[194:195], v[200:201], v[4:5]
	v_mul_f64 v[4:5], v[198:199], v[4:5]
	v_fmac_f64_e32 v[4:5], v[200:201], v[2:3]
	v_fma_f64 v[194:195], v[198:199], v[2:3], -v[194:195]
	v_add_f64 v[52:53], v[52:53], v[4:5]
	scratch_load_dwordx4 v[2:5], off, s15
	v_add_f64 v[10:11], v[10:11], v[194:195]
	s_add_i32 s15, s14, 0x250
	s_waitcnt vmcnt(0) lgkmcnt(1)
	v_mul_f64 v[194:195], v[204:205], v[4:5]
	v_mul_f64 v[4:5], v[202:203], v[4:5]
	v_fmac_f64_e32 v[4:5], v[204:205], v[2:3]
	v_fma_f64 v[194:195], v[202:203], v[2:3], -v[194:195]
	v_add_f64 v[52:53], v[52:53], v[4:5]
	scratch_load_dwordx4 v[2:5], off, s15
	v_add_f64 v[10:11], v[10:11], v[194:195]
	s_add_i32 s15, s14, 0x260
	s_waitcnt vmcnt(0) lgkmcnt(0)
	v_mul_f64 v[194:195], v[208:209], v[4:5]
	v_fma_f64 v[194:195], v[206:207], v[2:3], -v[194:195]
	v_add_f64 v[10:11], v[10:11], v[194:195]
	scratch_load_dwordx4 v[194:197], off, s15
	v_mul_f64 v[4:5], v[206:207], v[4:5]
	v_fmac_f64_e32 v[4:5], v[208:209], v[2:3]
	v_add_f64 v[52:53], v[52:53], v[4:5]
	ds_read_b128 v[2:5], v49 offset:1584
	s_add_i32 s15, s14, 0x270
	s_waitcnt vmcnt(0) lgkmcnt(0)
	v_mul_f64 v[198:199], v[4:5], v[196:197]
	v_fma_f64 v[198:199], v[2:3], v[194:195], -v[198:199]
	v_mul_f64 v[2:3], v[2:3], v[196:197]
	v_fmac_f64_e32 v[2:3], v[4:5], v[194:195]
	scratch_load_dwordx4 v[194:197], off, s15
	v_add_f64 v[52:53], v[52:53], v[2:3]
	ds_read_b128 v[2:5], v49 offset:1600
	v_add_f64 v[10:11], v[10:11], v[198:199]
	s_add_i32 s15, s14, 0x280
	s_addk_i32 s14, 0x290
	s_waitcnt vmcnt(0) lgkmcnt(0)
	v_mul_f64 v[198:199], v[4:5], v[196:197]
	v_fma_f64 v[198:199], v[2:3], v[194:195], -v[198:199]
	v_mul_f64 v[2:3], v[2:3], v[196:197]
	v_fmac_f64_e32 v[2:3], v[4:5], v[194:195]
	scratch_load_dwordx4 v[194:197], off, s15
	v_add_f64 v[52:53], v[52:53], v[2:3]
	ds_read_b128 v[2:5], v49 offset:1616
	v_add_f64 v[10:11], v[10:11], v[198:199]
	s_waitcnt vmcnt(0) lgkmcnt(0)
	v_mul_f64 v[198:199], v[4:5], v[196:197]
	v_fma_f64 v[198:199], v[2:3], v[194:195], -v[198:199]
	v_mul_f64 v[2:3], v[2:3], v[196:197]
	v_fmac_f64_e32 v[2:3], v[4:5], v[194:195]
	scratch_load_dwordx4 v[194:197], off, s14
	v_add_f64 v[52:53], v[52:53], v[2:3]
	ds_read_b128 v[2:5], v49 offset:1632
	v_add_f64 v[10:11], v[10:11], v[198:199]
	s_add_i32 s14, s13, 8
	v_cmp_eq_u32_e32 vcc, s14, v7
	s_add_i32 s13, s13, 42
	s_or_b64 s[10:11], vcc, s[10:11]
	v_mov_b32_e32 v193, s13
	s_mov_b32 s13, s14
	s_waitcnt vmcnt(0) lgkmcnt(0)
	v_mul_f64 v[198:199], v[4:5], v[196:197]
	v_mul_f64 v[196:197], v[2:3], v[196:197]
	v_fma_f64 v[198:199], v[2:3], v[194:195], -v[198:199]
	v_fmac_f64_e32 v[196:197], v[4:5], v[194:195]
	v_add_f64 v[2:3], v[10:11], v[198:199]
	v_add_f64 v[4:5], v[52:53], v[196:197]
	s_andn2_b64 exec, exec, s[10:11]
	s_cbranch_execnz .LBB60_361
; %bb.362:
	s_or_b64 exec, exec, s[10:11]
.LBB60_363:
	s_or_b64 exec, exec, s[0:1]
	v_and_b32_e32 v6, 7, v6
	v_cmp_ne_u32_e32 vcc, 0, v6
	s_and_saveexec_b64 s[0:1], vcc
	s_cbranch_execz .LBB60_367
; %bb.364:
	v_lshlrev_b32_e32 v10, 4, v193
	v_add_u32_e32 v7, 0x3d0, v10
	v_add_u32_e32 v192, 0, v10
	s_mov_b64 s[10:11], 0
.LBB60_365:                             ; =>This Inner Loop Header: Depth=1
	scratch_load_dwordx4 v[194:197], v192, off
	ds_read_b128 v[198:201], v7
	v_add_u32_e32 v6, -1, v6
	v_cmp_eq_u32_e32 vcc, 0, v6
	v_add_u32_e32 v7, 16, v7
	v_add_u32_e32 v192, 16, v192
	s_or_b64 s[10:11], vcc, s[10:11]
	s_waitcnt vmcnt(0) lgkmcnt(0)
	v_mul_f64 v[10:11], v[200:201], v[196:197]
	v_mul_f64 v[52:53], v[198:199], v[196:197]
	v_fma_f64 v[10:11], v[198:199], v[194:195], -v[10:11]
	v_fmac_f64_e32 v[52:53], v[200:201], v[194:195]
	v_add_f64 v[2:3], v[2:3], v[10:11]
	v_add_f64 v[4:5], v[4:5], v[52:53]
	s_andn2_b64 exec, exec, s[10:11]
	s_cbranch_execnz .LBB60_365
; %bb.366:
	s_or_b64 exec, exec, s[10:11]
.LBB60_367:
	s_or_b64 exec, exec, s[0:1]
.LBB60_368:
	s_or_b64 exec, exec, s[8:9]
	v_mov_b32_e32 v6, 0
	ds_read_b128 v[192:195], v6 offset:528
	s_waitcnt lgkmcnt(0)
	v_mul_f64 v[6:7], v[4:5], v[194:195]
	v_mul_f64 v[196:197], v[2:3], v[194:195]
	v_fma_f64 v[194:195], v[2:3], v[192:193], -v[6:7]
	v_fmac_f64_e32 v[196:197], v[4:5], v[192:193]
	scratch_store_dwordx4 off, v[194:197], off offset:528
.LBB60_369:
	s_or_b64 exec, exec, s[4:5]
	scratch_load_dwordx4 v[2:5], v160, off
	v_cmp_lt_u32_e64 s[0:1], 32, v0
	s_waitcnt vmcnt(0)
	ds_write_b128 v9, v[2:5]
	s_waitcnt lgkmcnt(0)
	; wave barrier
	s_waitcnt lgkmcnt(0)
	s_and_saveexec_b64 s[4:5], s[0:1]
	s_cbranch_execz .LBB60_383
; %bb.370:
	ds_read_b128 v[2:5], v9
	s_andn2_b64 vcc, exec, s[6:7]
	s_cbranch_vccnz .LBB60_372
; %bb.371:
	scratch_load_dwordx4 v[192:195], v8, off
	s_waitcnt vmcnt(0) lgkmcnt(0)
	v_mul_f64 v[10:11], v[2:3], v[194:195]
	v_mul_f64 v[6:7], v[4:5], v[194:195]
	v_fmac_f64_e32 v[10:11], v[4:5], v[192:193]
	v_fma_f64 v[2:3], v[2:3], v[192:193], -v[6:7]
	v_mov_b64_e32 v[4:5], v[10:11]
.LBB60_372:
	s_and_saveexec_b64 s[8:9], s[2:3]
	s_cbranch_execz .LBB60_382
; %bb.373:
	v_subrev_u32_e32 v7, 34, v0
	v_subrev_u32_e32 v6, 33, v0
	v_cmp_lt_u32_e32 vcc, 6, v7
	v_mov_b32_e32 v193, 33
	s_and_saveexec_b64 s[2:3], vcc
	s_cbranch_execz .LBB60_377
; %bb.374:
	v_and_b32_e32 v7, -8, v6
	s_mov_b32 s12, 0
	s_mov_b64 s[10:11], 0
	v_mov_b32_e32 v192, 0
	s_mov_b32 s13, 0
.LBB60_375:                             ; =>This Inner Loop Header: Depth=1
	v_readfirstlane_b32 s14, v192
	s_add_i32 s14, s14, s12
	s_add_i32 s15, s14, 0x210
	v_mov_b32_e32 v49, s12
	ds_read_b128 v[194:197], v49 offset:1504
	ds_read_b128 v[198:201], v49 offset:1520
	;; [unrolled: 1-line block ×4, first 2 shown]
	scratch_load_dwordx4 v[210:213], off, s15
	s_add_i32 s15, s14, 0x220
	s_addk_i32 s12, 0x80
	s_waitcnt vmcnt(0) lgkmcnt(3)
	v_mul_f64 v[10:11], v[196:197], v[212:213]
	v_mul_f64 v[52:53], v[194:195], v[212:213]
	v_fma_f64 v[10:11], v[194:195], v[210:211], -v[10:11]
	v_fmac_f64_e32 v[52:53], v[196:197], v[210:211]
	v_add_f64 v[10:11], v[2:3], v[10:11]
	v_add_f64 v[52:53], v[4:5], v[52:53]
	scratch_load_dwordx4 v[2:5], off, s15
	s_add_i32 s15, s14, 0x230
	s_waitcnt vmcnt(0) lgkmcnt(2)
	v_mul_f64 v[194:195], v[200:201], v[4:5]
	v_mul_f64 v[4:5], v[198:199], v[4:5]
	v_fmac_f64_e32 v[4:5], v[200:201], v[2:3]
	v_fma_f64 v[194:195], v[198:199], v[2:3], -v[194:195]
	v_add_f64 v[52:53], v[52:53], v[4:5]
	scratch_load_dwordx4 v[2:5], off, s15
	v_add_f64 v[10:11], v[10:11], v[194:195]
	s_add_i32 s15, s14, 0x240
	s_waitcnt vmcnt(0) lgkmcnt(1)
	v_mul_f64 v[194:195], v[204:205], v[4:5]
	v_mul_f64 v[4:5], v[202:203], v[4:5]
	v_fmac_f64_e32 v[4:5], v[204:205], v[2:3]
	v_fma_f64 v[194:195], v[202:203], v[2:3], -v[194:195]
	v_add_f64 v[52:53], v[52:53], v[4:5]
	scratch_load_dwordx4 v[2:5], off, s15
	v_add_f64 v[10:11], v[10:11], v[194:195]
	s_add_i32 s15, s14, 0x250
	s_waitcnt vmcnt(0) lgkmcnt(0)
	v_mul_f64 v[194:195], v[208:209], v[4:5]
	v_fma_f64 v[194:195], v[206:207], v[2:3], -v[194:195]
	v_add_f64 v[10:11], v[10:11], v[194:195]
	scratch_load_dwordx4 v[194:197], off, s15
	v_mul_f64 v[4:5], v[206:207], v[4:5]
	v_fmac_f64_e32 v[4:5], v[208:209], v[2:3]
	v_add_f64 v[52:53], v[52:53], v[4:5]
	ds_read_b128 v[2:5], v49 offset:1568
	s_add_i32 s15, s14, 0x260
	s_waitcnt vmcnt(0) lgkmcnt(0)
	v_mul_f64 v[198:199], v[4:5], v[196:197]
	v_fma_f64 v[198:199], v[2:3], v[194:195], -v[198:199]
	v_mul_f64 v[2:3], v[2:3], v[196:197]
	v_fmac_f64_e32 v[2:3], v[4:5], v[194:195]
	scratch_load_dwordx4 v[194:197], off, s15
	v_add_f64 v[52:53], v[52:53], v[2:3]
	ds_read_b128 v[2:5], v49 offset:1584
	v_add_f64 v[10:11], v[10:11], v[198:199]
	s_add_i32 s15, s14, 0x270
	s_addk_i32 s14, 0x280
	s_waitcnt vmcnt(0) lgkmcnt(0)
	v_mul_f64 v[198:199], v[4:5], v[196:197]
	v_fma_f64 v[198:199], v[2:3], v[194:195], -v[198:199]
	v_mul_f64 v[2:3], v[2:3], v[196:197]
	v_fmac_f64_e32 v[2:3], v[4:5], v[194:195]
	scratch_load_dwordx4 v[194:197], off, s15
	v_add_f64 v[52:53], v[52:53], v[2:3]
	ds_read_b128 v[2:5], v49 offset:1600
	v_add_f64 v[10:11], v[10:11], v[198:199]
	s_waitcnt vmcnt(0) lgkmcnt(0)
	v_mul_f64 v[198:199], v[4:5], v[196:197]
	v_fma_f64 v[198:199], v[2:3], v[194:195], -v[198:199]
	v_mul_f64 v[2:3], v[2:3], v[196:197]
	v_fmac_f64_e32 v[2:3], v[4:5], v[194:195]
	scratch_load_dwordx4 v[194:197], off, s14
	v_add_f64 v[52:53], v[52:53], v[2:3]
	ds_read_b128 v[2:5], v49 offset:1616
	v_add_f64 v[10:11], v[10:11], v[198:199]
	s_add_i32 s14, s13, 8
	v_cmp_eq_u32_e32 vcc, s14, v7
	s_add_i32 s13, s13, 41
	s_or_b64 s[10:11], vcc, s[10:11]
	v_mov_b32_e32 v193, s13
	s_mov_b32 s13, s14
	s_waitcnt vmcnt(0) lgkmcnt(0)
	v_mul_f64 v[198:199], v[4:5], v[196:197]
	v_mul_f64 v[196:197], v[2:3], v[196:197]
	v_fma_f64 v[198:199], v[2:3], v[194:195], -v[198:199]
	v_fmac_f64_e32 v[196:197], v[4:5], v[194:195]
	v_add_f64 v[2:3], v[10:11], v[198:199]
	v_add_f64 v[4:5], v[52:53], v[196:197]
	s_andn2_b64 exec, exec, s[10:11]
	s_cbranch_execnz .LBB60_375
; %bb.376:
	s_or_b64 exec, exec, s[10:11]
.LBB60_377:
	s_or_b64 exec, exec, s[2:3]
	v_and_b32_e32 v6, 7, v6
	v_cmp_ne_u32_e32 vcc, 0, v6
	s_and_saveexec_b64 s[2:3], vcc
	s_cbranch_execz .LBB60_381
; %bb.378:
	v_lshlrev_b32_e32 v10, 4, v193
	v_add_u32_e32 v7, 0x3d0, v10
	v_add_u32_e32 v192, 0, v10
	s_mov_b64 s[10:11], 0
.LBB60_379:                             ; =>This Inner Loop Header: Depth=1
	scratch_load_dwordx4 v[194:197], v192, off
	ds_read_b128 v[198:201], v7
	v_add_u32_e32 v6, -1, v6
	v_cmp_eq_u32_e32 vcc, 0, v6
	v_add_u32_e32 v7, 16, v7
	v_add_u32_e32 v192, 16, v192
	s_or_b64 s[10:11], vcc, s[10:11]
	s_waitcnt vmcnt(0) lgkmcnt(0)
	v_mul_f64 v[10:11], v[200:201], v[196:197]
	v_mul_f64 v[52:53], v[198:199], v[196:197]
	v_fma_f64 v[10:11], v[198:199], v[194:195], -v[10:11]
	v_fmac_f64_e32 v[52:53], v[200:201], v[194:195]
	v_add_f64 v[2:3], v[2:3], v[10:11]
	v_add_f64 v[4:5], v[4:5], v[52:53]
	s_andn2_b64 exec, exec, s[10:11]
	s_cbranch_execnz .LBB60_379
; %bb.380:
	s_or_b64 exec, exec, s[10:11]
.LBB60_381:
	s_or_b64 exec, exec, s[2:3]
.LBB60_382:
	s_or_b64 exec, exec, s[8:9]
	v_mov_b32_e32 v6, 0
	ds_read_b128 v[192:195], v6 offset:512
	s_waitcnt lgkmcnt(0)
	v_mul_f64 v[6:7], v[4:5], v[194:195]
	v_mul_f64 v[196:197], v[2:3], v[194:195]
	v_fma_f64 v[194:195], v[2:3], v[192:193], -v[6:7]
	v_fmac_f64_e32 v[196:197], v[4:5], v[192:193]
	scratch_store_dwordx4 off, v[194:197], off offset:512
.LBB60_383:
	s_or_b64 exec, exec, s[4:5]
	scratch_load_dwordx4 v[2:5], v161, off
	v_cmp_lt_u32_e64 s[2:3], 31, v0
	s_waitcnt vmcnt(0)
	ds_write_b128 v9, v[2:5]
	s_waitcnt lgkmcnt(0)
	; wave barrier
	s_waitcnt lgkmcnt(0)
	s_and_saveexec_b64 s[4:5], s[2:3]
	s_cbranch_execz .LBB60_397
; %bb.384:
	ds_read_b128 v[2:5], v9
	s_andn2_b64 vcc, exec, s[6:7]
	s_cbranch_vccnz .LBB60_386
; %bb.385:
	scratch_load_dwordx4 v[192:195], v8, off
	s_waitcnt vmcnt(0) lgkmcnt(0)
	v_mul_f64 v[10:11], v[2:3], v[194:195]
	v_mul_f64 v[6:7], v[4:5], v[194:195]
	v_fmac_f64_e32 v[10:11], v[4:5], v[192:193]
	v_fma_f64 v[2:3], v[2:3], v[192:193], -v[6:7]
	v_mov_b64_e32 v[4:5], v[10:11]
.LBB60_386:
	s_and_saveexec_b64 s[8:9], s[0:1]
	s_cbranch_execz .LBB60_396
; %bb.387:
	v_subrev_u32_e32 v6, 33, v0
	v_cmp_lt_u32_e32 vcc, 6, v6
	v_mov_b32_e32 v6, 32
	s_and_saveexec_b64 s[0:1], vcc
	s_cbranch_execz .LBB60_391
; %bb.388:
	v_and_b32_e32 v6, 56, v0
	s_mov_b32 s12, 32
	s_mov_b32 s13, 0
	s_mov_b64 s[10:11], 0
	v_mov_b32_e32 v7, 0
.LBB60_389:                             ; =>This Inner Loop Header: Depth=1
	s_nop 0
	v_readfirstlane_b32 s14, v7
	s_add_i32 s14, s14, s13
	s_add_i32 s15, s14, 0x200
	v_mov_b32_e32 v49, s13
	ds_read_b128 v[192:195], v49 offset:1488
	ds_read_b128 v[196:199], v49 offset:1504
	;; [unrolled: 1-line block ×4, first 2 shown]
	scratch_load_dwordx4 v[208:211], off, s15
	s_add_i32 s15, s14, 0x210
	s_add_i32 s12, s12, 8
	s_addk_i32 s13, 0x80
	v_cmp_eq_u32_e32 vcc, s12, v6
	s_waitcnt vmcnt(0) lgkmcnt(3)
	v_mul_f64 v[10:11], v[194:195], v[210:211]
	v_mul_f64 v[52:53], v[192:193], v[210:211]
	v_fma_f64 v[10:11], v[192:193], v[208:209], -v[10:11]
	v_fmac_f64_e32 v[52:53], v[194:195], v[208:209]
	v_add_f64 v[10:11], v[2:3], v[10:11]
	v_add_f64 v[52:53], v[4:5], v[52:53]
	scratch_load_dwordx4 v[2:5], off, s15
	s_add_i32 s15, s14, 0x220
	s_waitcnt vmcnt(0) lgkmcnt(2)
	v_mul_f64 v[192:193], v[198:199], v[4:5]
	v_mul_f64 v[4:5], v[196:197], v[4:5]
	v_fmac_f64_e32 v[4:5], v[198:199], v[2:3]
	v_fma_f64 v[192:193], v[196:197], v[2:3], -v[192:193]
	v_add_f64 v[52:53], v[52:53], v[4:5]
	scratch_load_dwordx4 v[2:5], off, s15
	v_add_f64 v[10:11], v[10:11], v[192:193]
	s_add_i32 s15, s14, 0x230
	s_waitcnt vmcnt(0) lgkmcnt(1)
	v_mul_f64 v[192:193], v[202:203], v[4:5]
	v_mul_f64 v[4:5], v[200:201], v[4:5]
	v_fmac_f64_e32 v[4:5], v[202:203], v[2:3]
	v_fma_f64 v[192:193], v[200:201], v[2:3], -v[192:193]
	v_add_f64 v[52:53], v[52:53], v[4:5]
	scratch_load_dwordx4 v[2:5], off, s15
	v_add_f64 v[10:11], v[10:11], v[192:193]
	s_add_i32 s15, s14, 0x240
	s_waitcnt vmcnt(0) lgkmcnt(0)
	v_mul_f64 v[192:193], v[206:207], v[4:5]
	v_fma_f64 v[192:193], v[204:205], v[2:3], -v[192:193]
	v_add_f64 v[10:11], v[10:11], v[192:193]
	scratch_load_dwordx4 v[192:195], off, s15
	v_mul_f64 v[4:5], v[204:205], v[4:5]
	v_fmac_f64_e32 v[4:5], v[206:207], v[2:3]
	v_add_f64 v[52:53], v[52:53], v[4:5]
	ds_read_b128 v[2:5], v49 offset:1552
	s_add_i32 s15, s14, 0x250
	s_waitcnt vmcnt(0) lgkmcnt(0)
	v_mul_f64 v[196:197], v[4:5], v[194:195]
	v_fma_f64 v[196:197], v[2:3], v[192:193], -v[196:197]
	v_mul_f64 v[2:3], v[2:3], v[194:195]
	v_fmac_f64_e32 v[2:3], v[4:5], v[192:193]
	scratch_load_dwordx4 v[192:195], off, s15
	v_add_f64 v[52:53], v[52:53], v[2:3]
	ds_read_b128 v[2:5], v49 offset:1568
	v_add_f64 v[10:11], v[10:11], v[196:197]
	s_add_i32 s15, s14, 0x260
	s_addk_i32 s14, 0x270
	s_or_b64 s[10:11], vcc, s[10:11]
	s_waitcnt vmcnt(0) lgkmcnt(0)
	v_mul_f64 v[196:197], v[4:5], v[194:195]
	v_fma_f64 v[196:197], v[2:3], v[192:193], -v[196:197]
	v_mul_f64 v[2:3], v[2:3], v[194:195]
	v_fmac_f64_e32 v[2:3], v[4:5], v[192:193]
	scratch_load_dwordx4 v[192:195], off, s15
	v_add_f64 v[52:53], v[52:53], v[2:3]
	ds_read_b128 v[2:5], v49 offset:1584
	v_add_f64 v[10:11], v[10:11], v[196:197]
	s_waitcnt vmcnt(0) lgkmcnt(0)
	v_mul_f64 v[196:197], v[4:5], v[194:195]
	v_fma_f64 v[196:197], v[2:3], v[192:193], -v[196:197]
	v_mul_f64 v[2:3], v[2:3], v[194:195]
	v_fmac_f64_e32 v[2:3], v[4:5], v[192:193]
	scratch_load_dwordx4 v[192:195], off, s14
	v_add_f64 v[52:53], v[52:53], v[2:3]
	ds_read_b128 v[2:5], v49 offset:1600
	v_add_f64 v[10:11], v[10:11], v[196:197]
	s_waitcnt vmcnt(0) lgkmcnt(0)
	v_mul_f64 v[196:197], v[4:5], v[194:195]
	v_mul_f64 v[194:195], v[2:3], v[194:195]
	v_fma_f64 v[196:197], v[2:3], v[192:193], -v[196:197]
	v_fmac_f64_e32 v[194:195], v[4:5], v[192:193]
	v_add_f64 v[2:3], v[10:11], v[196:197]
	v_add_f64 v[4:5], v[52:53], v[194:195]
	s_andn2_b64 exec, exec, s[10:11]
	s_cbranch_execnz .LBB60_389
; %bb.390:
	s_or_b64 exec, exec, s[10:11]
.LBB60_391:
	s_or_b64 exec, exec, s[0:1]
	v_and_b32_e32 v7, 7, v0
	v_cmp_ne_u32_e32 vcc, 0, v7
	s_and_saveexec_b64 s[0:1], vcc
	s_cbranch_execz .LBB60_395
; %bb.392:
	v_lshlrev_b32_e32 v10, 4, v6
	v_add_u32_e32 v6, 0x3d0, v10
	v_add_u32_e32 v192, 0, v10
	s_mov_b64 s[10:11], 0
.LBB60_393:                             ; =>This Inner Loop Header: Depth=1
	scratch_load_dwordx4 v[194:197], v192, off
	ds_read_b128 v[198:201], v6
	v_add_u32_e32 v7, -1, v7
	v_cmp_eq_u32_e32 vcc, 0, v7
	v_add_u32_e32 v6, 16, v6
	v_add_u32_e32 v192, 16, v192
	s_or_b64 s[10:11], vcc, s[10:11]
	s_waitcnt vmcnt(0) lgkmcnt(0)
	v_mul_f64 v[10:11], v[200:201], v[196:197]
	v_mul_f64 v[52:53], v[198:199], v[196:197]
	v_fma_f64 v[10:11], v[198:199], v[194:195], -v[10:11]
	v_fmac_f64_e32 v[52:53], v[200:201], v[194:195]
	v_add_f64 v[2:3], v[2:3], v[10:11]
	v_add_f64 v[4:5], v[4:5], v[52:53]
	s_andn2_b64 exec, exec, s[10:11]
	s_cbranch_execnz .LBB60_393
; %bb.394:
	s_or_b64 exec, exec, s[10:11]
.LBB60_395:
	s_or_b64 exec, exec, s[0:1]
.LBB60_396:
	s_or_b64 exec, exec, s[8:9]
	v_mov_b32_e32 v6, 0
	ds_read_b128 v[192:195], v6 offset:496
	s_waitcnt lgkmcnt(0)
	v_mul_f64 v[6:7], v[4:5], v[194:195]
	v_mul_f64 v[196:197], v[2:3], v[194:195]
	v_fma_f64 v[194:195], v[2:3], v[192:193], -v[6:7]
	v_fmac_f64_e32 v[196:197], v[4:5], v[192:193]
	scratch_store_dwordx4 off, v[194:197], off offset:496
.LBB60_397:
	s_or_b64 exec, exec, s[4:5]
	scratch_load_dwordx4 v[2:5], v162, off
	v_cmp_lt_u32_e64 s[0:1], 30, v0
	s_waitcnt vmcnt(0)
	ds_write_b128 v9, v[2:5]
	s_waitcnt lgkmcnt(0)
	; wave barrier
	s_waitcnt lgkmcnt(0)
	s_and_saveexec_b64 s[4:5], s[0:1]
	s_cbranch_execz .LBB60_411
; %bb.398:
	ds_read_b128 v[2:5], v9
	s_andn2_b64 vcc, exec, s[6:7]
	s_cbranch_vccnz .LBB60_400
; %bb.399:
	scratch_load_dwordx4 v[192:195], v8, off
	s_waitcnt vmcnt(0) lgkmcnt(0)
	v_mul_f64 v[10:11], v[2:3], v[194:195]
	v_mul_f64 v[6:7], v[4:5], v[194:195]
	v_fmac_f64_e32 v[10:11], v[4:5], v[192:193]
	v_fma_f64 v[2:3], v[2:3], v[192:193], -v[6:7]
	v_mov_b64_e32 v[4:5], v[10:11]
.LBB60_400:
	s_and_saveexec_b64 s[8:9], s[2:3]
	s_cbranch_execz .LBB60_410
; %bb.401:
	v_subrev_u32_e32 v7, 32, v0
	v_subrev_u32_e32 v6, 31, v0
	v_cmp_lt_u32_e32 vcc, 6, v7
	v_mov_b32_e32 v193, 31
	s_and_saveexec_b64 s[2:3], vcc
	s_cbranch_execz .LBB60_405
; %bb.402:
	v_and_b32_e32 v7, -8, v6
	s_mov_b32 s12, 0
	s_mov_b64 s[10:11], 0
	v_mov_b32_e32 v192, 0
	s_mov_b32 s13, 0
.LBB60_403:                             ; =>This Inner Loop Header: Depth=1
	v_readfirstlane_b32 s14, v192
	s_add_i32 s14, s14, s12
	s_add_i32 s15, s14, 0x1f0
	v_mov_b32_e32 v49, s12
	ds_read_b128 v[194:197], v49 offset:1472
	ds_read_b128 v[198:201], v49 offset:1488
	;; [unrolled: 1-line block ×4, first 2 shown]
	scratch_load_dwordx4 v[210:213], off, s15
	s_add_i32 s15, s14, 0x200
	s_addk_i32 s12, 0x80
	s_waitcnt vmcnt(0) lgkmcnt(3)
	v_mul_f64 v[10:11], v[196:197], v[212:213]
	v_mul_f64 v[52:53], v[194:195], v[212:213]
	v_fma_f64 v[10:11], v[194:195], v[210:211], -v[10:11]
	v_fmac_f64_e32 v[52:53], v[196:197], v[210:211]
	v_add_f64 v[10:11], v[2:3], v[10:11]
	v_add_f64 v[52:53], v[4:5], v[52:53]
	scratch_load_dwordx4 v[2:5], off, s15
	s_add_i32 s15, s14, 0x210
	s_waitcnt vmcnt(0) lgkmcnt(2)
	v_mul_f64 v[194:195], v[200:201], v[4:5]
	v_mul_f64 v[4:5], v[198:199], v[4:5]
	v_fmac_f64_e32 v[4:5], v[200:201], v[2:3]
	v_fma_f64 v[194:195], v[198:199], v[2:3], -v[194:195]
	v_add_f64 v[52:53], v[52:53], v[4:5]
	scratch_load_dwordx4 v[2:5], off, s15
	v_add_f64 v[10:11], v[10:11], v[194:195]
	s_add_i32 s15, s14, 0x220
	s_waitcnt vmcnt(0) lgkmcnt(1)
	v_mul_f64 v[194:195], v[204:205], v[4:5]
	v_mul_f64 v[4:5], v[202:203], v[4:5]
	v_fmac_f64_e32 v[4:5], v[204:205], v[2:3]
	v_fma_f64 v[194:195], v[202:203], v[2:3], -v[194:195]
	v_add_f64 v[52:53], v[52:53], v[4:5]
	scratch_load_dwordx4 v[2:5], off, s15
	v_add_f64 v[10:11], v[10:11], v[194:195]
	s_add_i32 s15, s14, 0x230
	s_waitcnt vmcnt(0) lgkmcnt(0)
	v_mul_f64 v[194:195], v[208:209], v[4:5]
	v_fma_f64 v[194:195], v[206:207], v[2:3], -v[194:195]
	v_add_f64 v[10:11], v[10:11], v[194:195]
	scratch_load_dwordx4 v[194:197], off, s15
	v_mul_f64 v[4:5], v[206:207], v[4:5]
	v_fmac_f64_e32 v[4:5], v[208:209], v[2:3]
	v_add_f64 v[52:53], v[52:53], v[4:5]
	ds_read_b128 v[2:5], v49 offset:1536
	s_add_i32 s15, s14, 0x240
	s_waitcnt vmcnt(0) lgkmcnt(0)
	v_mul_f64 v[198:199], v[4:5], v[196:197]
	v_fma_f64 v[198:199], v[2:3], v[194:195], -v[198:199]
	v_mul_f64 v[2:3], v[2:3], v[196:197]
	v_fmac_f64_e32 v[2:3], v[4:5], v[194:195]
	scratch_load_dwordx4 v[194:197], off, s15
	v_add_f64 v[52:53], v[52:53], v[2:3]
	ds_read_b128 v[2:5], v49 offset:1552
	v_add_f64 v[10:11], v[10:11], v[198:199]
	s_add_i32 s15, s14, 0x250
	s_addk_i32 s14, 0x260
	s_waitcnt vmcnt(0) lgkmcnt(0)
	v_mul_f64 v[198:199], v[4:5], v[196:197]
	v_fma_f64 v[198:199], v[2:3], v[194:195], -v[198:199]
	v_mul_f64 v[2:3], v[2:3], v[196:197]
	v_fmac_f64_e32 v[2:3], v[4:5], v[194:195]
	scratch_load_dwordx4 v[194:197], off, s15
	v_add_f64 v[52:53], v[52:53], v[2:3]
	ds_read_b128 v[2:5], v49 offset:1568
	v_add_f64 v[10:11], v[10:11], v[198:199]
	s_waitcnt vmcnt(0) lgkmcnt(0)
	v_mul_f64 v[198:199], v[4:5], v[196:197]
	v_fma_f64 v[198:199], v[2:3], v[194:195], -v[198:199]
	v_mul_f64 v[2:3], v[2:3], v[196:197]
	v_fmac_f64_e32 v[2:3], v[4:5], v[194:195]
	scratch_load_dwordx4 v[194:197], off, s14
	v_add_f64 v[52:53], v[52:53], v[2:3]
	ds_read_b128 v[2:5], v49 offset:1584
	v_add_f64 v[10:11], v[10:11], v[198:199]
	s_add_i32 s14, s13, 8
	v_cmp_eq_u32_e32 vcc, s14, v7
	s_add_i32 s13, s13, 39
	s_or_b64 s[10:11], vcc, s[10:11]
	v_mov_b32_e32 v193, s13
	s_mov_b32 s13, s14
	s_waitcnt vmcnt(0) lgkmcnt(0)
	v_mul_f64 v[198:199], v[4:5], v[196:197]
	v_mul_f64 v[196:197], v[2:3], v[196:197]
	v_fma_f64 v[198:199], v[2:3], v[194:195], -v[198:199]
	v_fmac_f64_e32 v[196:197], v[4:5], v[194:195]
	v_add_f64 v[2:3], v[10:11], v[198:199]
	v_add_f64 v[4:5], v[52:53], v[196:197]
	s_andn2_b64 exec, exec, s[10:11]
	s_cbranch_execnz .LBB60_403
; %bb.404:
	s_or_b64 exec, exec, s[10:11]
.LBB60_405:
	s_or_b64 exec, exec, s[2:3]
	v_and_b32_e32 v6, 7, v6
	v_cmp_ne_u32_e32 vcc, 0, v6
	s_and_saveexec_b64 s[2:3], vcc
	s_cbranch_execz .LBB60_409
; %bb.406:
	v_lshlrev_b32_e32 v10, 4, v193
	v_add_u32_e32 v7, 0x3d0, v10
	v_add_u32_e32 v192, 0, v10
	s_mov_b64 s[10:11], 0
.LBB60_407:                             ; =>This Inner Loop Header: Depth=1
	scratch_load_dwordx4 v[194:197], v192, off
	ds_read_b128 v[198:201], v7
	v_add_u32_e32 v6, -1, v6
	v_cmp_eq_u32_e32 vcc, 0, v6
	v_add_u32_e32 v7, 16, v7
	v_add_u32_e32 v192, 16, v192
	s_or_b64 s[10:11], vcc, s[10:11]
	s_waitcnt vmcnt(0) lgkmcnt(0)
	v_mul_f64 v[10:11], v[200:201], v[196:197]
	v_mul_f64 v[52:53], v[198:199], v[196:197]
	v_fma_f64 v[10:11], v[198:199], v[194:195], -v[10:11]
	v_fmac_f64_e32 v[52:53], v[200:201], v[194:195]
	v_add_f64 v[2:3], v[2:3], v[10:11]
	v_add_f64 v[4:5], v[4:5], v[52:53]
	s_andn2_b64 exec, exec, s[10:11]
	s_cbranch_execnz .LBB60_407
; %bb.408:
	s_or_b64 exec, exec, s[10:11]
.LBB60_409:
	s_or_b64 exec, exec, s[2:3]
.LBB60_410:
	s_or_b64 exec, exec, s[8:9]
	v_mov_b32_e32 v6, 0
	ds_read_b128 v[192:195], v6 offset:480
	s_waitcnt lgkmcnt(0)
	v_mul_f64 v[6:7], v[4:5], v[194:195]
	v_mul_f64 v[196:197], v[2:3], v[194:195]
	v_fma_f64 v[194:195], v[2:3], v[192:193], -v[6:7]
	v_fmac_f64_e32 v[196:197], v[4:5], v[192:193]
	scratch_store_dwordx4 off, v[194:197], off offset:480
.LBB60_411:
	s_or_b64 exec, exec, s[4:5]
	scratch_load_dwordx4 v[2:5], v163, off
	v_cmp_lt_u32_e64 s[2:3], 29, v0
	s_waitcnt vmcnt(0)
	ds_write_b128 v9, v[2:5]
	s_waitcnt lgkmcnt(0)
	; wave barrier
	s_waitcnt lgkmcnt(0)
	s_and_saveexec_b64 s[4:5], s[2:3]
	s_cbranch_execz .LBB60_425
; %bb.412:
	ds_read_b128 v[2:5], v9
	s_andn2_b64 vcc, exec, s[6:7]
	s_cbranch_vccnz .LBB60_414
; %bb.413:
	scratch_load_dwordx4 v[192:195], v8, off
	s_waitcnt vmcnt(0) lgkmcnt(0)
	v_mul_f64 v[10:11], v[2:3], v[194:195]
	v_mul_f64 v[6:7], v[4:5], v[194:195]
	v_fmac_f64_e32 v[10:11], v[4:5], v[192:193]
	v_fma_f64 v[2:3], v[2:3], v[192:193], -v[6:7]
	v_mov_b64_e32 v[4:5], v[10:11]
.LBB60_414:
	s_and_saveexec_b64 s[8:9], s[0:1]
	s_cbranch_execz .LBB60_424
; %bb.415:
	v_subrev_u32_e32 v7, 31, v0
	v_subrev_u32_e32 v6, 30, v0
	v_cmp_lt_u32_e32 vcc, 6, v7
	v_mov_b32_e32 v193, 30
	s_and_saveexec_b64 s[0:1], vcc
	s_cbranch_execz .LBB60_419
; %bb.416:
	v_and_b32_e32 v7, -8, v6
	s_mov_b32 s12, 0
	s_mov_b64 s[10:11], 0
	v_mov_b32_e32 v192, 0
	s_mov_b32 s13, 0
.LBB60_417:                             ; =>This Inner Loop Header: Depth=1
	v_readfirstlane_b32 s14, v192
	s_add_i32 s14, s14, s12
	s_add_i32 s15, s14, 0x1e0
	v_mov_b32_e32 v49, s12
	ds_read_b128 v[194:197], v49 offset:1456
	ds_read_b128 v[198:201], v49 offset:1472
	;; [unrolled: 1-line block ×4, first 2 shown]
	scratch_load_dwordx4 v[210:213], off, s15
	s_add_i32 s15, s14, 0x1f0
	s_addk_i32 s12, 0x80
	s_waitcnt vmcnt(0) lgkmcnt(3)
	v_mul_f64 v[10:11], v[196:197], v[212:213]
	v_mul_f64 v[52:53], v[194:195], v[212:213]
	v_fma_f64 v[10:11], v[194:195], v[210:211], -v[10:11]
	v_fmac_f64_e32 v[52:53], v[196:197], v[210:211]
	v_add_f64 v[10:11], v[2:3], v[10:11]
	v_add_f64 v[52:53], v[4:5], v[52:53]
	scratch_load_dwordx4 v[2:5], off, s15
	s_add_i32 s15, s14, 0x200
	s_waitcnt vmcnt(0) lgkmcnt(2)
	v_mul_f64 v[194:195], v[200:201], v[4:5]
	v_mul_f64 v[4:5], v[198:199], v[4:5]
	v_fmac_f64_e32 v[4:5], v[200:201], v[2:3]
	v_fma_f64 v[194:195], v[198:199], v[2:3], -v[194:195]
	v_add_f64 v[52:53], v[52:53], v[4:5]
	scratch_load_dwordx4 v[2:5], off, s15
	v_add_f64 v[10:11], v[10:11], v[194:195]
	s_add_i32 s15, s14, 0x210
	s_waitcnt vmcnt(0) lgkmcnt(1)
	v_mul_f64 v[194:195], v[204:205], v[4:5]
	v_mul_f64 v[4:5], v[202:203], v[4:5]
	v_fmac_f64_e32 v[4:5], v[204:205], v[2:3]
	v_fma_f64 v[194:195], v[202:203], v[2:3], -v[194:195]
	v_add_f64 v[52:53], v[52:53], v[4:5]
	scratch_load_dwordx4 v[2:5], off, s15
	v_add_f64 v[10:11], v[10:11], v[194:195]
	s_add_i32 s15, s14, 0x220
	s_waitcnt vmcnt(0) lgkmcnt(0)
	v_mul_f64 v[194:195], v[208:209], v[4:5]
	v_fma_f64 v[194:195], v[206:207], v[2:3], -v[194:195]
	v_add_f64 v[10:11], v[10:11], v[194:195]
	scratch_load_dwordx4 v[194:197], off, s15
	v_mul_f64 v[4:5], v[206:207], v[4:5]
	v_fmac_f64_e32 v[4:5], v[208:209], v[2:3]
	v_add_f64 v[52:53], v[52:53], v[4:5]
	ds_read_b128 v[2:5], v49 offset:1520
	s_add_i32 s15, s14, 0x230
	s_waitcnt vmcnt(0) lgkmcnt(0)
	v_mul_f64 v[198:199], v[4:5], v[196:197]
	v_fma_f64 v[198:199], v[2:3], v[194:195], -v[198:199]
	v_mul_f64 v[2:3], v[2:3], v[196:197]
	v_fmac_f64_e32 v[2:3], v[4:5], v[194:195]
	scratch_load_dwordx4 v[194:197], off, s15
	v_add_f64 v[52:53], v[52:53], v[2:3]
	ds_read_b128 v[2:5], v49 offset:1536
	v_add_f64 v[10:11], v[10:11], v[198:199]
	s_add_i32 s15, s14, 0x240
	s_addk_i32 s14, 0x250
	s_waitcnt vmcnt(0) lgkmcnt(0)
	v_mul_f64 v[198:199], v[4:5], v[196:197]
	v_fma_f64 v[198:199], v[2:3], v[194:195], -v[198:199]
	v_mul_f64 v[2:3], v[2:3], v[196:197]
	v_fmac_f64_e32 v[2:3], v[4:5], v[194:195]
	scratch_load_dwordx4 v[194:197], off, s15
	v_add_f64 v[52:53], v[52:53], v[2:3]
	ds_read_b128 v[2:5], v49 offset:1552
	v_add_f64 v[10:11], v[10:11], v[198:199]
	s_waitcnt vmcnt(0) lgkmcnt(0)
	v_mul_f64 v[198:199], v[4:5], v[196:197]
	v_fma_f64 v[198:199], v[2:3], v[194:195], -v[198:199]
	v_mul_f64 v[2:3], v[2:3], v[196:197]
	v_fmac_f64_e32 v[2:3], v[4:5], v[194:195]
	scratch_load_dwordx4 v[194:197], off, s14
	v_add_f64 v[52:53], v[52:53], v[2:3]
	ds_read_b128 v[2:5], v49 offset:1568
	v_add_f64 v[10:11], v[10:11], v[198:199]
	s_add_i32 s14, s13, 8
	v_cmp_eq_u32_e32 vcc, s14, v7
	s_add_i32 s13, s13, 38
	s_or_b64 s[10:11], vcc, s[10:11]
	v_mov_b32_e32 v193, s13
	s_mov_b32 s13, s14
	s_waitcnt vmcnt(0) lgkmcnt(0)
	v_mul_f64 v[198:199], v[4:5], v[196:197]
	v_mul_f64 v[196:197], v[2:3], v[196:197]
	v_fma_f64 v[198:199], v[2:3], v[194:195], -v[198:199]
	v_fmac_f64_e32 v[196:197], v[4:5], v[194:195]
	v_add_f64 v[2:3], v[10:11], v[198:199]
	v_add_f64 v[4:5], v[52:53], v[196:197]
	s_andn2_b64 exec, exec, s[10:11]
	s_cbranch_execnz .LBB60_417
; %bb.418:
	s_or_b64 exec, exec, s[10:11]
.LBB60_419:
	s_or_b64 exec, exec, s[0:1]
	v_and_b32_e32 v6, 7, v6
	v_cmp_ne_u32_e32 vcc, 0, v6
	s_and_saveexec_b64 s[0:1], vcc
	s_cbranch_execz .LBB60_423
; %bb.420:
	v_lshlrev_b32_e32 v10, 4, v193
	v_add_u32_e32 v7, 0x3d0, v10
	v_add_u32_e32 v192, 0, v10
	s_mov_b64 s[10:11], 0
.LBB60_421:                             ; =>This Inner Loop Header: Depth=1
	scratch_load_dwordx4 v[194:197], v192, off
	ds_read_b128 v[198:201], v7
	v_add_u32_e32 v6, -1, v6
	v_cmp_eq_u32_e32 vcc, 0, v6
	v_add_u32_e32 v7, 16, v7
	v_add_u32_e32 v192, 16, v192
	s_or_b64 s[10:11], vcc, s[10:11]
	s_waitcnt vmcnt(0) lgkmcnt(0)
	v_mul_f64 v[10:11], v[200:201], v[196:197]
	v_mul_f64 v[52:53], v[198:199], v[196:197]
	v_fma_f64 v[10:11], v[198:199], v[194:195], -v[10:11]
	v_fmac_f64_e32 v[52:53], v[200:201], v[194:195]
	v_add_f64 v[2:3], v[2:3], v[10:11]
	v_add_f64 v[4:5], v[4:5], v[52:53]
	s_andn2_b64 exec, exec, s[10:11]
	s_cbranch_execnz .LBB60_421
; %bb.422:
	s_or_b64 exec, exec, s[10:11]
.LBB60_423:
	s_or_b64 exec, exec, s[0:1]
.LBB60_424:
	s_or_b64 exec, exec, s[8:9]
	v_mov_b32_e32 v6, 0
	ds_read_b128 v[192:195], v6 offset:464
	s_waitcnt lgkmcnt(0)
	v_mul_f64 v[6:7], v[4:5], v[194:195]
	v_mul_f64 v[196:197], v[2:3], v[194:195]
	v_fma_f64 v[194:195], v[2:3], v[192:193], -v[6:7]
	v_fmac_f64_e32 v[196:197], v[4:5], v[192:193]
	scratch_store_dwordx4 off, v[194:197], off offset:464
.LBB60_425:
	s_or_b64 exec, exec, s[4:5]
	scratch_load_dwordx4 v[2:5], v164, off
	v_cmp_lt_u32_e64 s[0:1], 28, v0
	s_waitcnt vmcnt(0)
	ds_write_b128 v9, v[2:5]
	s_waitcnt lgkmcnt(0)
	; wave barrier
	s_waitcnt lgkmcnt(0)
	s_and_saveexec_b64 s[4:5], s[0:1]
	s_cbranch_execz .LBB60_439
; %bb.426:
	ds_read_b128 v[2:5], v9
	s_andn2_b64 vcc, exec, s[6:7]
	s_cbranch_vccnz .LBB60_428
; %bb.427:
	scratch_load_dwordx4 v[192:195], v8, off
	s_waitcnt vmcnt(0) lgkmcnt(0)
	v_mul_f64 v[10:11], v[2:3], v[194:195]
	v_mul_f64 v[6:7], v[4:5], v[194:195]
	v_fmac_f64_e32 v[10:11], v[4:5], v[192:193]
	v_fma_f64 v[2:3], v[2:3], v[192:193], -v[6:7]
	v_mov_b64_e32 v[4:5], v[10:11]
.LBB60_428:
	s_and_saveexec_b64 s[8:9], s[2:3]
	s_cbranch_execz .LBB60_438
; %bb.429:
	v_subrev_u32_e32 v7, 30, v0
	v_subrev_u32_e32 v6, 29, v0
	v_cmp_lt_u32_e32 vcc, 6, v7
	v_mov_b32_e32 v193, 29
	s_and_saveexec_b64 s[2:3], vcc
	s_cbranch_execz .LBB60_433
; %bb.430:
	v_and_b32_e32 v7, -8, v6
	s_mov_b32 s12, 0
	s_mov_b64 s[10:11], 0
	v_mov_b32_e32 v192, 0
	s_mov_b32 s13, 0
.LBB60_431:                             ; =>This Inner Loop Header: Depth=1
	v_readfirstlane_b32 s14, v192
	s_add_i32 s14, s14, s12
	s_add_i32 s15, s14, 0x1d0
	v_mov_b32_e32 v49, s12
	ds_read_b128 v[194:197], v49 offset:1440
	ds_read_b128 v[198:201], v49 offset:1456
	;; [unrolled: 1-line block ×4, first 2 shown]
	scratch_load_dwordx4 v[210:213], off, s15
	s_add_i32 s15, s14, 0x1e0
	s_addk_i32 s12, 0x80
	s_waitcnt vmcnt(0) lgkmcnt(3)
	v_mul_f64 v[10:11], v[196:197], v[212:213]
	v_mul_f64 v[52:53], v[194:195], v[212:213]
	v_fma_f64 v[10:11], v[194:195], v[210:211], -v[10:11]
	v_fmac_f64_e32 v[52:53], v[196:197], v[210:211]
	v_add_f64 v[10:11], v[2:3], v[10:11]
	v_add_f64 v[52:53], v[4:5], v[52:53]
	scratch_load_dwordx4 v[2:5], off, s15
	s_add_i32 s15, s14, 0x1f0
	s_waitcnt vmcnt(0) lgkmcnt(2)
	v_mul_f64 v[194:195], v[200:201], v[4:5]
	v_mul_f64 v[4:5], v[198:199], v[4:5]
	v_fmac_f64_e32 v[4:5], v[200:201], v[2:3]
	v_fma_f64 v[194:195], v[198:199], v[2:3], -v[194:195]
	v_add_f64 v[52:53], v[52:53], v[4:5]
	scratch_load_dwordx4 v[2:5], off, s15
	v_add_f64 v[10:11], v[10:11], v[194:195]
	s_add_i32 s15, s14, 0x200
	s_waitcnt vmcnt(0) lgkmcnt(1)
	v_mul_f64 v[194:195], v[204:205], v[4:5]
	v_mul_f64 v[4:5], v[202:203], v[4:5]
	v_fmac_f64_e32 v[4:5], v[204:205], v[2:3]
	v_fma_f64 v[194:195], v[202:203], v[2:3], -v[194:195]
	v_add_f64 v[52:53], v[52:53], v[4:5]
	scratch_load_dwordx4 v[2:5], off, s15
	v_add_f64 v[10:11], v[10:11], v[194:195]
	s_add_i32 s15, s14, 0x210
	s_waitcnt vmcnt(0) lgkmcnt(0)
	v_mul_f64 v[194:195], v[208:209], v[4:5]
	v_fma_f64 v[194:195], v[206:207], v[2:3], -v[194:195]
	v_add_f64 v[10:11], v[10:11], v[194:195]
	scratch_load_dwordx4 v[194:197], off, s15
	v_mul_f64 v[4:5], v[206:207], v[4:5]
	v_fmac_f64_e32 v[4:5], v[208:209], v[2:3]
	v_add_f64 v[52:53], v[52:53], v[4:5]
	ds_read_b128 v[2:5], v49 offset:1504
	s_add_i32 s15, s14, 0x220
	s_waitcnt vmcnt(0) lgkmcnt(0)
	v_mul_f64 v[198:199], v[4:5], v[196:197]
	v_fma_f64 v[198:199], v[2:3], v[194:195], -v[198:199]
	v_mul_f64 v[2:3], v[2:3], v[196:197]
	v_fmac_f64_e32 v[2:3], v[4:5], v[194:195]
	scratch_load_dwordx4 v[194:197], off, s15
	v_add_f64 v[52:53], v[52:53], v[2:3]
	ds_read_b128 v[2:5], v49 offset:1520
	v_add_f64 v[10:11], v[10:11], v[198:199]
	s_add_i32 s15, s14, 0x230
	s_addk_i32 s14, 0x240
	s_waitcnt vmcnt(0) lgkmcnt(0)
	v_mul_f64 v[198:199], v[4:5], v[196:197]
	v_fma_f64 v[198:199], v[2:3], v[194:195], -v[198:199]
	v_mul_f64 v[2:3], v[2:3], v[196:197]
	v_fmac_f64_e32 v[2:3], v[4:5], v[194:195]
	scratch_load_dwordx4 v[194:197], off, s15
	v_add_f64 v[52:53], v[52:53], v[2:3]
	ds_read_b128 v[2:5], v49 offset:1536
	v_add_f64 v[10:11], v[10:11], v[198:199]
	s_waitcnt vmcnt(0) lgkmcnt(0)
	v_mul_f64 v[198:199], v[4:5], v[196:197]
	v_fma_f64 v[198:199], v[2:3], v[194:195], -v[198:199]
	v_mul_f64 v[2:3], v[2:3], v[196:197]
	v_fmac_f64_e32 v[2:3], v[4:5], v[194:195]
	scratch_load_dwordx4 v[194:197], off, s14
	v_add_f64 v[52:53], v[52:53], v[2:3]
	ds_read_b128 v[2:5], v49 offset:1552
	v_add_f64 v[10:11], v[10:11], v[198:199]
	s_add_i32 s14, s13, 8
	v_cmp_eq_u32_e32 vcc, s14, v7
	s_add_i32 s13, s13, 37
	s_or_b64 s[10:11], vcc, s[10:11]
	v_mov_b32_e32 v193, s13
	s_mov_b32 s13, s14
	s_waitcnt vmcnt(0) lgkmcnt(0)
	v_mul_f64 v[198:199], v[4:5], v[196:197]
	v_mul_f64 v[196:197], v[2:3], v[196:197]
	v_fma_f64 v[198:199], v[2:3], v[194:195], -v[198:199]
	v_fmac_f64_e32 v[196:197], v[4:5], v[194:195]
	v_add_f64 v[2:3], v[10:11], v[198:199]
	v_add_f64 v[4:5], v[52:53], v[196:197]
	s_andn2_b64 exec, exec, s[10:11]
	s_cbranch_execnz .LBB60_431
; %bb.432:
	s_or_b64 exec, exec, s[10:11]
.LBB60_433:
	s_or_b64 exec, exec, s[2:3]
	v_and_b32_e32 v6, 7, v6
	v_cmp_ne_u32_e32 vcc, 0, v6
	s_and_saveexec_b64 s[2:3], vcc
	s_cbranch_execz .LBB60_437
; %bb.434:
	v_lshlrev_b32_e32 v10, 4, v193
	v_add_u32_e32 v7, 0x3d0, v10
	v_add_u32_e32 v192, 0, v10
	s_mov_b64 s[10:11], 0
.LBB60_435:                             ; =>This Inner Loop Header: Depth=1
	scratch_load_dwordx4 v[194:197], v192, off
	ds_read_b128 v[198:201], v7
	v_add_u32_e32 v6, -1, v6
	v_cmp_eq_u32_e32 vcc, 0, v6
	v_add_u32_e32 v7, 16, v7
	v_add_u32_e32 v192, 16, v192
	s_or_b64 s[10:11], vcc, s[10:11]
	s_waitcnt vmcnt(0) lgkmcnt(0)
	v_mul_f64 v[10:11], v[200:201], v[196:197]
	v_mul_f64 v[52:53], v[198:199], v[196:197]
	v_fma_f64 v[10:11], v[198:199], v[194:195], -v[10:11]
	v_fmac_f64_e32 v[52:53], v[200:201], v[194:195]
	v_add_f64 v[2:3], v[2:3], v[10:11]
	v_add_f64 v[4:5], v[4:5], v[52:53]
	s_andn2_b64 exec, exec, s[10:11]
	s_cbranch_execnz .LBB60_435
; %bb.436:
	s_or_b64 exec, exec, s[10:11]
.LBB60_437:
	s_or_b64 exec, exec, s[2:3]
.LBB60_438:
	s_or_b64 exec, exec, s[8:9]
	v_mov_b32_e32 v6, 0
	ds_read_b128 v[192:195], v6 offset:448
	s_waitcnt lgkmcnt(0)
	v_mul_f64 v[6:7], v[4:5], v[194:195]
	v_mul_f64 v[196:197], v[2:3], v[194:195]
	v_fma_f64 v[194:195], v[2:3], v[192:193], -v[6:7]
	v_fmac_f64_e32 v[196:197], v[4:5], v[192:193]
	scratch_store_dwordx4 off, v[194:197], off offset:448
.LBB60_439:
	s_or_b64 exec, exec, s[4:5]
	scratch_load_dwordx4 v[2:5], v165, off
	v_cmp_lt_u32_e64 s[2:3], 27, v0
	s_waitcnt vmcnt(0)
	ds_write_b128 v9, v[2:5]
	s_waitcnt lgkmcnt(0)
	; wave barrier
	s_waitcnt lgkmcnt(0)
	s_and_saveexec_b64 s[4:5], s[2:3]
	s_cbranch_execz .LBB60_453
; %bb.440:
	ds_read_b128 v[2:5], v9
	s_andn2_b64 vcc, exec, s[6:7]
	s_cbranch_vccnz .LBB60_442
; %bb.441:
	scratch_load_dwordx4 v[192:195], v8, off
	s_waitcnt vmcnt(0) lgkmcnt(0)
	v_mul_f64 v[10:11], v[2:3], v[194:195]
	v_mul_f64 v[6:7], v[4:5], v[194:195]
	v_fmac_f64_e32 v[10:11], v[4:5], v[192:193]
	v_fma_f64 v[2:3], v[2:3], v[192:193], -v[6:7]
	v_mov_b64_e32 v[4:5], v[10:11]
.LBB60_442:
	s_and_saveexec_b64 s[8:9], s[0:1]
	s_cbranch_execz .LBB60_452
; %bb.443:
	v_subrev_u32_e32 v7, 29, v0
	v_subrev_u32_e32 v6, 28, v0
	v_cmp_lt_u32_e32 vcc, 6, v7
	v_mov_b32_e32 v193, 28
	s_and_saveexec_b64 s[0:1], vcc
	s_cbranch_execz .LBB60_447
; %bb.444:
	v_and_b32_e32 v7, -8, v6
	s_mov_b32 s12, 0
	s_mov_b64 s[10:11], 0
	v_mov_b32_e32 v192, 0
	s_mov_b32 s13, 0
.LBB60_445:                             ; =>This Inner Loop Header: Depth=1
	v_readfirstlane_b32 s14, v192
	s_add_i32 s14, s14, s12
	s_add_i32 s15, s14, 0x1c0
	v_mov_b32_e32 v49, s12
	ds_read_b128 v[194:197], v49 offset:1424
	ds_read_b128 v[198:201], v49 offset:1440
	;; [unrolled: 1-line block ×4, first 2 shown]
	scratch_load_dwordx4 v[210:213], off, s15
	s_add_i32 s15, s14, 0x1d0
	s_addk_i32 s12, 0x80
	s_waitcnt vmcnt(0) lgkmcnt(3)
	v_mul_f64 v[10:11], v[196:197], v[212:213]
	v_mul_f64 v[52:53], v[194:195], v[212:213]
	v_fma_f64 v[10:11], v[194:195], v[210:211], -v[10:11]
	v_fmac_f64_e32 v[52:53], v[196:197], v[210:211]
	v_add_f64 v[10:11], v[2:3], v[10:11]
	v_add_f64 v[52:53], v[4:5], v[52:53]
	scratch_load_dwordx4 v[2:5], off, s15
	s_add_i32 s15, s14, 0x1e0
	s_waitcnt vmcnt(0) lgkmcnt(2)
	v_mul_f64 v[194:195], v[200:201], v[4:5]
	v_mul_f64 v[4:5], v[198:199], v[4:5]
	v_fmac_f64_e32 v[4:5], v[200:201], v[2:3]
	v_fma_f64 v[194:195], v[198:199], v[2:3], -v[194:195]
	v_add_f64 v[52:53], v[52:53], v[4:5]
	scratch_load_dwordx4 v[2:5], off, s15
	v_add_f64 v[10:11], v[10:11], v[194:195]
	s_add_i32 s15, s14, 0x1f0
	s_waitcnt vmcnt(0) lgkmcnt(1)
	v_mul_f64 v[194:195], v[204:205], v[4:5]
	v_mul_f64 v[4:5], v[202:203], v[4:5]
	v_fmac_f64_e32 v[4:5], v[204:205], v[2:3]
	v_fma_f64 v[194:195], v[202:203], v[2:3], -v[194:195]
	v_add_f64 v[52:53], v[52:53], v[4:5]
	scratch_load_dwordx4 v[2:5], off, s15
	v_add_f64 v[10:11], v[10:11], v[194:195]
	s_add_i32 s15, s14, 0x200
	s_waitcnt vmcnt(0) lgkmcnt(0)
	v_mul_f64 v[194:195], v[208:209], v[4:5]
	v_fma_f64 v[194:195], v[206:207], v[2:3], -v[194:195]
	v_add_f64 v[10:11], v[10:11], v[194:195]
	scratch_load_dwordx4 v[194:197], off, s15
	v_mul_f64 v[4:5], v[206:207], v[4:5]
	v_fmac_f64_e32 v[4:5], v[208:209], v[2:3]
	v_add_f64 v[52:53], v[52:53], v[4:5]
	ds_read_b128 v[2:5], v49 offset:1488
	s_add_i32 s15, s14, 0x210
	s_waitcnt vmcnt(0) lgkmcnt(0)
	v_mul_f64 v[198:199], v[4:5], v[196:197]
	v_fma_f64 v[198:199], v[2:3], v[194:195], -v[198:199]
	v_mul_f64 v[2:3], v[2:3], v[196:197]
	v_fmac_f64_e32 v[2:3], v[4:5], v[194:195]
	scratch_load_dwordx4 v[194:197], off, s15
	v_add_f64 v[52:53], v[52:53], v[2:3]
	ds_read_b128 v[2:5], v49 offset:1504
	v_add_f64 v[10:11], v[10:11], v[198:199]
	s_add_i32 s15, s14, 0x220
	s_addk_i32 s14, 0x230
	s_waitcnt vmcnt(0) lgkmcnt(0)
	v_mul_f64 v[198:199], v[4:5], v[196:197]
	v_fma_f64 v[198:199], v[2:3], v[194:195], -v[198:199]
	v_mul_f64 v[2:3], v[2:3], v[196:197]
	v_fmac_f64_e32 v[2:3], v[4:5], v[194:195]
	scratch_load_dwordx4 v[194:197], off, s15
	v_add_f64 v[52:53], v[52:53], v[2:3]
	ds_read_b128 v[2:5], v49 offset:1520
	v_add_f64 v[10:11], v[10:11], v[198:199]
	s_waitcnt vmcnt(0) lgkmcnt(0)
	v_mul_f64 v[198:199], v[4:5], v[196:197]
	v_fma_f64 v[198:199], v[2:3], v[194:195], -v[198:199]
	v_mul_f64 v[2:3], v[2:3], v[196:197]
	v_fmac_f64_e32 v[2:3], v[4:5], v[194:195]
	scratch_load_dwordx4 v[194:197], off, s14
	v_add_f64 v[52:53], v[52:53], v[2:3]
	ds_read_b128 v[2:5], v49 offset:1536
	v_add_f64 v[10:11], v[10:11], v[198:199]
	s_add_i32 s14, s13, 8
	v_cmp_eq_u32_e32 vcc, s14, v7
	s_add_i32 s13, s13, 36
	s_or_b64 s[10:11], vcc, s[10:11]
	v_mov_b32_e32 v193, s13
	s_mov_b32 s13, s14
	s_waitcnt vmcnt(0) lgkmcnt(0)
	v_mul_f64 v[198:199], v[4:5], v[196:197]
	v_mul_f64 v[196:197], v[2:3], v[196:197]
	v_fma_f64 v[198:199], v[2:3], v[194:195], -v[198:199]
	v_fmac_f64_e32 v[196:197], v[4:5], v[194:195]
	v_add_f64 v[2:3], v[10:11], v[198:199]
	v_add_f64 v[4:5], v[52:53], v[196:197]
	s_andn2_b64 exec, exec, s[10:11]
	s_cbranch_execnz .LBB60_445
; %bb.446:
	s_or_b64 exec, exec, s[10:11]
.LBB60_447:
	s_or_b64 exec, exec, s[0:1]
	v_and_b32_e32 v6, 7, v6
	v_cmp_ne_u32_e32 vcc, 0, v6
	s_and_saveexec_b64 s[0:1], vcc
	s_cbranch_execz .LBB60_451
; %bb.448:
	v_lshlrev_b32_e32 v10, 4, v193
	v_add_u32_e32 v7, 0x3d0, v10
	v_add_u32_e32 v192, 0, v10
	s_mov_b64 s[10:11], 0
.LBB60_449:                             ; =>This Inner Loop Header: Depth=1
	scratch_load_dwordx4 v[194:197], v192, off
	ds_read_b128 v[198:201], v7
	v_add_u32_e32 v6, -1, v6
	v_cmp_eq_u32_e32 vcc, 0, v6
	v_add_u32_e32 v7, 16, v7
	v_add_u32_e32 v192, 16, v192
	s_or_b64 s[10:11], vcc, s[10:11]
	s_waitcnt vmcnt(0) lgkmcnt(0)
	v_mul_f64 v[10:11], v[200:201], v[196:197]
	v_mul_f64 v[52:53], v[198:199], v[196:197]
	v_fma_f64 v[10:11], v[198:199], v[194:195], -v[10:11]
	v_fmac_f64_e32 v[52:53], v[200:201], v[194:195]
	v_add_f64 v[2:3], v[2:3], v[10:11]
	v_add_f64 v[4:5], v[4:5], v[52:53]
	s_andn2_b64 exec, exec, s[10:11]
	s_cbranch_execnz .LBB60_449
; %bb.450:
	s_or_b64 exec, exec, s[10:11]
.LBB60_451:
	s_or_b64 exec, exec, s[0:1]
.LBB60_452:
	s_or_b64 exec, exec, s[8:9]
	v_mov_b32_e32 v6, 0
	ds_read_b128 v[192:195], v6 offset:432
	s_waitcnt lgkmcnt(0)
	v_mul_f64 v[6:7], v[4:5], v[194:195]
	v_mul_f64 v[196:197], v[2:3], v[194:195]
	v_fma_f64 v[194:195], v[2:3], v[192:193], -v[6:7]
	v_fmac_f64_e32 v[196:197], v[4:5], v[192:193]
	scratch_store_dwordx4 off, v[194:197], off offset:432
.LBB60_453:
	s_or_b64 exec, exec, s[4:5]
	scratch_load_dwordx4 v[2:5], v166, off
	v_cmp_lt_u32_e64 s[0:1], 26, v0
	s_waitcnt vmcnt(0)
	ds_write_b128 v9, v[2:5]
	s_waitcnt lgkmcnt(0)
	; wave barrier
	s_waitcnt lgkmcnt(0)
	s_and_saveexec_b64 s[4:5], s[0:1]
	s_cbranch_execz .LBB60_467
; %bb.454:
	ds_read_b128 v[2:5], v9
	s_andn2_b64 vcc, exec, s[6:7]
	s_cbranch_vccnz .LBB60_456
; %bb.455:
	scratch_load_dwordx4 v[192:195], v8, off
	s_waitcnt vmcnt(0) lgkmcnt(0)
	v_mul_f64 v[10:11], v[2:3], v[194:195]
	v_mul_f64 v[6:7], v[4:5], v[194:195]
	v_fmac_f64_e32 v[10:11], v[4:5], v[192:193]
	v_fma_f64 v[2:3], v[2:3], v[192:193], -v[6:7]
	v_mov_b64_e32 v[4:5], v[10:11]
.LBB60_456:
	s_and_saveexec_b64 s[8:9], s[2:3]
	s_cbranch_execz .LBB60_466
; %bb.457:
	v_subrev_u32_e32 v7, 28, v0
	v_subrev_u32_e32 v6, 27, v0
	v_cmp_lt_u32_e32 vcc, 6, v7
	v_mov_b32_e32 v193, 27
	s_and_saveexec_b64 s[2:3], vcc
	s_cbranch_execz .LBB60_461
; %bb.458:
	v_and_b32_e32 v7, -8, v6
	s_mov_b32 s12, 0
	s_mov_b64 s[10:11], 0
	v_mov_b32_e32 v192, 0
	s_mov_b32 s13, 0
.LBB60_459:                             ; =>This Inner Loop Header: Depth=1
	v_readfirstlane_b32 s14, v192
	s_add_i32 s14, s14, s12
	s_add_i32 s15, s14, 0x1b0
	v_mov_b32_e32 v49, s12
	ds_read_b128 v[194:197], v49 offset:1408
	ds_read_b128 v[198:201], v49 offset:1424
	;; [unrolled: 1-line block ×4, first 2 shown]
	scratch_load_dwordx4 v[210:213], off, s15
	s_add_i32 s15, s14, 0x1c0
	s_addk_i32 s12, 0x80
	s_waitcnt vmcnt(0) lgkmcnt(3)
	v_mul_f64 v[10:11], v[196:197], v[212:213]
	v_mul_f64 v[52:53], v[194:195], v[212:213]
	v_fma_f64 v[10:11], v[194:195], v[210:211], -v[10:11]
	v_fmac_f64_e32 v[52:53], v[196:197], v[210:211]
	v_add_f64 v[10:11], v[2:3], v[10:11]
	v_add_f64 v[52:53], v[4:5], v[52:53]
	scratch_load_dwordx4 v[2:5], off, s15
	s_add_i32 s15, s14, 0x1d0
	s_waitcnt vmcnt(0) lgkmcnt(2)
	v_mul_f64 v[194:195], v[200:201], v[4:5]
	v_mul_f64 v[4:5], v[198:199], v[4:5]
	v_fmac_f64_e32 v[4:5], v[200:201], v[2:3]
	v_fma_f64 v[194:195], v[198:199], v[2:3], -v[194:195]
	v_add_f64 v[52:53], v[52:53], v[4:5]
	scratch_load_dwordx4 v[2:5], off, s15
	v_add_f64 v[10:11], v[10:11], v[194:195]
	s_add_i32 s15, s14, 0x1e0
	s_waitcnt vmcnt(0) lgkmcnt(1)
	v_mul_f64 v[194:195], v[204:205], v[4:5]
	v_mul_f64 v[4:5], v[202:203], v[4:5]
	v_fmac_f64_e32 v[4:5], v[204:205], v[2:3]
	v_fma_f64 v[194:195], v[202:203], v[2:3], -v[194:195]
	v_add_f64 v[52:53], v[52:53], v[4:5]
	scratch_load_dwordx4 v[2:5], off, s15
	v_add_f64 v[10:11], v[10:11], v[194:195]
	s_add_i32 s15, s14, 0x1f0
	s_waitcnt vmcnt(0) lgkmcnt(0)
	v_mul_f64 v[194:195], v[208:209], v[4:5]
	v_fma_f64 v[194:195], v[206:207], v[2:3], -v[194:195]
	v_add_f64 v[10:11], v[10:11], v[194:195]
	scratch_load_dwordx4 v[194:197], off, s15
	v_mul_f64 v[4:5], v[206:207], v[4:5]
	v_fmac_f64_e32 v[4:5], v[208:209], v[2:3]
	v_add_f64 v[52:53], v[52:53], v[4:5]
	ds_read_b128 v[2:5], v49 offset:1472
	s_add_i32 s15, s14, 0x200
	s_waitcnt vmcnt(0) lgkmcnt(0)
	v_mul_f64 v[198:199], v[4:5], v[196:197]
	v_fma_f64 v[198:199], v[2:3], v[194:195], -v[198:199]
	v_mul_f64 v[2:3], v[2:3], v[196:197]
	v_fmac_f64_e32 v[2:3], v[4:5], v[194:195]
	scratch_load_dwordx4 v[194:197], off, s15
	v_add_f64 v[52:53], v[52:53], v[2:3]
	ds_read_b128 v[2:5], v49 offset:1488
	v_add_f64 v[10:11], v[10:11], v[198:199]
	s_add_i32 s15, s14, 0x210
	s_addk_i32 s14, 0x220
	s_waitcnt vmcnt(0) lgkmcnt(0)
	v_mul_f64 v[198:199], v[4:5], v[196:197]
	v_fma_f64 v[198:199], v[2:3], v[194:195], -v[198:199]
	v_mul_f64 v[2:3], v[2:3], v[196:197]
	v_fmac_f64_e32 v[2:3], v[4:5], v[194:195]
	scratch_load_dwordx4 v[194:197], off, s15
	v_add_f64 v[52:53], v[52:53], v[2:3]
	ds_read_b128 v[2:5], v49 offset:1504
	v_add_f64 v[10:11], v[10:11], v[198:199]
	s_waitcnt vmcnt(0) lgkmcnt(0)
	v_mul_f64 v[198:199], v[4:5], v[196:197]
	v_fma_f64 v[198:199], v[2:3], v[194:195], -v[198:199]
	v_mul_f64 v[2:3], v[2:3], v[196:197]
	v_fmac_f64_e32 v[2:3], v[4:5], v[194:195]
	scratch_load_dwordx4 v[194:197], off, s14
	v_add_f64 v[52:53], v[52:53], v[2:3]
	ds_read_b128 v[2:5], v49 offset:1520
	v_add_f64 v[10:11], v[10:11], v[198:199]
	s_add_i32 s14, s13, 8
	v_cmp_eq_u32_e32 vcc, s14, v7
	s_add_i32 s13, s13, 35
	s_or_b64 s[10:11], vcc, s[10:11]
	v_mov_b32_e32 v193, s13
	s_mov_b32 s13, s14
	s_waitcnt vmcnt(0) lgkmcnt(0)
	v_mul_f64 v[198:199], v[4:5], v[196:197]
	v_mul_f64 v[196:197], v[2:3], v[196:197]
	v_fma_f64 v[198:199], v[2:3], v[194:195], -v[198:199]
	v_fmac_f64_e32 v[196:197], v[4:5], v[194:195]
	v_add_f64 v[2:3], v[10:11], v[198:199]
	v_add_f64 v[4:5], v[52:53], v[196:197]
	s_andn2_b64 exec, exec, s[10:11]
	s_cbranch_execnz .LBB60_459
; %bb.460:
	s_or_b64 exec, exec, s[10:11]
.LBB60_461:
	s_or_b64 exec, exec, s[2:3]
	v_and_b32_e32 v6, 7, v6
	v_cmp_ne_u32_e32 vcc, 0, v6
	s_and_saveexec_b64 s[2:3], vcc
	s_cbranch_execz .LBB60_465
; %bb.462:
	v_lshlrev_b32_e32 v10, 4, v193
	v_add_u32_e32 v7, 0x3d0, v10
	v_add_u32_e32 v192, 0, v10
	s_mov_b64 s[10:11], 0
.LBB60_463:                             ; =>This Inner Loop Header: Depth=1
	scratch_load_dwordx4 v[194:197], v192, off
	ds_read_b128 v[198:201], v7
	v_add_u32_e32 v6, -1, v6
	v_cmp_eq_u32_e32 vcc, 0, v6
	v_add_u32_e32 v7, 16, v7
	v_add_u32_e32 v192, 16, v192
	s_or_b64 s[10:11], vcc, s[10:11]
	s_waitcnt vmcnt(0) lgkmcnt(0)
	v_mul_f64 v[10:11], v[200:201], v[196:197]
	v_mul_f64 v[52:53], v[198:199], v[196:197]
	v_fma_f64 v[10:11], v[198:199], v[194:195], -v[10:11]
	v_fmac_f64_e32 v[52:53], v[200:201], v[194:195]
	v_add_f64 v[2:3], v[2:3], v[10:11]
	v_add_f64 v[4:5], v[4:5], v[52:53]
	s_andn2_b64 exec, exec, s[10:11]
	s_cbranch_execnz .LBB60_463
; %bb.464:
	s_or_b64 exec, exec, s[10:11]
.LBB60_465:
	s_or_b64 exec, exec, s[2:3]
.LBB60_466:
	s_or_b64 exec, exec, s[8:9]
	v_mov_b32_e32 v6, 0
	ds_read_b128 v[192:195], v6 offset:416
	s_waitcnt lgkmcnt(0)
	v_mul_f64 v[6:7], v[4:5], v[194:195]
	v_mul_f64 v[196:197], v[2:3], v[194:195]
	v_fma_f64 v[194:195], v[2:3], v[192:193], -v[6:7]
	v_fmac_f64_e32 v[196:197], v[4:5], v[192:193]
	scratch_store_dwordx4 off, v[194:197], off offset:416
.LBB60_467:
	s_or_b64 exec, exec, s[4:5]
	scratch_load_dwordx4 v[2:5], v167, off
	v_cmp_lt_u32_e64 s[2:3], 25, v0
	s_waitcnt vmcnt(0)
	ds_write_b128 v9, v[2:5]
	s_waitcnt lgkmcnt(0)
	; wave barrier
	s_waitcnt lgkmcnt(0)
	s_and_saveexec_b64 s[4:5], s[2:3]
	s_cbranch_execz .LBB60_481
; %bb.468:
	ds_read_b128 v[2:5], v9
	s_andn2_b64 vcc, exec, s[6:7]
	s_cbranch_vccnz .LBB60_470
; %bb.469:
	scratch_load_dwordx4 v[192:195], v8, off
	s_waitcnt vmcnt(0) lgkmcnt(0)
	v_mul_f64 v[10:11], v[2:3], v[194:195]
	v_mul_f64 v[6:7], v[4:5], v[194:195]
	v_fmac_f64_e32 v[10:11], v[4:5], v[192:193]
	v_fma_f64 v[2:3], v[2:3], v[192:193], -v[6:7]
	v_mov_b64_e32 v[4:5], v[10:11]
.LBB60_470:
	s_and_saveexec_b64 s[8:9], s[0:1]
	s_cbranch_execz .LBB60_480
; %bb.471:
	v_subrev_u32_e32 v7, 27, v0
	v_subrev_u32_e32 v6, 26, v0
	v_cmp_lt_u32_e32 vcc, 6, v7
	v_mov_b32_e32 v193, 26
	s_and_saveexec_b64 s[0:1], vcc
	s_cbranch_execz .LBB60_475
; %bb.472:
	v_and_b32_e32 v7, -8, v6
	s_mov_b32 s12, 0
	s_mov_b64 s[10:11], 0
	v_mov_b32_e32 v192, 0
	s_mov_b32 s13, 0
.LBB60_473:                             ; =>This Inner Loop Header: Depth=1
	v_readfirstlane_b32 s14, v192
	s_add_i32 s14, s14, s12
	s_add_i32 s15, s14, 0x1a0
	v_mov_b32_e32 v49, s12
	ds_read_b128 v[194:197], v49 offset:1392
	ds_read_b128 v[198:201], v49 offset:1408
	;; [unrolled: 1-line block ×4, first 2 shown]
	scratch_load_dwordx4 v[210:213], off, s15
	s_add_i32 s15, s14, 0x1b0
	s_addk_i32 s12, 0x80
	s_waitcnt vmcnt(0) lgkmcnt(3)
	v_mul_f64 v[10:11], v[196:197], v[212:213]
	v_mul_f64 v[52:53], v[194:195], v[212:213]
	v_fma_f64 v[10:11], v[194:195], v[210:211], -v[10:11]
	v_fmac_f64_e32 v[52:53], v[196:197], v[210:211]
	v_add_f64 v[10:11], v[2:3], v[10:11]
	v_add_f64 v[52:53], v[4:5], v[52:53]
	scratch_load_dwordx4 v[2:5], off, s15
	s_add_i32 s15, s14, 0x1c0
	s_waitcnt vmcnt(0) lgkmcnt(2)
	v_mul_f64 v[194:195], v[200:201], v[4:5]
	v_mul_f64 v[4:5], v[198:199], v[4:5]
	v_fmac_f64_e32 v[4:5], v[200:201], v[2:3]
	v_fma_f64 v[194:195], v[198:199], v[2:3], -v[194:195]
	v_add_f64 v[52:53], v[52:53], v[4:5]
	scratch_load_dwordx4 v[2:5], off, s15
	v_add_f64 v[10:11], v[10:11], v[194:195]
	s_add_i32 s15, s14, 0x1d0
	s_waitcnt vmcnt(0) lgkmcnt(1)
	v_mul_f64 v[194:195], v[204:205], v[4:5]
	v_mul_f64 v[4:5], v[202:203], v[4:5]
	v_fmac_f64_e32 v[4:5], v[204:205], v[2:3]
	v_fma_f64 v[194:195], v[202:203], v[2:3], -v[194:195]
	v_add_f64 v[52:53], v[52:53], v[4:5]
	scratch_load_dwordx4 v[2:5], off, s15
	v_add_f64 v[10:11], v[10:11], v[194:195]
	s_add_i32 s15, s14, 0x1e0
	s_waitcnt vmcnt(0) lgkmcnt(0)
	v_mul_f64 v[194:195], v[208:209], v[4:5]
	v_fma_f64 v[194:195], v[206:207], v[2:3], -v[194:195]
	v_add_f64 v[10:11], v[10:11], v[194:195]
	scratch_load_dwordx4 v[194:197], off, s15
	v_mul_f64 v[4:5], v[206:207], v[4:5]
	v_fmac_f64_e32 v[4:5], v[208:209], v[2:3]
	v_add_f64 v[52:53], v[52:53], v[4:5]
	ds_read_b128 v[2:5], v49 offset:1456
	s_add_i32 s15, s14, 0x1f0
	s_waitcnt vmcnt(0) lgkmcnt(0)
	v_mul_f64 v[198:199], v[4:5], v[196:197]
	v_fma_f64 v[198:199], v[2:3], v[194:195], -v[198:199]
	v_mul_f64 v[2:3], v[2:3], v[196:197]
	v_fmac_f64_e32 v[2:3], v[4:5], v[194:195]
	scratch_load_dwordx4 v[194:197], off, s15
	v_add_f64 v[52:53], v[52:53], v[2:3]
	ds_read_b128 v[2:5], v49 offset:1472
	v_add_f64 v[10:11], v[10:11], v[198:199]
	s_add_i32 s15, s14, 0x200
	s_addk_i32 s14, 0x210
	s_waitcnt vmcnt(0) lgkmcnt(0)
	v_mul_f64 v[198:199], v[4:5], v[196:197]
	v_fma_f64 v[198:199], v[2:3], v[194:195], -v[198:199]
	v_mul_f64 v[2:3], v[2:3], v[196:197]
	v_fmac_f64_e32 v[2:3], v[4:5], v[194:195]
	scratch_load_dwordx4 v[194:197], off, s15
	v_add_f64 v[52:53], v[52:53], v[2:3]
	ds_read_b128 v[2:5], v49 offset:1488
	v_add_f64 v[10:11], v[10:11], v[198:199]
	s_waitcnt vmcnt(0) lgkmcnt(0)
	v_mul_f64 v[198:199], v[4:5], v[196:197]
	v_fma_f64 v[198:199], v[2:3], v[194:195], -v[198:199]
	v_mul_f64 v[2:3], v[2:3], v[196:197]
	v_fmac_f64_e32 v[2:3], v[4:5], v[194:195]
	scratch_load_dwordx4 v[194:197], off, s14
	v_add_f64 v[52:53], v[52:53], v[2:3]
	ds_read_b128 v[2:5], v49 offset:1504
	v_add_f64 v[10:11], v[10:11], v[198:199]
	s_add_i32 s14, s13, 8
	v_cmp_eq_u32_e32 vcc, s14, v7
	s_add_i32 s13, s13, 34
	s_or_b64 s[10:11], vcc, s[10:11]
	v_mov_b32_e32 v193, s13
	s_mov_b32 s13, s14
	s_waitcnt vmcnt(0) lgkmcnt(0)
	v_mul_f64 v[198:199], v[4:5], v[196:197]
	v_mul_f64 v[196:197], v[2:3], v[196:197]
	v_fma_f64 v[198:199], v[2:3], v[194:195], -v[198:199]
	v_fmac_f64_e32 v[196:197], v[4:5], v[194:195]
	v_add_f64 v[2:3], v[10:11], v[198:199]
	v_add_f64 v[4:5], v[52:53], v[196:197]
	s_andn2_b64 exec, exec, s[10:11]
	s_cbranch_execnz .LBB60_473
; %bb.474:
	s_or_b64 exec, exec, s[10:11]
.LBB60_475:
	s_or_b64 exec, exec, s[0:1]
	v_and_b32_e32 v6, 7, v6
	v_cmp_ne_u32_e32 vcc, 0, v6
	s_and_saveexec_b64 s[0:1], vcc
	s_cbranch_execz .LBB60_479
; %bb.476:
	v_lshlrev_b32_e32 v10, 4, v193
	v_add_u32_e32 v7, 0x3d0, v10
	v_add_u32_e32 v192, 0, v10
	s_mov_b64 s[10:11], 0
.LBB60_477:                             ; =>This Inner Loop Header: Depth=1
	scratch_load_dwordx4 v[194:197], v192, off
	ds_read_b128 v[198:201], v7
	v_add_u32_e32 v6, -1, v6
	v_cmp_eq_u32_e32 vcc, 0, v6
	v_add_u32_e32 v7, 16, v7
	v_add_u32_e32 v192, 16, v192
	s_or_b64 s[10:11], vcc, s[10:11]
	s_waitcnt vmcnt(0) lgkmcnt(0)
	v_mul_f64 v[10:11], v[200:201], v[196:197]
	v_mul_f64 v[52:53], v[198:199], v[196:197]
	v_fma_f64 v[10:11], v[198:199], v[194:195], -v[10:11]
	v_fmac_f64_e32 v[52:53], v[200:201], v[194:195]
	v_add_f64 v[2:3], v[2:3], v[10:11]
	v_add_f64 v[4:5], v[4:5], v[52:53]
	s_andn2_b64 exec, exec, s[10:11]
	s_cbranch_execnz .LBB60_477
; %bb.478:
	s_or_b64 exec, exec, s[10:11]
.LBB60_479:
	s_or_b64 exec, exec, s[0:1]
.LBB60_480:
	s_or_b64 exec, exec, s[8:9]
	v_mov_b32_e32 v6, 0
	ds_read_b128 v[192:195], v6 offset:400
	s_waitcnt lgkmcnt(0)
	v_mul_f64 v[6:7], v[4:5], v[194:195]
	v_mul_f64 v[196:197], v[2:3], v[194:195]
	v_fma_f64 v[194:195], v[2:3], v[192:193], -v[6:7]
	v_fmac_f64_e32 v[196:197], v[4:5], v[192:193]
	scratch_store_dwordx4 off, v[194:197], off offset:400
.LBB60_481:
	s_or_b64 exec, exec, s[4:5]
	scratch_load_dwordx4 v[2:5], v168, off
	v_cmp_lt_u32_e64 s[0:1], 24, v0
	s_waitcnt vmcnt(0)
	ds_write_b128 v9, v[2:5]
	s_waitcnt lgkmcnt(0)
	; wave barrier
	s_waitcnt lgkmcnt(0)
	s_and_saveexec_b64 s[4:5], s[0:1]
	s_cbranch_execz .LBB60_495
; %bb.482:
	ds_read_b128 v[2:5], v9
	s_andn2_b64 vcc, exec, s[6:7]
	s_cbranch_vccnz .LBB60_484
; %bb.483:
	scratch_load_dwordx4 v[192:195], v8, off
	s_waitcnt vmcnt(0) lgkmcnt(0)
	v_mul_f64 v[10:11], v[2:3], v[194:195]
	v_mul_f64 v[6:7], v[4:5], v[194:195]
	v_fmac_f64_e32 v[10:11], v[4:5], v[192:193]
	v_fma_f64 v[2:3], v[2:3], v[192:193], -v[6:7]
	v_mov_b64_e32 v[4:5], v[10:11]
.LBB60_484:
	s_and_saveexec_b64 s[8:9], s[2:3]
	s_cbranch_execz .LBB60_494
; %bb.485:
	v_subrev_u32_e32 v7, 26, v0
	v_subrev_u32_e32 v6, 25, v0
	v_cmp_lt_u32_e32 vcc, 6, v7
	v_mov_b32_e32 v193, 25
	s_and_saveexec_b64 s[2:3], vcc
	s_cbranch_execz .LBB60_489
; %bb.486:
	v_and_b32_e32 v7, -8, v6
	s_mov_b32 s12, 0
	s_mov_b64 s[10:11], 0
	v_mov_b32_e32 v192, 0
	s_mov_b32 s13, 0
.LBB60_487:                             ; =>This Inner Loop Header: Depth=1
	v_readfirstlane_b32 s14, v192
	s_add_i32 s14, s14, s12
	s_add_i32 s15, s14, 0x190
	v_mov_b32_e32 v49, s12
	ds_read_b128 v[194:197], v49 offset:1376
	ds_read_b128 v[198:201], v49 offset:1392
	;; [unrolled: 1-line block ×4, first 2 shown]
	scratch_load_dwordx4 v[210:213], off, s15
	s_add_i32 s15, s14, 0x1a0
	s_addk_i32 s12, 0x80
	s_waitcnt vmcnt(0) lgkmcnt(3)
	v_mul_f64 v[10:11], v[196:197], v[212:213]
	v_mul_f64 v[52:53], v[194:195], v[212:213]
	v_fma_f64 v[10:11], v[194:195], v[210:211], -v[10:11]
	v_fmac_f64_e32 v[52:53], v[196:197], v[210:211]
	v_add_f64 v[10:11], v[2:3], v[10:11]
	v_add_f64 v[52:53], v[4:5], v[52:53]
	scratch_load_dwordx4 v[2:5], off, s15
	s_add_i32 s15, s14, 0x1b0
	s_waitcnt vmcnt(0) lgkmcnt(2)
	v_mul_f64 v[194:195], v[200:201], v[4:5]
	v_mul_f64 v[4:5], v[198:199], v[4:5]
	v_fmac_f64_e32 v[4:5], v[200:201], v[2:3]
	v_fma_f64 v[194:195], v[198:199], v[2:3], -v[194:195]
	v_add_f64 v[52:53], v[52:53], v[4:5]
	scratch_load_dwordx4 v[2:5], off, s15
	v_add_f64 v[10:11], v[10:11], v[194:195]
	s_add_i32 s15, s14, 0x1c0
	s_waitcnt vmcnt(0) lgkmcnt(1)
	v_mul_f64 v[194:195], v[204:205], v[4:5]
	v_mul_f64 v[4:5], v[202:203], v[4:5]
	v_fmac_f64_e32 v[4:5], v[204:205], v[2:3]
	v_fma_f64 v[194:195], v[202:203], v[2:3], -v[194:195]
	v_add_f64 v[52:53], v[52:53], v[4:5]
	scratch_load_dwordx4 v[2:5], off, s15
	v_add_f64 v[10:11], v[10:11], v[194:195]
	s_add_i32 s15, s14, 0x1d0
	s_waitcnt vmcnt(0) lgkmcnt(0)
	v_mul_f64 v[194:195], v[208:209], v[4:5]
	v_fma_f64 v[194:195], v[206:207], v[2:3], -v[194:195]
	v_add_f64 v[10:11], v[10:11], v[194:195]
	scratch_load_dwordx4 v[194:197], off, s15
	v_mul_f64 v[4:5], v[206:207], v[4:5]
	v_fmac_f64_e32 v[4:5], v[208:209], v[2:3]
	v_add_f64 v[52:53], v[52:53], v[4:5]
	ds_read_b128 v[2:5], v49 offset:1440
	s_add_i32 s15, s14, 0x1e0
	s_waitcnt vmcnt(0) lgkmcnt(0)
	v_mul_f64 v[198:199], v[4:5], v[196:197]
	v_fma_f64 v[198:199], v[2:3], v[194:195], -v[198:199]
	v_mul_f64 v[2:3], v[2:3], v[196:197]
	v_fmac_f64_e32 v[2:3], v[4:5], v[194:195]
	scratch_load_dwordx4 v[194:197], off, s15
	v_add_f64 v[52:53], v[52:53], v[2:3]
	ds_read_b128 v[2:5], v49 offset:1456
	v_add_f64 v[10:11], v[10:11], v[198:199]
	s_add_i32 s15, s14, 0x1f0
	s_addk_i32 s14, 0x200
	s_waitcnt vmcnt(0) lgkmcnt(0)
	v_mul_f64 v[198:199], v[4:5], v[196:197]
	v_fma_f64 v[198:199], v[2:3], v[194:195], -v[198:199]
	v_mul_f64 v[2:3], v[2:3], v[196:197]
	v_fmac_f64_e32 v[2:3], v[4:5], v[194:195]
	scratch_load_dwordx4 v[194:197], off, s15
	v_add_f64 v[52:53], v[52:53], v[2:3]
	ds_read_b128 v[2:5], v49 offset:1472
	v_add_f64 v[10:11], v[10:11], v[198:199]
	s_waitcnt vmcnt(0) lgkmcnt(0)
	v_mul_f64 v[198:199], v[4:5], v[196:197]
	v_fma_f64 v[198:199], v[2:3], v[194:195], -v[198:199]
	v_mul_f64 v[2:3], v[2:3], v[196:197]
	v_fmac_f64_e32 v[2:3], v[4:5], v[194:195]
	scratch_load_dwordx4 v[194:197], off, s14
	v_add_f64 v[52:53], v[52:53], v[2:3]
	ds_read_b128 v[2:5], v49 offset:1488
	v_add_f64 v[10:11], v[10:11], v[198:199]
	s_add_i32 s14, s13, 8
	v_cmp_eq_u32_e32 vcc, s14, v7
	s_add_i32 s13, s13, 33
	s_or_b64 s[10:11], vcc, s[10:11]
	v_mov_b32_e32 v193, s13
	s_mov_b32 s13, s14
	s_waitcnt vmcnt(0) lgkmcnt(0)
	v_mul_f64 v[198:199], v[4:5], v[196:197]
	v_mul_f64 v[196:197], v[2:3], v[196:197]
	v_fma_f64 v[198:199], v[2:3], v[194:195], -v[198:199]
	v_fmac_f64_e32 v[196:197], v[4:5], v[194:195]
	v_add_f64 v[2:3], v[10:11], v[198:199]
	v_add_f64 v[4:5], v[52:53], v[196:197]
	s_andn2_b64 exec, exec, s[10:11]
	s_cbranch_execnz .LBB60_487
; %bb.488:
	s_or_b64 exec, exec, s[10:11]
.LBB60_489:
	s_or_b64 exec, exec, s[2:3]
	v_and_b32_e32 v6, 7, v6
	v_cmp_ne_u32_e32 vcc, 0, v6
	s_and_saveexec_b64 s[2:3], vcc
	s_cbranch_execz .LBB60_493
; %bb.490:
	v_lshlrev_b32_e32 v10, 4, v193
	v_add_u32_e32 v7, 0x3d0, v10
	v_add_u32_e32 v192, 0, v10
	s_mov_b64 s[10:11], 0
.LBB60_491:                             ; =>This Inner Loop Header: Depth=1
	scratch_load_dwordx4 v[194:197], v192, off
	ds_read_b128 v[198:201], v7
	v_add_u32_e32 v6, -1, v6
	v_cmp_eq_u32_e32 vcc, 0, v6
	v_add_u32_e32 v7, 16, v7
	v_add_u32_e32 v192, 16, v192
	s_or_b64 s[10:11], vcc, s[10:11]
	s_waitcnt vmcnt(0) lgkmcnt(0)
	v_mul_f64 v[10:11], v[200:201], v[196:197]
	v_mul_f64 v[52:53], v[198:199], v[196:197]
	v_fma_f64 v[10:11], v[198:199], v[194:195], -v[10:11]
	v_fmac_f64_e32 v[52:53], v[200:201], v[194:195]
	v_add_f64 v[2:3], v[2:3], v[10:11]
	v_add_f64 v[4:5], v[4:5], v[52:53]
	s_andn2_b64 exec, exec, s[10:11]
	s_cbranch_execnz .LBB60_491
; %bb.492:
	s_or_b64 exec, exec, s[10:11]
.LBB60_493:
	s_or_b64 exec, exec, s[2:3]
.LBB60_494:
	s_or_b64 exec, exec, s[8:9]
	v_mov_b32_e32 v6, 0
	ds_read_b128 v[192:195], v6 offset:384
	s_waitcnt lgkmcnt(0)
	v_mul_f64 v[6:7], v[4:5], v[194:195]
	v_mul_f64 v[196:197], v[2:3], v[194:195]
	v_fma_f64 v[194:195], v[2:3], v[192:193], -v[6:7]
	v_fmac_f64_e32 v[196:197], v[4:5], v[192:193]
	scratch_store_dwordx4 off, v[194:197], off offset:384
.LBB60_495:
	s_or_b64 exec, exec, s[4:5]
	scratch_load_dwordx4 v[2:5], v169, off
	v_cmp_lt_u32_e64 s[2:3], 23, v0
	s_waitcnt vmcnt(0)
	ds_write_b128 v9, v[2:5]
	s_waitcnt lgkmcnt(0)
	; wave barrier
	s_waitcnt lgkmcnt(0)
	s_and_saveexec_b64 s[4:5], s[2:3]
	s_cbranch_execz .LBB60_509
; %bb.496:
	ds_read_b128 v[2:5], v9
	s_andn2_b64 vcc, exec, s[6:7]
	s_cbranch_vccnz .LBB60_498
; %bb.497:
	scratch_load_dwordx4 v[192:195], v8, off
	s_waitcnt vmcnt(0) lgkmcnt(0)
	v_mul_f64 v[10:11], v[2:3], v[194:195]
	v_mul_f64 v[6:7], v[4:5], v[194:195]
	v_fmac_f64_e32 v[10:11], v[4:5], v[192:193]
	v_fma_f64 v[2:3], v[2:3], v[192:193], -v[6:7]
	v_mov_b64_e32 v[4:5], v[10:11]
.LBB60_498:
	s_and_saveexec_b64 s[8:9], s[0:1]
	s_cbranch_execz .LBB60_508
; %bb.499:
	v_subrev_u32_e32 v6, 25, v0
	v_cmp_lt_u32_e32 vcc, 6, v6
	v_mov_b32_e32 v6, 24
	s_and_saveexec_b64 s[0:1], vcc
	s_cbranch_execz .LBB60_503
; %bb.500:
	v_and_b32_e32 v6, 56, v0
	s_mov_b32 s12, 24
	s_mov_b32 s13, 0
	s_mov_b64 s[10:11], 0
	v_mov_b32_e32 v7, 0
.LBB60_501:                             ; =>This Inner Loop Header: Depth=1
	s_nop 0
	v_readfirstlane_b32 s14, v7
	s_add_i32 s14, s14, s13
	s_add_i32 s15, s14, 0x180
	v_mov_b32_e32 v49, s13
	ds_read_b128 v[192:195], v49 offset:1360
	ds_read_b128 v[196:199], v49 offset:1376
	;; [unrolled: 1-line block ×4, first 2 shown]
	scratch_load_dwordx4 v[208:211], off, s15
	s_add_i32 s15, s14, 0x190
	s_add_i32 s12, s12, 8
	s_addk_i32 s13, 0x80
	v_cmp_eq_u32_e32 vcc, s12, v6
	s_waitcnt vmcnt(0) lgkmcnt(3)
	v_mul_f64 v[10:11], v[194:195], v[210:211]
	v_mul_f64 v[52:53], v[192:193], v[210:211]
	v_fma_f64 v[10:11], v[192:193], v[208:209], -v[10:11]
	v_fmac_f64_e32 v[52:53], v[194:195], v[208:209]
	v_add_f64 v[10:11], v[2:3], v[10:11]
	v_add_f64 v[52:53], v[4:5], v[52:53]
	scratch_load_dwordx4 v[2:5], off, s15
	s_add_i32 s15, s14, 0x1a0
	s_waitcnt vmcnt(0) lgkmcnt(2)
	v_mul_f64 v[192:193], v[198:199], v[4:5]
	v_mul_f64 v[4:5], v[196:197], v[4:5]
	v_fmac_f64_e32 v[4:5], v[198:199], v[2:3]
	v_fma_f64 v[192:193], v[196:197], v[2:3], -v[192:193]
	v_add_f64 v[52:53], v[52:53], v[4:5]
	scratch_load_dwordx4 v[2:5], off, s15
	v_add_f64 v[10:11], v[10:11], v[192:193]
	s_add_i32 s15, s14, 0x1b0
	s_waitcnt vmcnt(0) lgkmcnt(1)
	v_mul_f64 v[192:193], v[202:203], v[4:5]
	v_mul_f64 v[4:5], v[200:201], v[4:5]
	v_fmac_f64_e32 v[4:5], v[202:203], v[2:3]
	v_fma_f64 v[192:193], v[200:201], v[2:3], -v[192:193]
	v_add_f64 v[52:53], v[52:53], v[4:5]
	scratch_load_dwordx4 v[2:5], off, s15
	v_add_f64 v[10:11], v[10:11], v[192:193]
	s_add_i32 s15, s14, 0x1c0
	s_waitcnt vmcnt(0) lgkmcnt(0)
	v_mul_f64 v[192:193], v[206:207], v[4:5]
	v_fma_f64 v[192:193], v[204:205], v[2:3], -v[192:193]
	v_add_f64 v[10:11], v[10:11], v[192:193]
	scratch_load_dwordx4 v[192:195], off, s15
	v_mul_f64 v[4:5], v[204:205], v[4:5]
	v_fmac_f64_e32 v[4:5], v[206:207], v[2:3]
	v_add_f64 v[52:53], v[52:53], v[4:5]
	ds_read_b128 v[2:5], v49 offset:1424
	s_add_i32 s15, s14, 0x1d0
	s_waitcnt vmcnt(0) lgkmcnt(0)
	v_mul_f64 v[196:197], v[4:5], v[194:195]
	v_fma_f64 v[196:197], v[2:3], v[192:193], -v[196:197]
	v_mul_f64 v[2:3], v[2:3], v[194:195]
	v_fmac_f64_e32 v[2:3], v[4:5], v[192:193]
	scratch_load_dwordx4 v[192:195], off, s15
	v_add_f64 v[52:53], v[52:53], v[2:3]
	ds_read_b128 v[2:5], v49 offset:1440
	v_add_f64 v[10:11], v[10:11], v[196:197]
	s_add_i32 s15, s14, 0x1e0
	s_addk_i32 s14, 0x1f0
	s_or_b64 s[10:11], vcc, s[10:11]
	s_waitcnt vmcnt(0) lgkmcnt(0)
	v_mul_f64 v[196:197], v[4:5], v[194:195]
	v_fma_f64 v[196:197], v[2:3], v[192:193], -v[196:197]
	v_mul_f64 v[2:3], v[2:3], v[194:195]
	v_fmac_f64_e32 v[2:3], v[4:5], v[192:193]
	scratch_load_dwordx4 v[192:195], off, s15
	v_add_f64 v[52:53], v[52:53], v[2:3]
	ds_read_b128 v[2:5], v49 offset:1456
	v_add_f64 v[10:11], v[10:11], v[196:197]
	s_waitcnt vmcnt(0) lgkmcnt(0)
	v_mul_f64 v[196:197], v[4:5], v[194:195]
	v_fma_f64 v[196:197], v[2:3], v[192:193], -v[196:197]
	v_mul_f64 v[2:3], v[2:3], v[194:195]
	v_fmac_f64_e32 v[2:3], v[4:5], v[192:193]
	scratch_load_dwordx4 v[192:195], off, s14
	v_add_f64 v[52:53], v[52:53], v[2:3]
	ds_read_b128 v[2:5], v49 offset:1472
	v_add_f64 v[10:11], v[10:11], v[196:197]
	s_waitcnt vmcnt(0) lgkmcnt(0)
	v_mul_f64 v[196:197], v[4:5], v[194:195]
	v_mul_f64 v[194:195], v[2:3], v[194:195]
	v_fma_f64 v[196:197], v[2:3], v[192:193], -v[196:197]
	v_fmac_f64_e32 v[194:195], v[4:5], v[192:193]
	v_add_f64 v[2:3], v[10:11], v[196:197]
	v_add_f64 v[4:5], v[52:53], v[194:195]
	s_andn2_b64 exec, exec, s[10:11]
	s_cbranch_execnz .LBB60_501
; %bb.502:
	s_or_b64 exec, exec, s[10:11]
.LBB60_503:
	s_or_b64 exec, exec, s[0:1]
	v_and_b32_e32 v7, 7, v0
	v_cmp_ne_u32_e32 vcc, 0, v7
	s_and_saveexec_b64 s[0:1], vcc
	s_cbranch_execz .LBB60_507
; %bb.504:
	v_lshlrev_b32_e32 v10, 4, v6
	v_add_u32_e32 v6, 0x3d0, v10
	v_add_u32_e32 v192, 0, v10
	s_mov_b64 s[10:11], 0
.LBB60_505:                             ; =>This Inner Loop Header: Depth=1
	scratch_load_dwordx4 v[194:197], v192, off
	ds_read_b128 v[198:201], v6
	v_add_u32_e32 v7, -1, v7
	v_cmp_eq_u32_e32 vcc, 0, v7
	v_add_u32_e32 v6, 16, v6
	v_add_u32_e32 v192, 16, v192
	s_or_b64 s[10:11], vcc, s[10:11]
	s_waitcnt vmcnt(0) lgkmcnt(0)
	v_mul_f64 v[10:11], v[200:201], v[196:197]
	v_mul_f64 v[52:53], v[198:199], v[196:197]
	v_fma_f64 v[10:11], v[198:199], v[194:195], -v[10:11]
	v_fmac_f64_e32 v[52:53], v[200:201], v[194:195]
	v_add_f64 v[2:3], v[2:3], v[10:11]
	v_add_f64 v[4:5], v[4:5], v[52:53]
	s_andn2_b64 exec, exec, s[10:11]
	s_cbranch_execnz .LBB60_505
; %bb.506:
	s_or_b64 exec, exec, s[10:11]
.LBB60_507:
	s_or_b64 exec, exec, s[0:1]
.LBB60_508:
	s_or_b64 exec, exec, s[8:9]
	v_mov_b32_e32 v6, 0
	ds_read_b128 v[192:195], v6 offset:368
	s_waitcnt lgkmcnt(0)
	v_mul_f64 v[6:7], v[4:5], v[194:195]
	v_mul_f64 v[196:197], v[2:3], v[194:195]
	v_fma_f64 v[194:195], v[2:3], v[192:193], -v[6:7]
	v_fmac_f64_e32 v[196:197], v[4:5], v[192:193]
	scratch_store_dwordx4 off, v[194:197], off offset:368
.LBB60_509:
	s_or_b64 exec, exec, s[4:5]
	scratch_load_dwordx4 v[2:5], v170, off
	v_cmp_lt_u32_e64 s[0:1], 22, v0
	s_waitcnt vmcnt(0)
	ds_write_b128 v9, v[2:5]
	s_waitcnt lgkmcnt(0)
	; wave barrier
	s_waitcnt lgkmcnt(0)
	s_and_saveexec_b64 s[4:5], s[0:1]
	s_cbranch_execz .LBB60_523
; %bb.510:
	ds_read_b128 v[2:5], v9
	s_andn2_b64 vcc, exec, s[6:7]
	s_cbranch_vccnz .LBB60_512
; %bb.511:
	scratch_load_dwordx4 v[192:195], v8, off
	s_waitcnt vmcnt(0) lgkmcnt(0)
	v_mul_f64 v[10:11], v[2:3], v[194:195]
	v_mul_f64 v[6:7], v[4:5], v[194:195]
	v_fmac_f64_e32 v[10:11], v[4:5], v[192:193]
	v_fma_f64 v[2:3], v[2:3], v[192:193], -v[6:7]
	v_mov_b64_e32 v[4:5], v[10:11]
.LBB60_512:
	s_and_saveexec_b64 s[8:9], s[2:3]
	s_cbranch_execz .LBB60_522
; %bb.513:
	v_subrev_u32_e32 v7, 24, v0
	v_subrev_u32_e32 v6, 23, v0
	v_cmp_lt_u32_e32 vcc, 6, v7
	v_mov_b32_e32 v193, 23
	s_and_saveexec_b64 s[2:3], vcc
	s_cbranch_execz .LBB60_517
; %bb.514:
	v_and_b32_e32 v7, -8, v6
	s_mov_b32 s12, 0
	s_mov_b64 s[10:11], 0
	v_mov_b32_e32 v192, 0
	s_mov_b32 s13, 0
.LBB60_515:                             ; =>This Inner Loop Header: Depth=1
	v_readfirstlane_b32 s14, v192
	s_add_i32 s14, s14, s12
	s_add_i32 s15, s14, 0x170
	v_mov_b32_e32 v49, s12
	ds_read_b128 v[194:197], v49 offset:1344
	ds_read_b128 v[198:201], v49 offset:1360
	;; [unrolled: 1-line block ×4, first 2 shown]
	scratch_load_dwordx4 v[210:213], off, s15
	s_add_i32 s15, s14, 0x180
	s_addk_i32 s12, 0x80
	s_waitcnt vmcnt(0) lgkmcnt(3)
	v_mul_f64 v[10:11], v[196:197], v[212:213]
	v_mul_f64 v[52:53], v[194:195], v[212:213]
	v_fma_f64 v[10:11], v[194:195], v[210:211], -v[10:11]
	v_fmac_f64_e32 v[52:53], v[196:197], v[210:211]
	v_add_f64 v[10:11], v[2:3], v[10:11]
	v_add_f64 v[52:53], v[4:5], v[52:53]
	scratch_load_dwordx4 v[2:5], off, s15
	s_add_i32 s15, s14, 0x190
	s_waitcnt vmcnt(0) lgkmcnt(2)
	v_mul_f64 v[194:195], v[200:201], v[4:5]
	v_mul_f64 v[4:5], v[198:199], v[4:5]
	v_fmac_f64_e32 v[4:5], v[200:201], v[2:3]
	v_fma_f64 v[194:195], v[198:199], v[2:3], -v[194:195]
	v_add_f64 v[52:53], v[52:53], v[4:5]
	scratch_load_dwordx4 v[2:5], off, s15
	v_add_f64 v[10:11], v[10:11], v[194:195]
	s_add_i32 s15, s14, 0x1a0
	s_waitcnt vmcnt(0) lgkmcnt(1)
	v_mul_f64 v[194:195], v[204:205], v[4:5]
	v_mul_f64 v[4:5], v[202:203], v[4:5]
	v_fmac_f64_e32 v[4:5], v[204:205], v[2:3]
	v_fma_f64 v[194:195], v[202:203], v[2:3], -v[194:195]
	v_add_f64 v[52:53], v[52:53], v[4:5]
	scratch_load_dwordx4 v[2:5], off, s15
	v_add_f64 v[10:11], v[10:11], v[194:195]
	s_add_i32 s15, s14, 0x1b0
	s_waitcnt vmcnt(0) lgkmcnt(0)
	v_mul_f64 v[194:195], v[208:209], v[4:5]
	v_fma_f64 v[194:195], v[206:207], v[2:3], -v[194:195]
	v_add_f64 v[10:11], v[10:11], v[194:195]
	scratch_load_dwordx4 v[194:197], off, s15
	v_mul_f64 v[4:5], v[206:207], v[4:5]
	v_fmac_f64_e32 v[4:5], v[208:209], v[2:3]
	v_add_f64 v[52:53], v[52:53], v[4:5]
	ds_read_b128 v[2:5], v49 offset:1408
	s_add_i32 s15, s14, 0x1c0
	s_waitcnt vmcnt(0) lgkmcnt(0)
	v_mul_f64 v[198:199], v[4:5], v[196:197]
	v_fma_f64 v[198:199], v[2:3], v[194:195], -v[198:199]
	v_mul_f64 v[2:3], v[2:3], v[196:197]
	v_fmac_f64_e32 v[2:3], v[4:5], v[194:195]
	scratch_load_dwordx4 v[194:197], off, s15
	v_add_f64 v[52:53], v[52:53], v[2:3]
	ds_read_b128 v[2:5], v49 offset:1424
	v_add_f64 v[10:11], v[10:11], v[198:199]
	s_add_i32 s15, s14, 0x1d0
	s_addk_i32 s14, 0x1e0
	s_waitcnt vmcnt(0) lgkmcnt(0)
	v_mul_f64 v[198:199], v[4:5], v[196:197]
	v_fma_f64 v[198:199], v[2:3], v[194:195], -v[198:199]
	v_mul_f64 v[2:3], v[2:3], v[196:197]
	v_fmac_f64_e32 v[2:3], v[4:5], v[194:195]
	scratch_load_dwordx4 v[194:197], off, s15
	v_add_f64 v[52:53], v[52:53], v[2:3]
	ds_read_b128 v[2:5], v49 offset:1440
	v_add_f64 v[10:11], v[10:11], v[198:199]
	s_waitcnt vmcnt(0) lgkmcnt(0)
	v_mul_f64 v[198:199], v[4:5], v[196:197]
	v_fma_f64 v[198:199], v[2:3], v[194:195], -v[198:199]
	v_mul_f64 v[2:3], v[2:3], v[196:197]
	v_fmac_f64_e32 v[2:3], v[4:5], v[194:195]
	scratch_load_dwordx4 v[194:197], off, s14
	v_add_f64 v[52:53], v[52:53], v[2:3]
	ds_read_b128 v[2:5], v49 offset:1456
	v_add_f64 v[10:11], v[10:11], v[198:199]
	s_add_i32 s14, s13, 8
	v_cmp_eq_u32_e32 vcc, s14, v7
	s_add_i32 s13, s13, 31
	s_or_b64 s[10:11], vcc, s[10:11]
	v_mov_b32_e32 v193, s13
	s_mov_b32 s13, s14
	s_waitcnt vmcnt(0) lgkmcnt(0)
	v_mul_f64 v[198:199], v[4:5], v[196:197]
	v_mul_f64 v[196:197], v[2:3], v[196:197]
	v_fma_f64 v[198:199], v[2:3], v[194:195], -v[198:199]
	v_fmac_f64_e32 v[196:197], v[4:5], v[194:195]
	v_add_f64 v[2:3], v[10:11], v[198:199]
	v_add_f64 v[4:5], v[52:53], v[196:197]
	s_andn2_b64 exec, exec, s[10:11]
	s_cbranch_execnz .LBB60_515
; %bb.516:
	s_or_b64 exec, exec, s[10:11]
.LBB60_517:
	s_or_b64 exec, exec, s[2:3]
	v_and_b32_e32 v6, 7, v6
	v_cmp_ne_u32_e32 vcc, 0, v6
	s_and_saveexec_b64 s[2:3], vcc
	s_cbranch_execz .LBB60_521
; %bb.518:
	v_lshlrev_b32_e32 v10, 4, v193
	v_add_u32_e32 v7, 0x3d0, v10
	v_add_u32_e32 v192, 0, v10
	s_mov_b64 s[10:11], 0
.LBB60_519:                             ; =>This Inner Loop Header: Depth=1
	scratch_load_dwordx4 v[194:197], v192, off
	ds_read_b128 v[198:201], v7
	v_add_u32_e32 v6, -1, v6
	v_cmp_eq_u32_e32 vcc, 0, v6
	v_add_u32_e32 v7, 16, v7
	v_add_u32_e32 v192, 16, v192
	s_or_b64 s[10:11], vcc, s[10:11]
	s_waitcnt vmcnt(0) lgkmcnt(0)
	v_mul_f64 v[10:11], v[200:201], v[196:197]
	v_mul_f64 v[52:53], v[198:199], v[196:197]
	v_fma_f64 v[10:11], v[198:199], v[194:195], -v[10:11]
	v_fmac_f64_e32 v[52:53], v[200:201], v[194:195]
	v_add_f64 v[2:3], v[2:3], v[10:11]
	v_add_f64 v[4:5], v[4:5], v[52:53]
	s_andn2_b64 exec, exec, s[10:11]
	s_cbranch_execnz .LBB60_519
; %bb.520:
	s_or_b64 exec, exec, s[10:11]
.LBB60_521:
	s_or_b64 exec, exec, s[2:3]
.LBB60_522:
	s_or_b64 exec, exec, s[8:9]
	v_mov_b32_e32 v6, 0
	ds_read_b128 v[192:195], v6 offset:352
	s_waitcnt lgkmcnt(0)
	v_mul_f64 v[6:7], v[4:5], v[194:195]
	v_mul_f64 v[196:197], v[2:3], v[194:195]
	v_fma_f64 v[194:195], v[2:3], v[192:193], -v[6:7]
	v_fmac_f64_e32 v[196:197], v[4:5], v[192:193]
	scratch_store_dwordx4 off, v[194:197], off offset:352
.LBB60_523:
	s_or_b64 exec, exec, s[4:5]
	scratch_load_dwordx4 v[2:5], v171, off
	v_cmp_lt_u32_e64 s[2:3], 21, v0
	s_waitcnt vmcnt(0)
	ds_write_b128 v9, v[2:5]
	s_waitcnt lgkmcnt(0)
	; wave barrier
	s_waitcnt lgkmcnt(0)
	s_and_saveexec_b64 s[4:5], s[2:3]
	s_cbranch_execz .LBB60_537
; %bb.524:
	ds_read_b128 v[2:5], v9
	s_andn2_b64 vcc, exec, s[6:7]
	s_cbranch_vccnz .LBB60_526
; %bb.525:
	scratch_load_dwordx4 v[192:195], v8, off
	s_waitcnt vmcnt(0) lgkmcnt(0)
	v_mul_f64 v[10:11], v[2:3], v[194:195]
	v_mul_f64 v[6:7], v[4:5], v[194:195]
	v_fmac_f64_e32 v[10:11], v[4:5], v[192:193]
	v_fma_f64 v[2:3], v[2:3], v[192:193], -v[6:7]
	v_mov_b64_e32 v[4:5], v[10:11]
.LBB60_526:
	s_and_saveexec_b64 s[8:9], s[0:1]
	s_cbranch_execz .LBB60_536
; %bb.527:
	v_subrev_u32_e32 v7, 23, v0
	v_subrev_u32_e32 v6, 22, v0
	v_cmp_lt_u32_e32 vcc, 6, v7
	v_mov_b32_e32 v193, 22
	s_and_saveexec_b64 s[0:1], vcc
	s_cbranch_execz .LBB60_531
; %bb.528:
	v_and_b32_e32 v7, -8, v6
	s_mov_b32 s12, 0
	s_mov_b64 s[10:11], 0
	v_mov_b32_e32 v192, 0
	s_mov_b32 s13, 0
.LBB60_529:                             ; =>This Inner Loop Header: Depth=1
	v_readfirstlane_b32 s14, v192
	s_add_i32 s14, s14, s12
	s_add_i32 s15, s14, 0x160
	v_mov_b32_e32 v49, s12
	ds_read_b128 v[194:197], v49 offset:1328
	ds_read_b128 v[198:201], v49 offset:1344
	;; [unrolled: 1-line block ×4, first 2 shown]
	scratch_load_dwordx4 v[210:213], off, s15
	s_add_i32 s15, s14, 0x170
	s_addk_i32 s12, 0x80
	s_waitcnt vmcnt(0) lgkmcnt(3)
	v_mul_f64 v[10:11], v[196:197], v[212:213]
	v_mul_f64 v[52:53], v[194:195], v[212:213]
	v_fma_f64 v[10:11], v[194:195], v[210:211], -v[10:11]
	v_fmac_f64_e32 v[52:53], v[196:197], v[210:211]
	v_add_f64 v[10:11], v[2:3], v[10:11]
	v_add_f64 v[52:53], v[4:5], v[52:53]
	scratch_load_dwordx4 v[2:5], off, s15
	s_add_i32 s15, s14, 0x180
	s_waitcnt vmcnt(0) lgkmcnt(2)
	v_mul_f64 v[194:195], v[200:201], v[4:5]
	v_mul_f64 v[4:5], v[198:199], v[4:5]
	v_fmac_f64_e32 v[4:5], v[200:201], v[2:3]
	v_fma_f64 v[194:195], v[198:199], v[2:3], -v[194:195]
	v_add_f64 v[52:53], v[52:53], v[4:5]
	scratch_load_dwordx4 v[2:5], off, s15
	v_add_f64 v[10:11], v[10:11], v[194:195]
	s_add_i32 s15, s14, 0x190
	s_waitcnt vmcnt(0) lgkmcnt(1)
	v_mul_f64 v[194:195], v[204:205], v[4:5]
	v_mul_f64 v[4:5], v[202:203], v[4:5]
	v_fmac_f64_e32 v[4:5], v[204:205], v[2:3]
	v_fma_f64 v[194:195], v[202:203], v[2:3], -v[194:195]
	v_add_f64 v[52:53], v[52:53], v[4:5]
	scratch_load_dwordx4 v[2:5], off, s15
	v_add_f64 v[10:11], v[10:11], v[194:195]
	s_add_i32 s15, s14, 0x1a0
	s_waitcnt vmcnt(0) lgkmcnt(0)
	v_mul_f64 v[194:195], v[208:209], v[4:5]
	v_fma_f64 v[194:195], v[206:207], v[2:3], -v[194:195]
	v_add_f64 v[10:11], v[10:11], v[194:195]
	scratch_load_dwordx4 v[194:197], off, s15
	v_mul_f64 v[4:5], v[206:207], v[4:5]
	v_fmac_f64_e32 v[4:5], v[208:209], v[2:3]
	v_add_f64 v[52:53], v[52:53], v[4:5]
	ds_read_b128 v[2:5], v49 offset:1392
	s_add_i32 s15, s14, 0x1b0
	s_waitcnt vmcnt(0) lgkmcnt(0)
	v_mul_f64 v[198:199], v[4:5], v[196:197]
	v_fma_f64 v[198:199], v[2:3], v[194:195], -v[198:199]
	v_mul_f64 v[2:3], v[2:3], v[196:197]
	v_fmac_f64_e32 v[2:3], v[4:5], v[194:195]
	scratch_load_dwordx4 v[194:197], off, s15
	v_add_f64 v[52:53], v[52:53], v[2:3]
	ds_read_b128 v[2:5], v49 offset:1408
	v_add_f64 v[10:11], v[10:11], v[198:199]
	s_add_i32 s15, s14, 0x1c0
	s_addk_i32 s14, 0x1d0
	s_waitcnt vmcnt(0) lgkmcnt(0)
	v_mul_f64 v[198:199], v[4:5], v[196:197]
	v_fma_f64 v[198:199], v[2:3], v[194:195], -v[198:199]
	v_mul_f64 v[2:3], v[2:3], v[196:197]
	v_fmac_f64_e32 v[2:3], v[4:5], v[194:195]
	scratch_load_dwordx4 v[194:197], off, s15
	v_add_f64 v[52:53], v[52:53], v[2:3]
	ds_read_b128 v[2:5], v49 offset:1424
	v_add_f64 v[10:11], v[10:11], v[198:199]
	s_waitcnt vmcnt(0) lgkmcnt(0)
	v_mul_f64 v[198:199], v[4:5], v[196:197]
	v_fma_f64 v[198:199], v[2:3], v[194:195], -v[198:199]
	v_mul_f64 v[2:3], v[2:3], v[196:197]
	v_fmac_f64_e32 v[2:3], v[4:5], v[194:195]
	scratch_load_dwordx4 v[194:197], off, s14
	v_add_f64 v[52:53], v[52:53], v[2:3]
	ds_read_b128 v[2:5], v49 offset:1440
	v_add_f64 v[10:11], v[10:11], v[198:199]
	s_add_i32 s14, s13, 8
	v_cmp_eq_u32_e32 vcc, s14, v7
	s_add_i32 s13, s13, 30
	s_or_b64 s[10:11], vcc, s[10:11]
	v_mov_b32_e32 v193, s13
	s_mov_b32 s13, s14
	s_waitcnt vmcnt(0) lgkmcnt(0)
	v_mul_f64 v[198:199], v[4:5], v[196:197]
	v_mul_f64 v[196:197], v[2:3], v[196:197]
	v_fma_f64 v[198:199], v[2:3], v[194:195], -v[198:199]
	v_fmac_f64_e32 v[196:197], v[4:5], v[194:195]
	v_add_f64 v[2:3], v[10:11], v[198:199]
	v_add_f64 v[4:5], v[52:53], v[196:197]
	s_andn2_b64 exec, exec, s[10:11]
	s_cbranch_execnz .LBB60_529
; %bb.530:
	s_or_b64 exec, exec, s[10:11]
.LBB60_531:
	s_or_b64 exec, exec, s[0:1]
	v_and_b32_e32 v6, 7, v6
	v_cmp_ne_u32_e32 vcc, 0, v6
	s_and_saveexec_b64 s[0:1], vcc
	s_cbranch_execz .LBB60_535
; %bb.532:
	v_lshlrev_b32_e32 v10, 4, v193
	v_add_u32_e32 v7, 0x3d0, v10
	v_add_u32_e32 v192, 0, v10
	s_mov_b64 s[10:11], 0
.LBB60_533:                             ; =>This Inner Loop Header: Depth=1
	scratch_load_dwordx4 v[194:197], v192, off
	ds_read_b128 v[198:201], v7
	v_add_u32_e32 v6, -1, v6
	v_cmp_eq_u32_e32 vcc, 0, v6
	v_add_u32_e32 v7, 16, v7
	v_add_u32_e32 v192, 16, v192
	s_or_b64 s[10:11], vcc, s[10:11]
	s_waitcnt vmcnt(0) lgkmcnt(0)
	v_mul_f64 v[10:11], v[200:201], v[196:197]
	v_mul_f64 v[52:53], v[198:199], v[196:197]
	v_fma_f64 v[10:11], v[198:199], v[194:195], -v[10:11]
	v_fmac_f64_e32 v[52:53], v[200:201], v[194:195]
	v_add_f64 v[2:3], v[2:3], v[10:11]
	v_add_f64 v[4:5], v[4:5], v[52:53]
	s_andn2_b64 exec, exec, s[10:11]
	s_cbranch_execnz .LBB60_533
; %bb.534:
	s_or_b64 exec, exec, s[10:11]
.LBB60_535:
	s_or_b64 exec, exec, s[0:1]
.LBB60_536:
	s_or_b64 exec, exec, s[8:9]
	v_mov_b32_e32 v6, 0
	ds_read_b128 v[192:195], v6 offset:336
	s_waitcnt lgkmcnt(0)
	v_mul_f64 v[6:7], v[4:5], v[194:195]
	v_mul_f64 v[196:197], v[2:3], v[194:195]
	v_fma_f64 v[194:195], v[2:3], v[192:193], -v[6:7]
	v_fmac_f64_e32 v[196:197], v[4:5], v[192:193]
	scratch_store_dwordx4 off, v[194:197], off offset:336
.LBB60_537:
	s_or_b64 exec, exec, s[4:5]
	scratch_load_dwordx4 v[2:5], v172, off
	v_cmp_lt_u32_e64 s[0:1], 20, v0
	s_waitcnt vmcnt(0)
	ds_write_b128 v9, v[2:5]
	s_waitcnt lgkmcnt(0)
	; wave barrier
	s_waitcnt lgkmcnt(0)
	s_and_saveexec_b64 s[4:5], s[0:1]
	s_cbranch_execz .LBB60_551
; %bb.538:
	ds_read_b128 v[2:5], v9
	s_andn2_b64 vcc, exec, s[6:7]
	s_cbranch_vccnz .LBB60_540
; %bb.539:
	scratch_load_dwordx4 v[192:195], v8, off
	s_waitcnt vmcnt(0) lgkmcnt(0)
	v_mul_f64 v[10:11], v[2:3], v[194:195]
	v_mul_f64 v[6:7], v[4:5], v[194:195]
	v_fmac_f64_e32 v[10:11], v[4:5], v[192:193]
	v_fma_f64 v[2:3], v[2:3], v[192:193], -v[6:7]
	v_mov_b64_e32 v[4:5], v[10:11]
.LBB60_540:
	s_and_saveexec_b64 s[8:9], s[2:3]
	s_cbranch_execz .LBB60_550
; %bb.541:
	v_subrev_u32_e32 v7, 22, v0
	v_subrev_u32_e32 v6, 21, v0
	v_cmp_lt_u32_e32 vcc, 6, v7
	v_mov_b32_e32 v193, 21
	s_and_saveexec_b64 s[2:3], vcc
	s_cbranch_execz .LBB60_545
; %bb.542:
	v_and_b32_e32 v7, -8, v6
	s_mov_b32 s12, 0
	s_mov_b64 s[10:11], 0
	v_mov_b32_e32 v192, 0
	s_mov_b32 s13, 0
.LBB60_543:                             ; =>This Inner Loop Header: Depth=1
	v_readfirstlane_b32 s14, v192
	s_add_i32 s14, s14, s12
	s_add_i32 s15, s14, 0x150
	v_mov_b32_e32 v49, s12
	ds_read_b128 v[194:197], v49 offset:1312
	ds_read_b128 v[198:201], v49 offset:1328
	;; [unrolled: 1-line block ×4, first 2 shown]
	scratch_load_dwordx4 v[210:213], off, s15
	s_add_i32 s15, s14, 0x160
	s_addk_i32 s12, 0x80
	s_waitcnt vmcnt(0) lgkmcnt(3)
	v_mul_f64 v[10:11], v[196:197], v[212:213]
	v_mul_f64 v[52:53], v[194:195], v[212:213]
	v_fma_f64 v[10:11], v[194:195], v[210:211], -v[10:11]
	v_fmac_f64_e32 v[52:53], v[196:197], v[210:211]
	v_add_f64 v[10:11], v[2:3], v[10:11]
	v_add_f64 v[52:53], v[4:5], v[52:53]
	scratch_load_dwordx4 v[2:5], off, s15
	s_add_i32 s15, s14, 0x170
	s_waitcnt vmcnt(0) lgkmcnt(2)
	v_mul_f64 v[194:195], v[200:201], v[4:5]
	v_mul_f64 v[4:5], v[198:199], v[4:5]
	v_fmac_f64_e32 v[4:5], v[200:201], v[2:3]
	v_fma_f64 v[194:195], v[198:199], v[2:3], -v[194:195]
	v_add_f64 v[52:53], v[52:53], v[4:5]
	scratch_load_dwordx4 v[2:5], off, s15
	v_add_f64 v[10:11], v[10:11], v[194:195]
	s_add_i32 s15, s14, 0x180
	s_waitcnt vmcnt(0) lgkmcnt(1)
	v_mul_f64 v[194:195], v[204:205], v[4:5]
	v_mul_f64 v[4:5], v[202:203], v[4:5]
	v_fmac_f64_e32 v[4:5], v[204:205], v[2:3]
	v_fma_f64 v[194:195], v[202:203], v[2:3], -v[194:195]
	v_add_f64 v[52:53], v[52:53], v[4:5]
	scratch_load_dwordx4 v[2:5], off, s15
	v_add_f64 v[10:11], v[10:11], v[194:195]
	s_add_i32 s15, s14, 0x190
	s_waitcnt vmcnt(0) lgkmcnt(0)
	v_mul_f64 v[194:195], v[208:209], v[4:5]
	v_fma_f64 v[194:195], v[206:207], v[2:3], -v[194:195]
	v_add_f64 v[10:11], v[10:11], v[194:195]
	scratch_load_dwordx4 v[194:197], off, s15
	v_mul_f64 v[4:5], v[206:207], v[4:5]
	v_fmac_f64_e32 v[4:5], v[208:209], v[2:3]
	v_add_f64 v[52:53], v[52:53], v[4:5]
	ds_read_b128 v[2:5], v49 offset:1376
	s_add_i32 s15, s14, 0x1a0
	s_waitcnt vmcnt(0) lgkmcnt(0)
	v_mul_f64 v[198:199], v[4:5], v[196:197]
	v_fma_f64 v[198:199], v[2:3], v[194:195], -v[198:199]
	v_mul_f64 v[2:3], v[2:3], v[196:197]
	v_fmac_f64_e32 v[2:3], v[4:5], v[194:195]
	scratch_load_dwordx4 v[194:197], off, s15
	v_add_f64 v[52:53], v[52:53], v[2:3]
	ds_read_b128 v[2:5], v49 offset:1392
	v_add_f64 v[10:11], v[10:11], v[198:199]
	s_add_i32 s15, s14, 0x1b0
	s_addk_i32 s14, 0x1c0
	s_waitcnt vmcnt(0) lgkmcnt(0)
	v_mul_f64 v[198:199], v[4:5], v[196:197]
	v_fma_f64 v[198:199], v[2:3], v[194:195], -v[198:199]
	v_mul_f64 v[2:3], v[2:3], v[196:197]
	v_fmac_f64_e32 v[2:3], v[4:5], v[194:195]
	scratch_load_dwordx4 v[194:197], off, s15
	v_add_f64 v[52:53], v[52:53], v[2:3]
	ds_read_b128 v[2:5], v49 offset:1408
	v_add_f64 v[10:11], v[10:11], v[198:199]
	s_waitcnt vmcnt(0) lgkmcnt(0)
	v_mul_f64 v[198:199], v[4:5], v[196:197]
	v_fma_f64 v[198:199], v[2:3], v[194:195], -v[198:199]
	v_mul_f64 v[2:3], v[2:3], v[196:197]
	v_fmac_f64_e32 v[2:3], v[4:5], v[194:195]
	scratch_load_dwordx4 v[194:197], off, s14
	v_add_f64 v[52:53], v[52:53], v[2:3]
	ds_read_b128 v[2:5], v49 offset:1424
	v_add_f64 v[10:11], v[10:11], v[198:199]
	s_add_i32 s14, s13, 8
	v_cmp_eq_u32_e32 vcc, s14, v7
	s_add_i32 s13, s13, 29
	s_or_b64 s[10:11], vcc, s[10:11]
	v_mov_b32_e32 v193, s13
	s_mov_b32 s13, s14
	s_waitcnt vmcnt(0) lgkmcnt(0)
	v_mul_f64 v[198:199], v[4:5], v[196:197]
	v_mul_f64 v[196:197], v[2:3], v[196:197]
	v_fma_f64 v[198:199], v[2:3], v[194:195], -v[198:199]
	v_fmac_f64_e32 v[196:197], v[4:5], v[194:195]
	v_add_f64 v[2:3], v[10:11], v[198:199]
	v_add_f64 v[4:5], v[52:53], v[196:197]
	s_andn2_b64 exec, exec, s[10:11]
	s_cbranch_execnz .LBB60_543
; %bb.544:
	s_or_b64 exec, exec, s[10:11]
.LBB60_545:
	s_or_b64 exec, exec, s[2:3]
	v_and_b32_e32 v6, 7, v6
	v_cmp_ne_u32_e32 vcc, 0, v6
	s_and_saveexec_b64 s[2:3], vcc
	s_cbranch_execz .LBB60_549
; %bb.546:
	v_lshlrev_b32_e32 v10, 4, v193
	v_add_u32_e32 v7, 0x3d0, v10
	v_add_u32_e32 v192, 0, v10
	s_mov_b64 s[10:11], 0
.LBB60_547:                             ; =>This Inner Loop Header: Depth=1
	scratch_load_dwordx4 v[194:197], v192, off
	ds_read_b128 v[198:201], v7
	v_add_u32_e32 v6, -1, v6
	v_cmp_eq_u32_e32 vcc, 0, v6
	v_add_u32_e32 v7, 16, v7
	v_add_u32_e32 v192, 16, v192
	s_or_b64 s[10:11], vcc, s[10:11]
	s_waitcnt vmcnt(0) lgkmcnt(0)
	v_mul_f64 v[10:11], v[200:201], v[196:197]
	v_mul_f64 v[52:53], v[198:199], v[196:197]
	v_fma_f64 v[10:11], v[198:199], v[194:195], -v[10:11]
	v_fmac_f64_e32 v[52:53], v[200:201], v[194:195]
	v_add_f64 v[2:3], v[2:3], v[10:11]
	v_add_f64 v[4:5], v[4:5], v[52:53]
	s_andn2_b64 exec, exec, s[10:11]
	s_cbranch_execnz .LBB60_547
; %bb.548:
	s_or_b64 exec, exec, s[10:11]
.LBB60_549:
	s_or_b64 exec, exec, s[2:3]
.LBB60_550:
	s_or_b64 exec, exec, s[8:9]
	v_mov_b32_e32 v6, 0
	ds_read_b128 v[192:195], v6 offset:320
	s_waitcnt lgkmcnt(0)
	v_mul_f64 v[6:7], v[4:5], v[194:195]
	v_mul_f64 v[196:197], v[2:3], v[194:195]
	v_fma_f64 v[194:195], v[2:3], v[192:193], -v[6:7]
	v_fmac_f64_e32 v[196:197], v[4:5], v[192:193]
	scratch_store_dwordx4 off, v[194:197], off offset:320
.LBB60_551:
	s_or_b64 exec, exec, s[4:5]
	scratch_load_dwordx4 v[2:5], v173, off
	v_cmp_lt_u32_e64 s[2:3], 19, v0
	s_waitcnt vmcnt(0)
	ds_write_b128 v9, v[2:5]
	s_waitcnt lgkmcnt(0)
	; wave barrier
	s_waitcnt lgkmcnt(0)
	s_and_saveexec_b64 s[4:5], s[2:3]
	s_cbranch_execz .LBB60_565
; %bb.552:
	ds_read_b128 v[2:5], v9
	s_andn2_b64 vcc, exec, s[6:7]
	s_cbranch_vccnz .LBB60_554
; %bb.553:
	scratch_load_dwordx4 v[192:195], v8, off
	s_waitcnt vmcnt(0) lgkmcnt(0)
	v_mul_f64 v[10:11], v[2:3], v[194:195]
	v_mul_f64 v[6:7], v[4:5], v[194:195]
	v_fmac_f64_e32 v[10:11], v[4:5], v[192:193]
	v_fma_f64 v[2:3], v[2:3], v[192:193], -v[6:7]
	v_mov_b64_e32 v[4:5], v[10:11]
.LBB60_554:
	s_and_saveexec_b64 s[8:9], s[0:1]
	s_cbranch_execz .LBB60_564
; %bb.555:
	v_subrev_u32_e32 v7, 21, v0
	v_subrev_u32_e32 v6, 20, v0
	v_cmp_lt_u32_e32 vcc, 6, v7
	v_mov_b32_e32 v193, 20
	s_and_saveexec_b64 s[0:1], vcc
	s_cbranch_execz .LBB60_559
; %bb.556:
	v_and_b32_e32 v7, -8, v6
	s_mov_b32 s12, 0
	s_mov_b64 s[10:11], 0
	v_mov_b32_e32 v192, 0
	s_mov_b32 s13, 0
.LBB60_557:                             ; =>This Inner Loop Header: Depth=1
	v_readfirstlane_b32 s14, v192
	s_add_i32 s14, s14, s12
	s_add_i32 s15, s14, 0x140
	v_mov_b32_e32 v49, s12
	ds_read_b128 v[194:197], v49 offset:1296
	ds_read_b128 v[198:201], v49 offset:1312
	;; [unrolled: 1-line block ×4, first 2 shown]
	scratch_load_dwordx4 v[210:213], off, s15
	s_add_i32 s15, s14, 0x150
	s_addk_i32 s12, 0x80
	s_waitcnt vmcnt(0) lgkmcnt(3)
	v_mul_f64 v[10:11], v[196:197], v[212:213]
	v_mul_f64 v[52:53], v[194:195], v[212:213]
	v_fma_f64 v[10:11], v[194:195], v[210:211], -v[10:11]
	v_fmac_f64_e32 v[52:53], v[196:197], v[210:211]
	v_add_f64 v[10:11], v[2:3], v[10:11]
	v_add_f64 v[52:53], v[4:5], v[52:53]
	scratch_load_dwordx4 v[2:5], off, s15
	s_add_i32 s15, s14, 0x160
	s_waitcnt vmcnt(0) lgkmcnt(2)
	v_mul_f64 v[194:195], v[200:201], v[4:5]
	v_mul_f64 v[4:5], v[198:199], v[4:5]
	v_fmac_f64_e32 v[4:5], v[200:201], v[2:3]
	v_fma_f64 v[194:195], v[198:199], v[2:3], -v[194:195]
	v_add_f64 v[52:53], v[52:53], v[4:5]
	scratch_load_dwordx4 v[2:5], off, s15
	v_add_f64 v[10:11], v[10:11], v[194:195]
	s_add_i32 s15, s14, 0x170
	s_waitcnt vmcnt(0) lgkmcnt(1)
	v_mul_f64 v[194:195], v[204:205], v[4:5]
	v_mul_f64 v[4:5], v[202:203], v[4:5]
	v_fmac_f64_e32 v[4:5], v[204:205], v[2:3]
	v_fma_f64 v[194:195], v[202:203], v[2:3], -v[194:195]
	v_add_f64 v[52:53], v[52:53], v[4:5]
	scratch_load_dwordx4 v[2:5], off, s15
	v_add_f64 v[10:11], v[10:11], v[194:195]
	s_add_i32 s15, s14, 0x180
	s_waitcnt vmcnt(0) lgkmcnt(0)
	v_mul_f64 v[194:195], v[208:209], v[4:5]
	v_fma_f64 v[194:195], v[206:207], v[2:3], -v[194:195]
	v_add_f64 v[10:11], v[10:11], v[194:195]
	scratch_load_dwordx4 v[194:197], off, s15
	v_mul_f64 v[4:5], v[206:207], v[4:5]
	v_fmac_f64_e32 v[4:5], v[208:209], v[2:3]
	v_add_f64 v[52:53], v[52:53], v[4:5]
	ds_read_b128 v[2:5], v49 offset:1360
	s_add_i32 s15, s14, 0x190
	s_waitcnt vmcnt(0) lgkmcnt(0)
	v_mul_f64 v[198:199], v[4:5], v[196:197]
	v_fma_f64 v[198:199], v[2:3], v[194:195], -v[198:199]
	v_mul_f64 v[2:3], v[2:3], v[196:197]
	v_fmac_f64_e32 v[2:3], v[4:5], v[194:195]
	scratch_load_dwordx4 v[194:197], off, s15
	v_add_f64 v[52:53], v[52:53], v[2:3]
	ds_read_b128 v[2:5], v49 offset:1376
	v_add_f64 v[10:11], v[10:11], v[198:199]
	s_add_i32 s15, s14, 0x1a0
	s_addk_i32 s14, 0x1b0
	s_waitcnt vmcnt(0) lgkmcnt(0)
	v_mul_f64 v[198:199], v[4:5], v[196:197]
	v_fma_f64 v[198:199], v[2:3], v[194:195], -v[198:199]
	v_mul_f64 v[2:3], v[2:3], v[196:197]
	v_fmac_f64_e32 v[2:3], v[4:5], v[194:195]
	scratch_load_dwordx4 v[194:197], off, s15
	v_add_f64 v[52:53], v[52:53], v[2:3]
	ds_read_b128 v[2:5], v49 offset:1392
	v_add_f64 v[10:11], v[10:11], v[198:199]
	s_waitcnt vmcnt(0) lgkmcnt(0)
	v_mul_f64 v[198:199], v[4:5], v[196:197]
	v_fma_f64 v[198:199], v[2:3], v[194:195], -v[198:199]
	v_mul_f64 v[2:3], v[2:3], v[196:197]
	v_fmac_f64_e32 v[2:3], v[4:5], v[194:195]
	scratch_load_dwordx4 v[194:197], off, s14
	v_add_f64 v[52:53], v[52:53], v[2:3]
	ds_read_b128 v[2:5], v49 offset:1408
	v_add_f64 v[10:11], v[10:11], v[198:199]
	s_add_i32 s14, s13, 8
	v_cmp_eq_u32_e32 vcc, s14, v7
	s_add_i32 s13, s13, 28
	s_or_b64 s[10:11], vcc, s[10:11]
	v_mov_b32_e32 v193, s13
	s_mov_b32 s13, s14
	s_waitcnt vmcnt(0) lgkmcnt(0)
	v_mul_f64 v[198:199], v[4:5], v[196:197]
	v_mul_f64 v[196:197], v[2:3], v[196:197]
	v_fma_f64 v[198:199], v[2:3], v[194:195], -v[198:199]
	v_fmac_f64_e32 v[196:197], v[4:5], v[194:195]
	v_add_f64 v[2:3], v[10:11], v[198:199]
	v_add_f64 v[4:5], v[52:53], v[196:197]
	s_andn2_b64 exec, exec, s[10:11]
	s_cbranch_execnz .LBB60_557
; %bb.558:
	s_or_b64 exec, exec, s[10:11]
.LBB60_559:
	s_or_b64 exec, exec, s[0:1]
	v_and_b32_e32 v6, 7, v6
	v_cmp_ne_u32_e32 vcc, 0, v6
	s_and_saveexec_b64 s[0:1], vcc
	s_cbranch_execz .LBB60_563
; %bb.560:
	v_lshlrev_b32_e32 v10, 4, v193
	v_add_u32_e32 v7, 0x3d0, v10
	v_add_u32_e32 v192, 0, v10
	s_mov_b64 s[10:11], 0
.LBB60_561:                             ; =>This Inner Loop Header: Depth=1
	scratch_load_dwordx4 v[194:197], v192, off
	ds_read_b128 v[198:201], v7
	v_add_u32_e32 v6, -1, v6
	v_cmp_eq_u32_e32 vcc, 0, v6
	v_add_u32_e32 v7, 16, v7
	v_add_u32_e32 v192, 16, v192
	s_or_b64 s[10:11], vcc, s[10:11]
	s_waitcnt vmcnt(0) lgkmcnt(0)
	v_mul_f64 v[10:11], v[200:201], v[196:197]
	v_mul_f64 v[52:53], v[198:199], v[196:197]
	v_fma_f64 v[10:11], v[198:199], v[194:195], -v[10:11]
	v_fmac_f64_e32 v[52:53], v[200:201], v[194:195]
	v_add_f64 v[2:3], v[2:3], v[10:11]
	v_add_f64 v[4:5], v[4:5], v[52:53]
	s_andn2_b64 exec, exec, s[10:11]
	s_cbranch_execnz .LBB60_561
; %bb.562:
	s_or_b64 exec, exec, s[10:11]
.LBB60_563:
	s_or_b64 exec, exec, s[0:1]
.LBB60_564:
	s_or_b64 exec, exec, s[8:9]
	v_mov_b32_e32 v6, 0
	ds_read_b128 v[192:195], v6 offset:304
	s_waitcnt lgkmcnt(0)
	v_mul_f64 v[6:7], v[4:5], v[194:195]
	v_mul_f64 v[196:197], v[2:3], v[194:195]
	v_fma_f64 v[194:195], v[2:3], v[192:193], -v[6:7]
	v_fmac_f64_e32 v[196:197], v[4:5], v[192:193]
	scratch_store_dwordx4 off, v[194:197], off offset:304
.LBB60_565:
	s_or_b64 exec, exec, s[4:5]
	scratch_load_dwordx4 v[2:5], v174, off
	v_cmp_lt_u32_e64 s[0:1], 18, v0
	s_waitcnt vmcnt(0)
	ds_write_b128 v9, v[2:5]
	s_waitcnt lgkmcnt(0)
	; wave barrier
	s_waitcnt lgkmcnt(0)
	s_and_saveexec_b64 s[4:5], s[0:1]
	s_cbranch_execz .LBB60_579
; %bb.566:
	ds_read_b128 v[2:5], v9
	s_andn2_b64 vcc, exec, s[6:7]
	s_cbranch_vccnz .LBB60_568
; %bb.567:
	scratch_load_dwordx4 v[192:195], v8, off
	s_waitcnt vmcnt(0) lgkmcnt(0)
	v_mul_f64 v[10:11], v[2:3], v[194:195]
	v_mul_f64 v[6:7], v[4:5], v[194:195]
	v_fmac_f64_e32 v[10:11], v[4:5], v[192:193]
	v_fma_f64 v[2:3], v[2:3], v[192:193], -v[6:7]
	v_mov_b64_e32 v[4:5], v[10:11]
.LBB60_568:
	s_and_saveexec_b64 s[8:9], s[2:3]
	s_cbranch_execz .LBB60_578
; %bb.569:
	v_subrev_u32_e32 v7, 20, v0
	v_subrev_u32_e32 v6, 19, v0
	v_cmp_lt_u32_e32 vcc, 6, v7
	v_mov_b32_e32 v193, 19
	s_and_saveexec_b64 s[2:3], vcc
	s_cbranch_execz .LBB60_573
; %bb.570:
	v_and_b32_e32 v7, -8, v6
	s_mov_b32 s12, 0
	s_mov_b64 s[10:11], 0
	v_mov_b32_e32 v192, 0
	s_mov_b32 s13, 0
.LBB60_571:                             ; =>This Inner Loop Header: Depth=1
	v_readfirstlane_b32 s14, v192
	s_add_i32 s14, s14, s12
	s_add_i32 s15, s14, 0x130
	v_mov_b32_e32 v49, s12
	ds_read_b128 v[194:197], v49 offset:1280
	ds_read_b128 v[198:201], v49 offset:1296
	;; [unrolled: 1-line block ×4, first 2 shown]
	scratch_load_dwordx4 v[210:213], off, s15
	s_add_i32 s15, s14, 0x140
	s_addk_i32 s12, 0x80
	s_waitcnt vmcnt(0) lgkmcnt(3)
	v_mul_f64 v[10:11], v[196:197], v[212:213]
	v_mul_f64 v[52:53], v[194:195], v[212:213]
	v_fma_f64 v[10:11], v[194:195], v[210:211], -v[10:11]
	v_fmac_f64_e32 v[52:53], v[196:197], v[210:211]
	v_add_f64 v[10:11], v[2:3], v[10:11]
	v_add_f64 v[52:53], v[4:5], v[52:53]
	scratch_load_dwordx4 v[2:5], off, s15
	s_add_i32 s15, s14, 0x150
	s_waitcnt vmcnt(0) lgkmcnt(2)
	v_mul_f64 v[194:195], v[200:201], v[4:5]
	v_mul_f64 v[4:5], v[198:199], v[4:5]
	v_fmac_f64_e32 v[4:5], v[200:201], v[2:3]
	v_fma_f64 v[194:195], v[198:199], v[2:3], -v[194:195]
	v_add_f64 v[52:53], v[52:53], v[4:5]
	scratch_load_dwordx4 v[2:5], off, s15
	v_add_f64 v[10:11], v[10:11], v[194:195]
	s_add_i32 s15, s14, 0x160
	s_waitcnt vmcnt(0) lgkmcnt(1)
	v_mul_f64 v[194:195], v[204:205], v[4:5]
	v_mul_f64 v[4:5], v[202:203], v[4:5]
	v_fmac_f64_e32 v[4:5], v[204:205], v[2:3]
	v_fma_f64 v[194:195], v[202:203], v[2:3], -v[194:195]
	v_add_f64 v[52:53], v[52:53], v[4:5]
	scratch_load_dwordx4 v[2:5], off, s15
	v_add_f64 v[10:11], v[10:11], v[194:195]
	s_add_i32 s15, s14, 0x170
	s_waitcnt vmcnt(0) lgkmcnt(0)
	v_mul_f64 v[194:195], v[208:209], v[4:5]
	v_fma_f64 v[194:195], v[206:207], v[2:3], -v[194:195]
	v_add_f64 v[10:11], v[10:11], v[194:195]
	scratch_load_dwordx4 v[194:197], off, s15
	v_mul_f64 v[4:5], v[206:207], v[4:5]
	v_fmac_f64_e32 v[4:5], v[208:209], v[2:3]
	v_add_f64 v[52:53], v[52:53], v[4:5]
	ds_read_b128 v[2:5], v49 offset:1344
	s_add_i32 s15, s14, 0x180
	s_waitcnt vmcnt(0) lgkmcnt(0)
	v_mul_f64 v[198:199], v[4:5], v[196:197]
	v_fma_f64 v[198:199], v[2:3], v[194:195], -v[198:199]
	v_mul_f64 v[2:3], v[2:3], v[196:197]
	v_fmac_f64_e32 v[2:3], v[4:5], v[194:195]
	scratch_load_dwordx4 v[194:197], off, s15
	v_add_f64 v[52:53], v[52:53], v[2:3]
	ds_read_b128 v[2:5], v49 offset:1360
	v_add_f64 v[10:11], v[10:11], v[198:199]
	s_add_i32 s15, s14, 0x190
	s_addk_i32 s14, 0x1a0
	s_waitcnt vmcnt(0) lgkmcnt(0)
	v_mul_f64 v[198:199], v[4:5], v[196:197]
	v_fma_f64 v[198:199], v[2:3], v[194:195], -v[198:199]
	v_mul_f64 v[2:3], v[2:3], v[196:197]
	v_fmac_f64_e32 v[2:3], v[4:5], v[194:195]
	scratch_load_dwordx4 v[194:197], off, s15
	v_add_f64 v[52:53], v[52:53], v[2:3]
	ds_read_b128 v[2:5], v49 offset:1376
	v_add_f64 v[10:11], v[10:11], v[198:199]
	s_waitcnt vmcnt(0) lgkmcnt(0)
	v_mul_f64 v[198:199], v[4:5], v[196:197]
	v_fma_f64 v[198:199], v[2:3], v[194:195], -v[198:199]
	v_mul_f64 v[2:3], v[2:3], v[196:197]
	v_fmac_f64_e32 v[2:3], v[4:5], v[194:195]
	scratch_load_dwordx4 v[194:197], off, s14
	v_add_f64 v[52:53], v[52:53], v[2:3]
	ds_read_b128 v[2:5], v49 offset:1392
	v_add_f64 v[10:11], v[10:11], v[198:199]
	s_add_i32 s14, s13, 8
	v_cmp_eq_u32_e32 vcc, s14, v7
	s_add_i32 s13, s13, 27
	s_or_b64 s[10:11], vcc, s[10:11]
	v_mov_b32_e32 v193, s13
	s_mov_b32 s13, s14
	s_waitcnt vmcnt(0) lgkmcnt(0)
	v_mul_f64 v[198:199], v[4:5], v[196:197]
	v_mul_f64 v[196:197], v[2:3], v[196:197]
	v_fma_f64 v[198:199], v[2:3], v[194:195], -v[198:199]
	v_fmac_f64_e32 v[196:197], v[4:5], v[194:195]
	v_add_f64 v[2:3], v[10:11], v[198:199]
	v_add_f64 v[4:5], v[52:53], v[196:197]
	s_andn2_b64 exec, exec, s[10:11]
	s_cbranch_execnz .LBB60_571
; %bb.572:
	s_or_b64 exec, exec, s[10:11]
.LBB60_573:
	s_or_b64 exec, exec, s[2:3]
	v_and_b32_e32 v6, 7, v6
	v_cmp_ne_u32_e32 vcc, 0, v6
	s_and_saveexec_b64 s[2:3], vcc
	s_cbranch_execz .LBB60_577
; %bb.574:
	v_lshlrev_b32_e32 v10, 4, v193
	v_add_u32_e32 v7, 0x3d0, v10
	v_add_u32_e32 v192, 0, v10
	s_mov_b64 s[10:11], 0
.LBB60_575:                             ; =>This Inner Loop Header: Depth=1
	scratch_load_dwordx4 v[194:197], v192, off
	ds_read_b128 v[198:201], v7
	v_add_u32_e32 v6, -1, v6
	v_cmp_eq_u32_e32 vcc, 0, v6
	v_add_u32_e32 v7, 16, v7
	v_add_u32_e32 v192, 16, v192
	s_or_b64 s[10:11], vcc, s[10:11]
	s_waitcnt vmcnt(0) lgkmcnt(0)
	v_mul_f64 v[10:11], v[200:201], v[196:197]
	v_mul_f64 v[52:53], v[198:199], v[196:197]
	v_fma_f64 v[10:11], v[198:199], v[194:195], -v[10:11]
	v_fmac_f64_e32 v[52:53], v[200:201], v[194:195]
	v_add_f64 v[2:3], v[2:3], v[10:11]
	v_add_f64 v[4:5], v[4:5], v[52:53]
	s_andn2_b64 exec, exec, s[10:11]
	s_cbranch_execnz .LBB60_575
; %bb.576:
	s_or_b64 exec, exec, s[10:11]
.LBB60_577:
	s_or_b64 exec, exec, s[2:3]
.LBB60_578:
	s_or_b64 exec, exec, s[8:9]
	v_mov_b32_e32 v6, 0
	ds_read_b128 v[192:195], v6 offset:288
	s_waitcnt lgkmcnt(0)
	v_mul_f64 v[6:7], v[4:5], v[194:195]
	v_mul_f64 v[196:197], v[2:3], v[194:195]
	v_fma_f64 v[194:195], v[2:3], v[192:193], -v[6:7]
	v_fmac_f64_e32 v[196:197], v[4:5], v[192:193]
	scratch_store_dwordx4 off, v[194:197], off offset:288
.LBB60_579:
	s_or_b64 exec, exec, s[4:5]
	scratch_load_dwordx4 v[2:5], v175, off
	v_cmp_lt_u32_e64 s[2:3], 17, v0
	s_waitcnt vmcnt(0)
	ds_write_b128 v9, v[2:5]
	s_waitcnt lgkmcnt(0)
	; wave barrier
	s_waitcnt lgkmcnt(0)
	s_and_saveexec_b64 s[4:5], s[2:3]
	s_cbranch_execz .LBB60_593
; %bb.580:
	ds_read_b128 v[2:5], v9
	s_andn2_b64 vcc, exec, s[6:7]
	s_cbranch_vccnz .LBB60_582
; %bb.581:
	scratch_load_dwordx4 v[192:195], v8, off
	s_waitcnt vmcnt(0) lgkmcnt(0)
	v_mul_f64 v[10:11], v[2:3], v[194:195]
	v_mul_f64 v[6:7], v[4:5], v[194:195]
	v_fmac_f64_e32 v[10:11], v[4:5], v[192:193]
	v_fma_f64 v[2:3], v[2:3], v[192:193], -v[6:7]
	v_mov_b64_e32 v[4:5], v[10:11]
.LBB60_582:
	s_and_saveexec_b64 s[8:9], s[0:1]
	s_cbranch_execz .LBB60_592
; %bb.583:
	v_subrev_u32_e32 v7, 19, v0
	v_subrev_u32_e32 v6, 18, v0
	v_cmp_lt_u32_e32 vcc, 6, v7
	v_mov_b32_e32 v193, 18
	s_and_saveexec_b64 s[0:1], vcc
	s_cbranch_execz .LBB60_587
; %bb.584:
	v_and_b32_e32 v7, -8, v6
	s_mov_b32 s12, 0
	s_mov_b64 s[10:11], 0
	v_mov_b32_e32 v192, 0
	s_mov_b32 s13, 0
.LBB60_585:                             ; =>This Inner Loop Header: Depth=1
	v_readfirstlane_b32 s14, v192
	s_add_i32 s14, s14, s12
	s_add_i32 s15, s14, 0x120
	v_mov_b32_e32 v49, s12
	ds_read_b128 v[194:197], v49 offset:1264
	ds_read_b128 v[198:201], v49 offset:1280
	;; [unrolled: 1-line block ×4, first 2 shown]
	scratch_load_dwordx4 v[210:213], off, s15
	s_add_i32 s15, s14, 0x130
	s_addk_i32 s12, 0x80
	s_waitcnt vmcnt(0) lgkmcnt(3)
	v_mul_f64 v[10:11], v[196:197], v[212:213]
	v_mul_f64 v[52:53], v[194:195], v[212:213]
	v_fma_f64 v[10:11], v[194:195], v[210:211], -v[10:11]
	v_fmac_f64_e32 v[52:53], v[196:197], v[210:211]
	v_add_f64 v[10:11], v[2:3], v[10:11]
	v_add_f64 v[52:53], v[4:5], v[52:53]
	scratch_load_dwordx4 v[2:5], off, s15
	s_add_i32 s15, s14, 0x140
	s_waitcnt vmcnt(0) lgkmcnt(2)
	v_mul_f64 v[194:195], v[200:201], v[4:5]
	v_mul_f64 v[4:5], v[198:199], v[4:5]
	v_fmac_f64_e32 v[4:5], v[200:201], v[2:3]
	v_fma_f64 v[194:195], v[198:199], v[2:3], -v[194:195]
	v_add_f64 v[52:53], v[52:53], v[4:5]
	scratch_load_dwordx4 v[2:5], off, s15
	v_add_f64 v[10:11], v[10:11], v[194:195]
	s_add_i32 s15, s14, 0x150
	s_waitcnt vmcnt(0) lgkmcnt(1)
	v_mul_f64 v[194:195], v[204:205], v[4:5]
	v_mul_f64 v[4:5], v[202:203], v[4:5]
	v_fmac_f64_e32 v[4:5], v[204:205], v[2:3]
	v_fma_f64 v[194:195], v[202:203], v[2:3], -v[194:195]
	v_add_f64 v[52:53], v[52:53], v[4:5]
	scratch_load_dwordx4 v[2:5], off, s15
	v_add_f64 v[10:11], v[10:11], v[194:195]
	s_add_i32 s15, s14, 0x160
	s_waitcnt vmcnt(0) lgkmcnt(0)
	v_mul_f64 v[194:195], v[208:209], v[4:5]
	v_fma_f64 v[194:195], v[206:207], v[2:3], -v[194:195]
	v_add_f64 v[10:11], v[10:11], v[194:195]
	scratch_load_dwordx4 v[194:197], off, s15
	v_mul_f64 v[4:5], v[206:207], v[4:5]
	v_fmac_f64_e32 v[4:5], v[208:209], v[2:3]
	v_add_f64 v[52:53], v[52:53], v[4:5]
	ds_read_b128 v[2:5], v49 offset:1328
	s_add_i32 s15, s14, 0x170
	s_waitcnt vmcnt(0) lgkmcnt(0)
	v_mul_f64 v[198:199], v[4:5], v[196:197]
	v_fma_f64 v[198:199], v[2:3], v[194:195], -v[198:199]
	v_mul_f64 v[2:3], v[2:3], v[196:197]
	v_fmac_f64_e32 v[2:3], v[4:5], v[194:195]
	scratch_load_dwordx4 v[194:197], off, s15
	v_add_f64 v[52:53], v[52:53], v[2:3]
	ds_read_b128 v[2:5], v49 offset:1344
	v_add_f64 v[10:11], v[10:11], v[198:199]
	s_add_i32 s15, s14, 0x180
	s_addk_i32 s14, 0x190
	s_waitcnt vmcnt(0) lgkmcnt(0)
	v_mul_f64 v[198:199], v[4:5], v[196:197]
	v_fma_f64 v[198:199], v[2:3], v[194:195], -v[198:199]
	v_mul_f64 v[2:3], v[2:3], v[196:197]
	v_fmac_f64_e32 v[2:3], v[4:5], v[194:195]
	scratch_load_dwordx4 v[194:197], off, s15
	v_add_f64 v[52:53], v[52:53], v[2:3]
	ds_read_b128 v[2:5], v49 offset:1360
	v_add_f64 v[10:11], v[10:11], v[198:199]
	s_waitcnt vmcnt(0) lgkmcnt(0)
	v_mul_f64 v[198:199], v[4:5], v[196:197]
	v_fma_f64 v[198:199], v[2:3], v[194:195], -v[198:199]
	v_mul_f64 v[2:3], v[2:3], v[196:197]
	v_fmac_f64_e32 v[2:3], v[4:5], v[194:195]
	scratch_load_dwordx4 v[194:197], off, s14
	v_add_f64 v[52:53], v[52:53], v[2:3]
	ds_read_b128 v[2:5], v49 offset:1376
	v_add_f64 v[10:11], v[10:11], v[198:199]
	s_add_i32 s14, s13, 8
	v_cmp_eq_u32_e32 vcc, s14, v7
	s_add_i32 s13, s13, 26
	s_or_b64 s[10:11], vcc, s[10:11]
	v_mov_b32_e32 v193, s13
	s_mov_b32 s13, s14
	s_waitcnt vmcnt(0) lgkmcnt(0)
	v_mul_f64 v[198:199], v[4:5], v[196:197]
	v_mul_f64 v[196:197], v[2:3], v[196:197]
	v_fma_f64 v[198:199], v[2:3], v[194:195], -v[198:199]
	v_fmac_f64_e32 v[196:197], v[4:5], v[194:195]
	v_add_f64 v[2:3], v[10:11], v[198:199]
	v_add_f64 v[4:5], v[52:53], v[196:197]
	s_andn2_b64 exec, exec, s[10:11]
	s_cbranch_execnz .LBB60_585
; %bb.586:
	s_or_b64 exec, exec, s[10:11]
.LBB60_587:
	s_or_b64 exec, exec, s[0:1]
	v_and_b32_e32 v6, 7, v6
	v_cmp_ne_u32_e32 vcc, 0, v6
	s_and_saveexec_b64 s[0:1], vcc
	s_cbranch_execz .LBB60_591
; %bb.588:
	v_lshlrev_b32_e32 v10, 4, v193
	v_add_u32_e32 v7, 0x3d0, v10
	v_add_u32_e32 v192, 0, v10
	s_mov_b64 s[10:11], 0
.LBB60_589:                             ; =>This Inner Loop Header: Depth=1
	scratch_load_dwordx4 v[194:197], v192, off
	ds_read_b128 v[198:201], v7
	v_add_u32_e32 v6, -1, v6
	v_cmp_eq_u32_e32 vcc, 0, v6
	v_add_u32_e32 v7, 16, v7
	v_add_u32_e32 v192, 16, v192
	s_or_b64 s[10:11], vcc, s[10:11]
	s_waitcnt vmcnt(0) lgkmcnt(0)
	v_mul_f64 v[10:11], v[200:201], v[196:197]
	v_mul_f64 v[52:53], v[198:199], v[196:197]
	v_fma_f64 v[10:11], v[198:199], v[194:195], -v[10:11]
	v_fmac_f64_e32 v[52:53], v[200:201], v[194:195]
	v_add_f64 v[2:3], v[2:3], v[10:11]
	v_add_f64 v[4:5], v[4:5], v[52:53]
	s_andn2_b64 exec, exec, s[10:11]
	s_cbranch_execnz .LBB60_589
; %bb.590:
	s_or_b64 exec, exec, s[10:11]
.LBB60_591:
	s_or_b64 exec, exec, s[0:1]
.LBB60_592:
	s_or_b64 exec, exec, s[8:9]
	v_mov_b32_e32 v6, 0
	ds_read_b128 v[192:195], v6 offset:272
	s_waitcnt lgkmcnt(0)
	v_mul_f64 v[6:7], v[4:5], v[194:195]
	v_mul_f64 v[196:197], v[2:3], v[194:195]
	v_fma_f64 v[194:195], v[2:3], v[192:193], -v[6:7]
	v_fmac_f64_e32 v[196:197], v[4:5], v[192:193]
	scratch_store_dwordx4 off, v[194:197], off offset:272
.LBB60_593:
	s_or_b64 exec, exec, s[4:5]
	scratch_load_dwordx4 v[2:5], v176, off
	v_cmp_lt_u32_e64 s[0:1], 16, v0
	s_waitcnt vmcnt(0)
	ds_write_b128 v9, v[2:5]
	s_waitcnt lgkmcnt(0)
	; wave barrier
	s_waitcnt lgkmcnt(0)
	s_and_saveexec_b64 s[4:5], s[0:1]
	s_cbranch_execz .LBB60_607
; %bb.594:
	ds_read_b128 v[2:5], v9
	s_andn2_b64 vcc, exec, s[6:7]
	s_cbranch_vccnz .LBB60_596
; %bb.595:
	scratch_load_dwordx4 v[192:195], v8, off
	s_waitcnt vmcnt(0) lgkmcnt(0)
	v_mul_f64 v[10:11], v[2:3], v[194:195]
	v_mul_f64 v[6:7], v[4:5], v[194:195]
	v_fmac_f64_e32 v[10:11], v[4:5], v[192:193]
	v_fma_f64 v[2:3], v[2:3], v[192:193], -v[6:7]
	v_mov_b64_e32 v[4:5], v[10:11]
.LBB60_596:
	s_and_saveexec_b64 s[8:9], s[2:3]
	s_cbranch_execz .LBB60_606
; %bb.597:
	v_subrev_u32_e32 v7, 18, v0
	v_subrev_u32_e32 v6, 17, v0
	v_cmp_lt_u32_e32 vcc, 6, v7
	v_mov_b32_e32 v193, 17
	s_and_saveexec_b64 s[2:3], vcc
	s_cbranch_execz .LBB60_601
; %bb.598:
	v_and_b32_e32 v7, -8, v6
	s_mov_b32 s12, 0
	s_mov_b64 s[10:11], 0
	v_mov_b32_e32 v192, 0
	s_mov_b32 s13, 0
.LBB60_599:                             ; =>This Inner Loop Header: Depth=1
	v_readfirstlane_b32 s14, v192
	s_add_i32 s14, s14, s12
	s_add_i32 s15, s14, 0x110
	v_mov_b32_e32 v49, s12
	ds_read_b128 v[194:197], v49 offset:1248
	ds_read_b128 v[198:201], v49 offset:1264
	;; [unrolled: 1-line block ×4, first 2 shown]
	scratch_load_dwordx4 v[210:213], off, s15
	s_add_i32 s15, s14, 0x120
	s_addk_i32 s12, 0x80
	s_waitcnt vmcnt(0) lgkmcnt(3)
	v_mul_f64 v[10:11], v[196:197], v[212:213]
	v_mul_f64 v[52:53], v[194:195], v[212:213]
	v_fma_f64 v[10:11], v[194:195], v[210:211], -v[10:11]
	v_fmac_f64_e32 v[52:53], v[196:197], v[210:211]
	v_add_f64 v[10:11], v[2:3], v[10:11]
	v_add_f64 v[52:53], v[4:5], v[52:53]
	scratch_load_dwordx4 v[2:5], off, s15
	s_add_i32 s15, s14, 0x130
	s_waitcnt vmcnt(0) lgkmcnt(2)
	v_mul_f64 v[194:195], v[200:201], v[4:5]
	v_mul_f64 v[4:5], v[198:199], v[4:5]
	v_fmac_f64_e32 v[4:5], v[200:201], v[2:3]
	v_fma_f64 v[194:195], v[198:199], v[2:3], -v[194:195]
	v_add_f64 v[52:53], v[52:53], v[4:5]
	scratch_load_dwordx4 v[2:5], off, s15
	v_add_f64 v[10:11], v[10:11], v[194:195]
	s_add_i32 s15, s14, 0x140
	s_waitcnt vmcnt(0) lgkmcnt(1)
	v_mul_f64 v[194:195], v[204:205], v[4:5]
	v_mul_f64 v[4:5], v[202:203], v[4:5]
	v_fmac_f64_e32 v[4:5], v[204:205], v[2:3]
	v_fma_f64 v[194:195], v[202:203], v[2:3], -v[194:195]
	v_add_f64 v[52:53], v[52:53], v[4:5]
	scratch_load_dwordx4 v[2:5], off, s15
	v_add_f64 v[10:11], v[10:11], v[194:195]
	s_add_i32 s15, s14, 0x150
	s_waitcnt vmcnt(0) lgkmcnt(0)
	v_mul_f64 v[194:195], v[208:209], v[4:5]
	v_fma_f64 v[194:195], v[206:207], v[2:3], -v[194:195]
	v_add_f64 v[10:11], v[10:11], v[194:195]
	scratch_load_dwordx4 v[194:197], off, s15
	v_mul_f64 v[4:5], v[206:207], v[4:5]
	v_fmac_f64_e32 v[4:5], v[208:209], v[2:3]
	v_add_f64 v[52:53], v[52:53], v[4:5]
	ds_read_b128 v[2:5], v49 offset:1312
	s_add_i32 s15, s14, 0x160
	s_waitcnt vmcnt(0) lgkmcnt(0)
	v_mul_f64 v[198:199], v[4:5], v[196:197]
	v_fma_f64 v[198:199], v[2:3], v[194:195], -v[198:199]
	v_mul_f64 v[2:3], v[2:3], v[196:197]
	v_fmac_f64_e32 v[2:3], v[4:5], v[194:195]
	scratch_load_dwordx4 v[194:197], off, s15
	v_add_f64 v[52:53], v[52:53], v[2:3]
	ds_read_b128 v[2:5], v49 offset:1328
	v_add_f64 v[10:11], v[10:11], v[198:199]
	s_add_i32 s15, s14, 0x170
	s_addk_i32 s14, 0x180
	s_waitcnt vmcnt(0) lgkmcnt(0)
	v_mul_f64 v[198:199], v[4:5], v[196:197]
	v_fma_f64 v[198:199], v[2:3], v[194:195], -v[198:199]
	v_mul_f64 v[2:3], v[2:3], v[196:197]
	v_fmac_f64_e32 v[2:3], v[4:5], v[194:195]
	scratch_load_dwordx4 v[194:197], off, s15
	v_add_f64 v[52:53], v[52:53], v[2:3]
	ds_read_b128 v[2:5], v49 offset:1344
	v_add_f64 v[10:11], v[10:11], v[198:199]
	s_waitcnt vmcnt(0) lgkmcnt(0)
	v_mul_f64 v[198:199], v[4:5], v[196:197]
	v_fma_f64 v[198:199], v[2:3], v[194:195], -v[198:199]
	v_mul_f64 v[2:3], v[2:3], v[196:197]
	v_fmac_f64_e32 v[2:3], v[4:5], v[194:195]
	scratch_load_dwordx4 v[194:197], off, s14
	v_add_f64 v[52:53], v[52:53], v[2:3]
	ds_read_b128 v[2:5], v49 offset:1360
	v_add_f64 v[10:11], v[10:11], v[198:199]
	s_add_i32 s14, s13, 8
	v_cmp_eq_u32_e32 vcc, s14, v7
	s_add_i32 s13, s13, 25
	s_or_b64 s[10:11], vcc, s[10:11]
	v_mov_b32_e32 v193, s13
	s_mov_b32 s13, s14
	s_waitcnt vmcnt(0) lgkmcnt(0)
	v_mul_f64 v[198:199], v[4:5], v[196:197]
	v_mul_f64 v[196:197], v[2:3], v[196:197]
	v_fma_f64 v[198:199], v[2:3], v[194:195], -v[198:199]
	v_fmac_f64_e32 v[196:197], v[4:5], v[194:195]
	v_add_f64 v[2:3], v[10:11], v[198:199]
	v_add_f64 v[4:5], v[52:53], v[196:197]
	s_andn2_b64 exec, exec, s[10:11]
	s_cbranch_execnz .LBB60_599
; %bb.600:
	s_or_b64 exec, exec, s[10:11]
.LBB60_601:
	s_or_b64 exec, exec, s[2:3]
	v_and_b32_e32 v6, 7, v6
	v_cmp_ne_u32_e32 vcc, 0, v6
	s_and_saveexec_b64 s[2:3], vcc
	s_cbranch_execz .LBB60_605
; %bb.602:
	v_lshlrev_b32_e32 v10, 4, v193
	v_add_u32_e32 v7, 0x3d0, v10
	v_add_u32_e32 v192, 0, v10
	s_mov_b64 s[10:11], 0
.LBB60_603:                             ; =>This Inner Loop Header: Depth=1
	scratch_load_dwordx4 v[194:197], v192, off
	ds_read_b128 v[198:201], v7
	v_add_u32_e32 v6, -1, v6
	v_cmp_eq_u32_e32 vcc, 0, v6
	v_add_u32_e32 v7, 16, v7
	v_add_u32_e32 v192, 16, v192
	s_or_b64 s[10:11], vcc, s[10:11]
	s_waitcnt vmcnt(0) lgkmcnt(0)
	v_mul_f64 v[10:11], v[200:201], v[196:197]
	v_mul_f64 v[52:53], v[198:199], v[196:197]
	v_fma_f64 v[10:11], v[198:199], v[194:195], -v[10:11]
	v_fmac_f64_e32 v[52:53], v[200:201], v[194:195]
	v_add_f64 v[2:3], v[2:3], v[10:11]
	v_add_f64 v[4:5], v[4:5], v[52:53]
	s_andn2_b64 exec, exec, s[10:11]
	s_cbranch_execnz .LBB60_603
; %bb.604:
	s_or_b64 exec, exec, s[10:11]
.LBB60_605:
	s_or_b64 exec, exec, s[2:3]
.LBB60_606:
	s_or_b64 exec, exec, s[8:9]
	v_mov_b32_e32 v6, 0
	ds_read_b128 v[192:195], v6 offset:256
	s_waitcnt lgkmcnt(0)
	v_mul_f64 v[6:7], v[4:5], v[194:195]
	v_mul_f64 v[196:197], v[2:3], v[194:195]
	v_fma_f64 v[194:195], v[2:3], v[192:193], -v[6:7]
	v_fmac_f64_e32 v[196:197], v[4:5], v[192:193]
	scratch_store_dwordx4 off, v[194:197], off offset:256
.LBB60_607:
	s_or_b64 exec, exec, s[4:5]
	scratch_load_dwordx4 v[2:5], v177, off
	v_cmp_lt_u32_e64 s[2:3], 15, v0
	s_waitcnt vmcnt(0)
	ds_write_b128 v9, v[2:5]
	s_waitcnt lgkmcnt(0)
	; wave barrier
	s_waitcnt lgkmcnt(0)
	s_and_saveexec_b64 s[4:5], s[2:3]
	s_cbranch_execz .LBB60_621
; %bb.608:
	ds_read_b128 v[2:5], v9
	s_andn2_b64 vcc, exec, s[6:7]
	s_cbranch_vccnz .LBB60_610
; %bb.609:
	scratch_load_dwordx4 v[192:195], v8, off
	s_waitcnt vmcnt(0) lgkmcnt(0)
	v_mul_f64 v[10:11], v[2:3], v[194:195]
	v_mul_f64 v[6:7], v[4:5], v[194:195]
	v_fmac_f64_e32 v[10:11], v[4:5], v[192:193]
	v_fma_f64 v[2:3], v[2:3], v[192:193], -v[6:7]
	v_mov_b64_e32 v[4:5], v[10:11]
.LBB60_610:
	s_and_saveexec_b64 s[8:9], s[0:1]
	s_cbranch_execz .LBB60_620
; %bb.611:
	v_subrev_u32_e32 v6, 17, v0
	v_cmp_lt_u32_e32 vcc, 6, v6
	v_mov_b32_e32 v6, 16
	s_and_saveexec_b64 s[0:1], vcc
	s_cbranch_execz .LBB60_615
; %bb.612:
	v_and_b32_e32 v6, 56, v0
	s_mov_b32 s12, 16
	s_mov_b32 s13, 0
	s_mov_b64 s[10:11], 0
	v_mov_b32_e32 v7, 0
.LBB60_613:                             ; =>This Inner Loop Header: Depth=1
	s_nop 0
	v_readfirstlane_b32 s14, v7
	s_add_i32 s14, s14, s13
	s_add_i32 s15, s14, 0x100
	v_mov_b32_e32 v49, s13
	ds_read_b128 v[192:195], v49 offset:1232
	ds_read_b128 v[196:199], v49 offset:1248
	;; [unrolled: 1-line block ×4, first 2 shown]
	scratch_load_dwordx4 v[208:211], off, s15
	s_add_i32 s15, s14, 0x110
	s_add_i32 s12, s12, 8
	s_addk_i32 s13, 0x80
	v_cmp_eq_u32_e32 vcc, s12, v6
	s_waitcnt vmcnt(0) lgkmcnt(3)
	v_mul_f64 v[10:11], v[194:195], v[210:211]
	v_mul_f64 v[52:53], v[192:193], v[210:211]
	v_fma_f64 v[10:11], v[192:193], v[208:209], -v[10:11]
	v_fmac_f64_e32 v[52:53], v[194:195], v[208:209]
	v_add_f64 v[10:11], v[2:3], v[10:11]
	v_add_f64 v[52:53], v[4:5], v[52:53]
	scratch_load_dwordx4 v[2:5], off, s15
	s_add_i32 s15, s14, 0x120
	s_waitcnt vmcnt(0) lgkmcnt(2)
	v_mul_f64 v[192:193], v[198:199], v[4:5]
	v_mul_f64 v[4:5], v[196:197], v[4:5]
	v_fmac_f64_e32 v[4:5], v[198:199], v[2:3]
	v_fma_f64 v[192:193], v[196:197], v[2:3], -v[192:193]
	v_add_f64 v[52:53], v[52:53], v[4:5]
	scratch_load_dwordx4 v[2:5], off, s15
	v_add_f64 v[10:11], v[10:11], v[192:193]
	s_add_i32 s15, s14, 0x130
	s_waitcnt vmcnt(0) lgkmcnt(1)
	v_mul_f64 v[192:193], v[202:203], v[4:5]
	v_mul_f64 v[4:5], v[200:201], v[4:5]
	v_fmac_f64_e32 v[4:5], v[202:203], v[2:3]
	v_fma_f64 v[192:193], v[200:201], v[2:3], -v[192:193]
	v_add_f64 v[52:53], v[52:53], v[4:5]
	scratch_load_dwordx4 v[2:5], off, s15
	v_add_f64 v[10:11], v[10:11], v[192:193]
	s_add_i32 s15, s14, 0x140
	s_waitcnt vmcnt(0) lgkmcnt(0)
	v_mul_f64 v[192:193], v[206:207], v[4:5]
	v_fma_f64 v[192:193], v[204:205], v[2:3], -v[192:193]
	v_add_f64 v[10:11], v[10:11], v[192:193]
	scratch_load_dwordx4 v[192:195], off, s15
	v_mul_f64 v[4:5], v[204:205], v[4:5]
	v_fmac_f64_e32 v[4:5], v[206:207], v[2:3]
	v_add_f64 v[52:53], v[52:53], v[4:5]
	ds_read_b128 v[2:5], v49 offset:1296
	s_add_i32 s15, s14, 0x150
	s_waitcnt vmcnt(0) lgkmcnt(0)
	v_mul_f64 v[196:197], v[4:5], v[194:195]
	v_fma_f64 v[196:197], v[2:3], v[192:193], -v[196:197]
	v_mul_f64 v[2:3], v[2:3], v[194:195]
	v_fmac_f64_e32 v[2:3], v[4:5], v[192:193]
	scratch_load_dwordx4 v[192:195], off, s15
	v_add_f64 v[52:53], v[52:53], v[2:3]
	ds_read_b128 v[2:5], v49 offset:1312
	v_add_f64 v[10:11], v[10:11], v[196:197]
	s_add_i32 s15, s14, 0x160
	s_addk_i32 s14, 0x170
	s_or_b64 s[10:11], vcc, s[10:11]
	s_waitcnt vmcnt(0) lgkmcnt(0)
	v_mul_f64 v[196:197], v[4:5], v[194:195]
	v_fma_f64 v[196:197], v[2:3], v[192:193], -v[196:197]
	v_mul_f64 v[2:3], v[2:3], v[194:195]
	v_fmac_f64_e32 v[2:3], v[4:5], v[192:193]
	scratch_load_dwordx4 v[192:195], off, s15
	v_add_f64 v[52:53], v[52:53], v[2:3]
	ds_read_b128 v[2:5], v49 offset:1328
	v_add_f64 v[10:11], v[10:11], v[196:197]
	s_waitcnt vmcnt(0) lgkmcnt(0)
	v_mul_f64 v[196:197], v[4:5], v[194:195]
	v_fma_f64 v[196:197], v[2:3], v[192:193], -v[196:197]
	v_mul_f64 v[2:3], v[2:3], v[194:195]
	v_fmac_f64_e32 v[2:3], v[4:5], v[192:193]
	scratch_load_dwordx4 v[192:195], off, s14
	v_add_f64 v[52:53], v[52:53], v[2:3]
	ds_read_b128 v[2:5], v49 offset:1344
	v_add_f64 v[10:11], v[10:11], v[196:197]
	s_waitcnt vmcnt(0) lgkmcnt(0)
	v_mul_f64 v[196:197], v[4:5], v[194:195]
	v_mul_f64 v[194:195], v[2:3], v[194:195]
	v_fma_f64 v[196:197], v[2:3], v[192:193], -v[196:197]
	v_fmac_f64_e32 v[194:195], v[4:5], v[192:193]
	v_add_f64 v[2:3], v[10:11], v[196:197]
	v_add_f64 v[4:5], v[52:53], v[194:195]
	s_andn2_b64 exec, exec, s[10:11]
	s_cbranch_execnz .LBB60_613
; %bb.614:
	s_or_b64 exec, exec, s[10:11]
.LBB60_615:
	s_or_b64 exec, exec, s[0:1]
	v_and_b32_e32 v7, 7, v0
	v_cmp_ne_u32_e32 vcc, 0, v7
	s_and_saveexec_b64 s[0:1], vcc
	s_cbranch_execz .LBB60_619
; %bb.616:
	v_lshlrev_b32_e32 v10, 4, v6
	v_add_u32_e32 v6, 0x3d0, v10
	v_add_u32_e32 v192, 0, v10
	s_mov_b64 s[10:11], 0
.LBB60_617:                             ; =>This Inner Loop Header: Depth=1
	scratch_load_dwordx4 v[194:197], v192, off
	ds_read_b128 v[198:201], v6
	v_add_u32_e32 v7, -1, v7
	v_cmp_eq_u32_e32 vcc, 0, v7
	v_add_u32_e32 v6, 16, v6
	v_add_u32_e32 v192, 16, v192
	s_or_b64 s[10:11], vcc, s[10:11]
	s_waitcnt vmcnt(0) lgkmcnt(0)
	v_mul_f64 v[10:11], v[200:201], v[196:197]
	v_mul_f64 v[52:53], v[198:199], v[196:197]
	v_fma_f64 v[10:11], v[198:199], v[194:195], -v[10:11]
	v_fmac_f64_e32 v[52:53], v[200:201], v[194:195]
	v_add_f64 v[2:3], v[2:3], v[10:11]
	v_add_f64 v[4:5], v[4:5], v[52:53]
	s_andn2_b64 exec, exec, s[10:11]
	s_cbranch_execnz .LBB60_617
; %bb.618:
	s_or_b64 exec, exec, s[10:11]
.LBB60_619:
	s_or_b64 exec, exec, s[0:1]
.LBB60_620:
	s_or_b64 exec, exec, s[8:9]
	v_mov_b32_e32 v6, 0
	ds_read_b128 v[192:195], v6 offset:240
	s_waitcnt lgkmcnt(0)
	v_mul_f64 v[6:7], v[4:5], v[194:195]
	v_mul_f64 v[196:197], v[2:3], v[194:195]
	v_fma_f64 v[194:195], v[2:3], v[192:193], -v[6:7]
	v_fmac_f64_e32 v[196:197], v[4:5], v[192:193]
	scratch_store_dwordx4 off, v[194:197], off offset:240
.LBB60_621:
	s_or_b64 exec, exec, s[4:5]
	scratch_load_dwordx4 v[2:5], v178, off
	v_cmp_lt_u32_e64 s[0:1], 14, v0
	s_waitcnt vmcnt(0)
	ds_write_b128 v9, v[2:5]
	s_waitcnt lgkmcnt(0)
	; wave barrier
	s_waitcnt lgkmcnt(0)
	s_and_saveexec_b64 s[4:5], s[0:1]
	s_cbranch_execz .LBB60_635
; %bb.622:
	ds_read_b128 v[2:5], v9
	s_andn2_b64 vcc, exec, s[6:7]
	s_cbranch_vccnz .LBB60_624
; %bb.623:
	scratch_load_dwordx4 v[192:195], v8, off
	s_waitcnt vmcnt(0) lgkmcnt(0)
	v_mul_f64 v[10:11], v[2:3], v[194:195]
	v_mul_f64 v[6:7], v[4:5], v[194:195]
	v_fmac_f64_e32 v[10:11], v[4:5], v[192:193]
	v_fma_f64 v[2:3], v[2:3], v[192:193], -v[6:7]
	v_mov_b64_e32 v[4:5], v[10:11]
.LBB60_624:
	s_and_saveexec_b64 s[8:9], s[2:3]
	s_cbranch_execz .LBB60_634
; %bb.625:
	v_add_u32_e32 v7, -16, v0
	v_add_u32_e32 v6, -15, v0
	v_cmp_lt_u32_e32 vcc, 6, v7
	v_mov_b32_e32 v193, 15
	s_and_saveexec_b64 s[2:3], vcc
	s_cbranch_execz .LBB60_629
; %bb.626:
	v_and_b32_e32 v7, -8, v6
	s_mov_b32 s12, 0
	s_mov_b64 s[10:11], 0
	v_mov_b32_e32 v192, 0
	s_mov_b32 s13, 0
.LBB60_627:                             ; =>This Inner Loop Header: Depth=1
	v_readfirstlane_b32 s14, v192
	s_add_i32 s14, s14, s12
	s_add_i32 s15, s14, 0xf0
	v_mov_b32_e32 v49, s12
	ds_read_b128 v[194:197], v49 offset:1216
	ds_read_b128 v[198:201], v49 offset:1232
	;; [unrolled: 1-line block ×4, first 2 shown]
	scratch_load_dwordx4 v[210:213], off, s15
	s_add_i32 s15, s14, 0x100
	s_addk_i32 s12, 0x80
	s_waitcnt vmcnt(0) lgkmcnt(3)
	v_mul_f64 v[10:11], v[196:197], v[212:213]
	v_mul_f64 v[52:53], v[194:195], v[212:213]
	v_fma_f64 v[10:11], v[194:195], v[210:211], -v[10:11]
	v_fmac_f64_e32 v[52:53], v[196:197], v[210:211]
	v_add_f64 v[10:11], v[2:3], v[10:11]
	v_add_f64 v[52:53], v[4:5], v[52:53]
	scratch_load_dwordx4 v[2:5], off, s15
	s_add_i32 s15, s14, 0x110
	s_waitcnt vmcnt(0) lgkmcnt(2)
	v_mul_f64 v[194:195], v[200:201], v[4:5]
	v_mul_f64 v[4:5], v[198:199], v[4:5]
	v_fmac_f64_e32 v[4:5], v[200:201], v[2:3]
	v_fma_f64 v[194:195], v[198:199], v[2:3], -v[194:195]
	v_add_f64 v[52:53], v[52:53], v[4:5]
	scratch_load_dwordx4 v[2:5], off, s15
	v_add_f64 v[10:11], v[10:11], v[194:195]
	s_add_i32 s15, s14, 0x120
	s_waitcnt vmcnt(0) lgkmcnt(1)
	v_mul_f64 v[194:195], v[204:205], v[4:5]
	v_mul_f64 v[4:5], v[202:203], v[4:5]
	v_fmac_f64_e32 v[4:5], v[204:205], v[2:3]
	v_fma_f64 v[194:195], v[202:203], v[2:3], -v[194:195]
	v_add_f64 v[52:53], v[52:53], v[4:5]
	scratch_load_dwordx4 v[2:5], off, s15
	v_add_f64 v[10:11], v[10:11], v[194:195]
	s_add_i32 s15, s14, 0x130
	s_waitcnt vmcnt(0) lgkmcnt(0)
	v_mul_f64 v[194:195], v[208:209], v[4:5]
	v_fma_f64 v[194:195], v[206:207], v[2:3], -v[194:195]
	v_add_f64 v[10:11], v[10:11], v[194:195]
	scratch_load_dwordx4 v[194:197], off, s15
	v_mul_f64 v[4:5], v[206:207], v[4:5]
	v_fmac_f64_e32 v[4:5], v[208:209], v[2:3]
	v_add_f64 v[52:53], v[52:53], v[4:5]
	ds_read_b128 v[2:5], v49 offset:1280
	s_add_i32 s15, s14, 0x140
	s_waitcnt vmcnt(0) lgkmcnt(0)
	v_mul_f64 v[198:199], v[4:5], v[196:197]
	v_fma_f64 v[198:199], v[2:3], v[194:195], -v[198:199]
	v_mul_f64 v[2:3], v[2:3], v[196:197]
	v_fmac_f64_e32 v[2:3], v[4:5], v[194:195]
	scratch_load_dwordx4 v[194:197], off, s15
	v_add_f64 v[52:53], v[52:53], v[2:3]
	ds_read_b128 v[2:5], v49 offset:1296
	v_add_f64 v[10:11], v[10:11], v[198:199]
	s_add_i32 s15, s14, 0x150
	s_addk_i32 s14, 0x160
	s_waitcnt vmcnt(0) lgkmcnt(0)
	v_mul_f64 v[198:199], v[4:5], v[196:197]
	v_fma_f64 v[198:199], v[2:3], v[194:195], -v[198:199]
	v_mul_f64 v[2:3], v[2:3], v[196:197]
	v_fmac_f64_e32 v[2:3], v[4:5], v[194:195]
	scratch_load_dwordx4 v[194:197], off, s15
	v_add_f64 v[52:53], v[52:53], v[2:3]
	ds_read_b128 v[2:5], v49 offset:1312
	v_add_f64 v[10:11], v[10:11], v[198:199]
	s_waitcnt vmcnt(0) lgkmcnt(0)
	v_mul_f64 v[198:199], v[4:5], v[196:197]
	v_fma_f64 v[198:199], v[2:3], v[194:195], -v[198:199]
	v_mul_f64 v[2:3], v[2:3], v[196:197]
	v_fmac_f64_e32 v[2:3], v[4:5], v[194:195]
	scratch_load_dwordx4 v[194:197], off, s14
	v_add_f64 v[52:53], v[52:53], v[2:3]
	ds_read_b128 v[2:5], v49 offset:1328
	v_add_f64 v[10:11], v[10:11], v[198:199]
	s_add_i32 s14, s13, 8
	v_cmp_eq_u32_e32 vcc, s14, v7
	s_add_i32 s13, s13, 23
	s_or_b64 s[10:11], vcc, s[10:11]
	v_mov_b32_e32 v193, s13
	s_mov_b32 s13, s14
	s_waitcnt vmcnt(0) lgkmcnt(0)
	v_mul_f64 v[198:199], v[4:5], v[196:197]
	v_mul_f64 v[196:197], v[2:3], v[196:197]
	v_fma_f64 v[198:199], v[2:3], v[194:195], -v[198:199]
	v_fmac_f64_e32 v[196:197], v[4:5], v[194:195]
	v_add_f64 v[2:3], v[10:11], v[198:199]
	v_add_f64 v[4:5], v[52:53], v[196:197]
	s_andn2_b64 exec, exec, s[10:11]
	s_cbranch_execnz .LBB60_627
; %bb.628:
	s_or_b64 exec, exec, s[10:11]
.LBB60_629:
	s_or_b64 exec, exec, s[2:3]
	v_and_b32_e32 v6, 7, v6
	v_cmp_ne_u32_e32 vcc, 0, v6
	s_and_saveexec_b64 s[2:3], vcc
	s_cbranch_execz .LBB60_633
; %bb.630:
	v_lshlrev_b32_e32 v10, 4, v193
	v_add_u32_e32 v7, 0x3d0, v10
	v_add_u32_e32 v192, 0, v10
	s_mov_b64 s[10:11], 0
.LBB60_631:                             ; =>This Inner Loop Header: Depth=1
	scratch_load_dwordx4 v[194:197], v192, off
	ds_read_b128 v[198:201], v7
	v_add_u32_e32 v6, -1, v6
	v_cmp_eq_u32_e32 vcc, 0, v6
	v_add_u32_e32 v7, 16, v7
	v_add_u32_e32 v192, 16, v192
	s_or_b64 s[10:11], vcc, s[10:11]
	s_waitcnt vmcnt(0) lgkmcnt(0)
	v_mul_f64 v[10:11], v[200:201], v[196:197]
	v_mul_f64 v[52:53], v[198:199], v[196:197]
	v_fma_f64 v[10:11], v[198:199], v[194:195], -v[10:11]
	v_fmac_f64_e32 v[52:53], v[200:201], v[194:195]
	v_add_f64 v[2:3], v[2:3], v[10:11]
	v_add_f64 v[4:5], v[4:5], v[52:53]
	s_andn2_b64 exec, exec, s[10:11]
	s_cbranch_execnz .LBB60_631
; %bb.632:
	s_or_b64 exec, exec, s[10:11]
.LBB60_633:
	s_or_b64 exec, exec, s[2:3]
.LBB60_634:
	s_or_b64 exec, exec, s[8:9]
	v_mov_b32_e32 v6, 0
	ds_read_b128 v[192:195], v6 offset:224
	s_waitcnt lgkmcnt(0)
	v_mul_f64 v[6:7], v[4:5], v[194:195]
	v_mul_f64 v[196:197], v[2:3], v[194:195]
	v_fma_f64 v[194:195], v[2:3], v[192:193], -v[6:7]
	v_fmac_f64_e32 v[196:197], v[4:5], v[192:193]
	scratch_store_dwordx4 off, v[194:197], off offset:224
.LBB60_635:
	s_or_b64 exec, exec, s[4:5]
	scratch_load_dwordx4 v[2:5], v179, off
	v_cmp_lt_u32_e64 s[2:3], 13, v0
	s_waitcnt vmcnt(0)
	ds_write_b128 v9, v[2:5]
	s_waitcnt lgkmcnt(0)
	; wave barrier
	s_waitcnt lgkmcnt(0)
	s_and_saveexec_b64 s[4:5], s[2:3]
	s_cbranch_execz .LBB60_649
; %bb.636:
	ds_read_b128 v[2:5], v9
	s_andn2_b64 vcc, exec, s[6:7]
	s_cbranch_vccnz .LBB60_638
; %bb.637:
	scratch_load_dwordx4 v[192:195], v8, off
	s_waitcnt vmcnt(0) lgkmcnt(0)
	v_mul_f64 v[10:11], v[2:3], v[194:195]
	v_mul_f64 v[6:7], v[4:5], v[194:195]
	v_fmac_f64_e32 v[10:11], v[4:5], v[192:193]
	v_fma_f64 v[2:3], v[2:3], v[192:193], -v[6:7]
	v_mov_b64_e32 v[4:5], v[10:11]
.LBB60_638:
	s_and_saveexec_b64 s[8:9], s[0:1]
	s_cbranch_execz .LBB60_648
; %bb.639:
	v_add_u32_e32 v7, -15, v0
	v_add_u32_e32 v6, -14, v0
	v_cmp_lt_u32_e32 vcc, 6, v7
	v_mov_b32_e32 v193, 14
	s_and_saveexec_b64 s[0:1], vcc
	s_cbranch_execz .LBB60_643
; %bb.640:
	v_and_b32_e32 v7, -8, v6
	s_mov_b32 s12, 0
	s_mov_b64 s[10:11], 0
	v_mov_b32_e32 v192, 0
	s_mov_b32 s13, 0
.LBB60_641:                             ; =>This Inner Loop Header: Depth=1
	v_readfirstlane_b32 s14, v192
	s_add_i32 s14, s14, s12
	s_add_i32 s15, s14, 0xe0
	v_mov_b32_e32 v49, s12
	ds_read_b128 v[194:197], v49 offset:1200
	ds_read_b128 v[198:201], v49 offset:1216
	;; [unrolled: 1-line block ×4, first 2 shown]
	scratch_load_dwordx4 v[210:213], off, s15
	s_add_i32 s15, s14, 0xf0
	s_addk_i32 s12, 0x80
	s_waitcnt vmcnt(0) lgkmcnt(3)
	v_mul_f64 v[10:11], v[196:197], v[212:213]
	v_mul_f64 v[52:53], v[194:195], v[212:213]
	v_fma_f64 v[10:11], v[194:195], v[210:211], -v[10:11]
	v_fmac_f64_e32 v[52:53], v[196:197], v[210:211]
	v_add_f64 v[10:11], v[2:3], v[10:11]
	v_add_f64 v[52:53], v[4:5], v[52:53]
	scratch_load_dwordx4 v[2:5], off, s15
	s_add_i32 s15, s14, 0x100
	s_waitcnt vmcnt(0) lgkmcnt(2)
	v_mul_f64 v[194:195], v[200:201], v[4:5]
	v_mul_f64 v[4:5], v[198:199], v[4:5]
	v_fmac_f64_e32 v[4:5], v[200:201], v[2:3]
	v_fma_f64 v[194:195], v[198:199], v[2:3], -v[194:195]
	v_add_f64 v[52:53], v[52:53], v[4:5]
	scratch_load_dwordx4 v[2:5], off, s15
	v_add_f64 v[10:11], v[10:11], v[194:195]
	s_add_i32 s15, s14, 0x110
	s_waitcnt vmcnt(0) lgkmcnt(1)
	v_mul_f64 v[194:195], v[204:205], v[4:5]
	v_mul_f64 v[4:5], v[202:203], v[4:5]
	v_fmac_f64_e32 v[4:5], v[204:205], v[2:3]
	v_fma_f64 v[194:195], v[202:203], v[2:3], -v[194:195]
	v_add_f64 v[52:53], v[52:53], v[4:5]
	scratch_load_dwordx4 v[2:5], off, s15
	v_add_f64 v[10:11], v[10:11], v[194:195]
	s_add_i32 s15, s14, 0x120
	s_waitcnt vmcnt(0) lgkmcnt(0)
	v_mul_f64 v[194:195], v[208:209], v[4:5]
	v_fma_f64 v[194:195], v[206:207], v[2:3], -v[194:195]
	v_add_f64 v[10:11], v[10:11], v[194:195]
	scratch_load_dwordx4 v[194:197], off, s15
	v_mul_f64 v[4:5], v[206:207], v[4:5]
	v_fmac_f64_e32 v[4:5], v[208:209], v[2:3]
	v_add_f64 v[52:53], v[52:53], v[4:5]
	ds_read_b128 v[2:5], v49 offset:1264
	s_add_i32 s15, s14, 0x130
	s_waitcnt vmcnt(0) lgkmcnt(0)
	v_mul_f64 v[198:199], v[4:5], v[196:197]
	v_fma_f64 v[198:199], v[2:3], v[194:195], -v[198:199]
	v_mul_f64 v[2:3], v[2:3], v[196:197]
	v_fmac_f64_e32 v[2:3], v[4:5], v[194:195]
	scratch_load_dwordx4 v[194:197], off, s15
	v_add_f64 v[52:53], v[52:53], v[2:3]
	ds_read_b128 v[2:5], v49 offset:1280
	v_add_f64 v[10:11], v[10:11], v[198:199]
	s_add_i32 s15, s14, 0x140
	s_addk_i32 s14, 0x150
	s_waitcnt vmcnt(0) lgkmcnt(0)
	v_mul_f64 v[198:199], v[4:5], v[196:197]
	v_fma_f64 v[198:199], v[2:3], v[194:195], -v[198:199]
	v_mul_f64 v[2:3], v[2:3], v[196:197]
	v_fmac_f64_e32 v[2:3], v[4:5], v[194:195]
	scratch_load_dwordx4 v[194:197], off, s15
	v_add_f64 v[52:53], v[52:53], v[2:3]
	ds_read_b128 v[2:5], v49 offset:1296
	v_add_f64 v[10:11], v[10:11], v[198:199]
	s_waitcnt vmcnt(0) lgkmcnt(0)
	v_mul_f64 v[198:199], v[4:5], v[196:197]
	v_fma_f64 v[198:199], v[2:3], v[194:195], -v[198:199]
	v_mul_f64 v[2:3], v[2:3], v[196:197]
	v_fmac_f64_e32 v[2:3], v[4:5], v[194:195]
	scratch_load_dwordx4 v[194:197], off, s14
	v_add_f64 v[52:53], v[52:53], v[2:3]
	ds_read_b128 v[2:5], v49 offset:1312
	v_add_f64 v[10:11], v[10:11], v[198:199]
	s_add_i32 s14, s13, 8
	v_cmp_eq_u32_e32 vcc, s14, v7
	s_add_i32 s13, s13, 22
	s_or_b64 s[10:11], vcc, s[10:11]
	v_mov_b32_e32 v193, s13
	s_mov_b32 s13, s14
	s_waitcnt vmcnt(0) lgkmcnt(0)
	v_mul_f64 v[198:199], v[4:5], v[196:197]
	v_mul_f64 v[196:197], v[2:3], v[196:197]
	v_fma_f64 v[198:199], v[2:3], v[194:195], -v[198:199]
	v_fmac_f64_e32 v[196:197], v[4:5], v[194:195]
	v_add_f64 v[2:3], v[10:11], v[198:199]
	v_add_f64 v[4:5], v[52:53], v[196:197]
	s_andn2_b64 exec, exec, s[10:11]
	s_cbranch_execnz .LBB60_641
; %bb.642:
	s_or_b64 exec, exec, s[10:11]
.LBB60_643:
	s_or_b64 exec, exec, s[0:1]
	v_and_b32_e32 v6, 7, v6
	v_cmp_ne_u32_e32 vcc, 0, v6
	s_and_saveexec_b64 s[0:1], vcc
	s_cbranch_execz .LBB60_647
; %bb.644:
	v_lshlrev_b32_e32 v10, 4, v193
	v_add_u32_e32 v7, 0x3d0, v10
	v_add_u32_e32 v192, 0, v10
	s_mov_b64 s[10:11], 0
.LBB60_645:                             ; =>This Inner Loop Header: Depth=1
	scratch_load_dwordx4 v[194:197], v192, off
	ds_read_b128 v[198:201], v7
	v_add_u32_e32 v6, -1, v6
	v_cmp_eq_u32_e32 vcc, 0, v6
	v_add_u32_e32 v7, 16, v7
	v_add_u32_e32 v192, 16, v192
	s_or_b64 s[10:11], vcc, s[10:11]
	s_waitcnt vmcnt(0) lgkmcnt(0)
	v_mul_f64 v[10:11], v[200:201], v[196:197]
	v_mul_f64 v[52:53], v[198:199], v[196:197]
	v_fma_f64 v[10:11], v[198:199], v[194:195], -v[10:11]
	v_fmac_f64_e32 v[52:53], v[200:201], v[194:195]
	v_add_f64 v[2:3], v[2:3], v[10:11]
	v_add_f64 v[4:5], v[4:5], v[52:53]
	s_andn2_b64 exec, exec, s[10:11]
	s_cbranch_execnz .LBB60_645
; %bb.646:
	s_or_b64 exec, exec, s[10:11]
.LBB60_647:
	s_or_b64 exec, exec, s[0:1]
.LBB60_648:
	s_or_b64 exec, exec, s[8:9]
	v_mov_b32_e32 v6, 0
	ds_read_b128 v[192:195], v6 offset:208
	s_waitcnt lgkmcnt(0)
	v_mul_f64 v[6:7], v[4:5], v[194:195]
	v_mul_f64 v[196:197], v[2:3], v[194:195]
	v_fma_f64 v[194:195], v[2:3], v[192:193], -v[6:7]
	v_fmac_f64_e32 v[196:197], v[4:5], v[192:193]
	scratch_store_dwordx4 off, v[194:197], off offset:208
.LBB60_649:
	s_or_b64 exec, exec, s[4:5]
	scratch_load_dwordx4 v[2:5], v180, off
	v_cmp_lt_u32_e64 s[0:1], 12, v0
	s_waitcnt vmcnt(0)
	ds_write_b128 v9, v[2:5]
	s_waitcnt lgkmcnt(0)
	; wave barrier
	s_waitcnt lgkmcnt(0)
	s_and_saveexec_b64 s[4:5], s[0:1]
	s_cbranch_execz .LBB60_663
; %bb.650:
	ds_read_b128 v[2:5], v9
	s_andn2_b64 vcc, exec, s[6:7]
	s_cbranch_vccnz .LBB60_652
; %bb.651:
	scratch_load_dwordx4 v[192:195], v8, off
	s_waitcnt vmcnt(0) lgkmcnt(0)
	v_mul_f64 v[10:11], v[2:3], v[194:195]
	v_mul_f64 v[6:7], v[4:5], v[194:195]
	v_fmac_f64_e32 v[10:11], v[4:5], v[192:193]
	v_fma_f64 v[2:3], v[2:3], v[192:193], -v[6:7]
	v_mov_b64_e32 v[4:5], v[10:11]
.LBB60_652:
	s_and_saveexec_b64 s[8:9], s[2:3]
	s_cbranch_execz .LBB60_662
; %bb.653:
	v_add_u32_e32 v7, -14, v0
	v_add_u32_e32 v6, -13, v0
	v_cmp_lt_u32_e32 vcc, 6, v7
	v_mov_b32_e32 v193, 13
	s_and_saveexec_b64 s[2:3], vcc
	s_cbranch_execz .LBB60_657
; %bb.654:
	v_and_b32_e32 v7, -8, v6
	s_mov_b32 s12, 0
	s_mov_b64 s[10:11], 0
	v_mov_b32_e32 v192, 0
	s_mov_b32 s13, 0
.LBB60_655:                             ; =>This Inner Loop Header: Depth=1
	v_readfirstlane_b32 s14, v192
	s_add_i32 s14, s14, s12
	s_add_i32 s15, s14, 0xd0
	v_mov_b32_e32 v49, s12
	ds_read_b128 v[194:197], v49 offset:1184
	ds_read_b128 v[198:201], v49 offset:1200
	;; [unrolled: 1-line block ×4, first 2 shown]
	scratch_load_dwordx4 v[210:213], off, s15
	s_add_i32 s15, s14, 0xe0
	s_addk_i32 s12, 0x80
	s_waitcnt vmcnt(0) lgkmcnt(3)
	v_mul_f64 v[10:11], v[196:197], v[212:213]
	v_mul_f64 v[52:53], v[194:195], v[212:213]
	v_fma_f64 v[10:11], v[194:195], v[210:211], -v[10:11]
	v_fmac_f64_e32 v[52:53], v[196:197], v[210:211]
	v_add_f64 v[10:11], v[2:3], v[10:11]
	v_add_f64 v[52:53], v[4:5], v[52:53]
	scratch_load_dwordx4 v[2:5], off, s15
	s_add_i32 s15, s14, 0xf0
	s_waitcnt vmcnt(0) lgkmcnt(2)
	v_mul_f64 v[194:195], v[200:201], v[4:5]
	v_mul_f64 v[4:5], v[198:199], v[4:5]
	v_fmac_f64_e32 v[4:5], v[200:201], v[2:3]
	v_fma_f64 v[194:195], v[198:199], v[2:3], -v[194:195]
	v_add_f64 v[52:53], v[52:53], v[4:5]
	scratch_load_dwordx4 v[2:5], off, s15
	v_add_f64 v[10:11], v[10:11], v[194:195]
	s_add_i32 s15, s14, 0x100
	s_waitcnt vmcnt(0) lgkmcnt(1)
	v_mul_f64 v[194:195], v[204:205], v[4:5]
	v_mul_f64 v[4:5], v[202:203], v[4:5]
	v_fmac_f64_e32 v[4:5], v[204:205], v[2:3]
	v_fma_f64 v[194:195], v[202:203], v[2:3], -v[194:195]
	v_add_f64 v[52:53], v[52:53], v[4:5]
	scratch_load_dwordx4 v[2:5], off, s15
	v_add_f64 v[10:11], v[10:11], v[194:195]
	s_add_i32 s15, s14, 0x110
	s_waitcnt vmcnt(0) lgkmcnt(0)
	v_mul_f64 v[194:195], v[208:209], v[4:5]
	v_fma_f64 v[194:195], v[206:207], v[2:3], -v[194:195]
	v_add_f64 v[10:11], v[10:11], v[194:195]
	scratch_load_dwordx4 v[194:197], off, s15
	v_mul_f64 v[4:5], v[206:207], v[4:5]
	v_fmac_f64_e32 v[4:5], v[208:209], v[2:3]
	v_add_f64 v[52:53], v[52:53], v[4:5]
	ds_read_b128 v[2:5], v49 offset:1248
	s_add_i32 s15, s14, 0x120
	s_waitcnt vmcnt(0) lgkmcnt(0)
	v_mul_f64 v[198:199], v[4:5], v[196:197]
	v_fma_f64 v[198:199], v[2:3], v[194:195], -v[198:199]
	v_mul_f64 v[2:3], v[2:3], v[196:197]
	v_fmac_f64_e32 v[2:3], v[4:5], v[194:195]
	scratch_load_dwordx4 v[194:197], off, s15
	v_add_f64 v[52:53], v[52:53], v[2:3]
	ds_read_b128 v[2:5], v49 offset:1264
	v_add_f64 v[10:11], v[10:11], v[198:199]
	s_add_i32 s15, s14, 0x130
	s_addk_i32 s14, 0x140
	s_waitcnt vmcnt(0) lgkmcnt(0)
	v_mul_f64 v[198:199], v[4:5], v[196:197]
	v_fma_f64 v[198:199], v[2:3], v[194:195], -v[198:199]
	v_mul_f64 v[2:3], v[2:3], v[196:197]
	v_fmac_f64_e32 v[2:3], v[4:5], v[194:195]
	scratch_load_dwordx4 v[194:197], off, s15
	v_add_f64 v[52:53], v[52:53], v[2:3]
	ds_read_b128 v[2:5], v49 offset:1280
	v_add_f64 v[10:11], v[10:11], v[198:199]
	s_waitcnt vmcnt(0) lgkmcnt(0)
	v_mul_f64 v[198:199], v[4:5], v[196:197]
	v_fma_f64 v[198:199], v[2:3], v[194:195], -v[198:199]
	v_mul_f64 v[2:3], v[2:3], v[196:197]
	v_fmac_f64_e32 v[2:3], v[4:5], v[194:195]
	scratch_load_dwordx4 v[194:197], off, s14
	v_add_f64 v[52:53], v[52:53], v[2:3]
	ds_read_b128 v[2:5], v49 offset:1296
	v_add_f64 v[10:11], v[10:11], v[198:199]
	s_add_i32 s14, s13, 8
	v_cmp_eq_u32_e32 vcc, s14, v7
	s_add_i32 s13, s13, 21
	s_or_b64 s[10:11], vcc, s[10:11]
	v_mov_b32_e32 v193, s13
	s_mov_b32 s13, s14
	s_waitcnt vmcnt(0) lgkmcnt(0)
	v_mul_f64 v[198:199], v[4:5], v[196:197]
	v_mul_f64 v[196:197], v[2:3], v[196:197]
	v_fma_f64 v[198:199], v[2:3], v[194:195], -v[198:199]
	v_fmac_f64_e32 v[196:197], v[4:5], v[194:195]
	v_add_f64 v[2:3], v[10:11], v[198:199]
	v_add_f64 v[4:5], v[52:53], v[196:197]
	s_andn2_b64 exec, exec, s[10:11]
	s_cbranch_execnz .LBB60_655
; %bb.656:
	s_or_b64 exec, exec, s[10:11]
.LBB60_657:
	s_or_b64 exec, exec, s[2:3]
	v_and_b32_e32 v6, 7, v6
	v_cmp_ne_u32_e32 vcc, 0, v6
	s_and_saveexec_b64 s[2:3], vcc
	s_cbranch_execz .LBB60_661
; %bb.658:
	v_lshlrev_b32_e32 v10, 4, v193
	v_add_u32_e32 v7, 0x3d0, v10
	v_add_u32_e32 v192, 0, v10
	s_mov_b64 s[10:11], 0
.LBB60_659:                             ; =>This Inner Loop Header: Depth=1
	scratch_load_dwordx4 v[194:197], v192, off
	ds_read_b128 v[198:201], v7
	v_add_u32_e32 v6, -1, v6
	v_cmp_eq_u32_e32 vcc, 0, v6
	v_add_u32_e32 v7, 16, v7
	v_add_u32_e32 v192, 16, v192
	s_or_b64 s[10:11], vcc, s[10:11]
	s_waitcnt vmcnt(0) lgkmcnt(0)
	v_mul_f64 v[10:11], v[200:201], v[196:197]
	v_mul_f64 v[52:53], v[198:199], v[196:197]
	v_fma_f64 v[10:11], v[198:199], v[194:195], -v[10:11]
	v_fmac_f64_e32 v[52:53], v[200:201], v[194:195]
	v_add_f64 v[2:3], v[2:3], v[10:11]
	v_add_f64 v[4:5], v[4:5], v[52:53]
	s_andn2_b64 exec, exec, s[10:11]
	s_cbranch_execnz .LBB60_659
; %bb.660:
	s_or_b64 exec, exec, s[10:11]
.LBB60_661:
	s_or_b64 exec, exec, s[2:3]
.LBB60_662:
	s_or_b64 exec, exec, s[8:9]
	v_mov_b32_e32 v6, 0
	ds_read_b128 v[192:195], v6 offset:192
	s_waitcnt lgkmcnt(0)
	v_mul_f64 v[6:7], v[4:5], v[194:195]
	v_mul_f64 v[196:197], v[2:3], v[194:195]
	v_fma_f64 v[194:195], v[2:3], v[192:193], -v[6:7]
	v_fmac_f64_e32 v[196:197], v[4:5], v[192:193]
	scratch_store_dwordx4 off, v[194:197], off offset:192
.LBB60_663:
	s_or_b64 exec, exec, s[4:5]
	scratch_load_dwordx4 v[2:5], v181, off
	v_cmp_lt_u32_e64 s[2:3], 11, v0
	s_waitcnt vmcnt(0)
	ds_write_b128 v9, v[2:5]
	s_waitcnt lgkmcnt(0)
	; wave barrier
	s_waitcnt lgkmcnt(0)
	s_and_saveexec_b64 s[4:5], s[2:3]
	s_cbranch_execz .LBB60_677
; %bb.664:
	ds_read_b128 v[2:5], v9
	s_andn2_b64 vcc, exec, s[6:7]
	s_cbranch_vccnz .LBB60_666
; %bb.665:
	scratch_load_dwordx4 v[192:195], v8, off
	s_waitcnt vmcnt(0) lgkmcnt(0)
	v_mul_f64 v[10:11], v[2:3], v[194:195]
	v_mul_f64 v[6:7], v[4:5], v[194:195]
	v_fmac_f64_e32 v[10:11], v[4:5], v[192:193]
	v_fma_f64 v[2:3], v[2:3], v[192:193], -v[6:7]
	v_mov_b64_e32 v[4:5], v[10:11]
.LBB60_666:
	s_and_saveexec_b64 s[8:9], s[0:1]
	s_cbranch_execz .LBB60_676
; %bb.667:
	v_add_u32_e32 v7, -13, v0
	v_add_u32_e32 v6, -12, v0
	v_cmp_lt_u32_e32 vcc, 6, v7
	v_mov_b32_e32 v193, 12
	s_and_saveexec_b64 s[0:1], vcc
	s_cbranch_execz .LBB60_671
; %bb.668:
	v_and_b32_e32 v7, -8, v6
	s_mov_b32 s12, 0
	s_mov_b64 s[10:11], 0
	v_mov_b32_e32 v192, 0
	s_mov_b32 s13, 0
.LBB60_669:                             ; =>This Inner Loop Header: Depth=1
	v_readfirstlane_b32 s14, v192
	s_add_i32 s14, s14, s12
	s_add_i32 s15, s14, 0xc0
	v_mov_b32_e32 v49, s12
	ds_read_b128 v[194:197], v49 offset:1168
	ds_read_b128 v[198:201], v49 offset:1184
	;; [unrolled: 1-line block ×4, first 2 shown]
	scratch_load_dwordx4 v[210:213], off, s15
	s_add_i32 s15, s14, 0xd0
	s_addk_i32 s12, 0x80
	s_waitcnt vmcnt(0) lgkmcnt(3)
	v_mul_f64 v[10:11], v[196:197], v[212:213]
	v_mul_f64 v[52:53], v[194:195], v[212:213]
	v_fma_f64 v[10:11], v[194:195], v[210:211], -v[10:11]
	v_fmac_f64_e32 v[52:53], v[196:197], v[210:211]
	v_add_f64 v[10:11], v[2:3], v[10:11]
	v_add_f64 v[52:53], v[4:5], v[52:53]
	scratch_load_dwordx4 v[2:5], off, s15
	s_add_i32 s15, s14, 0xe0
	s_waitcnt vmcnt(0) lgkmcnt(2)
	v_mul_f64 v[194:195], v[200:201], v[4:5]
	v_mul_f64 v[4:5], v[198:199], v[4:5]
	v_fmac_f64_e32 v[4:5], v[200:201], v[2:3]
	v_fma_f64 v[194:195], v[198:199], v[2:3], -v[194:195]
	v_add_f64 v[52:53], v[52:53], v[4:5]
	scratch_load_dwordx4 v[2:5], off, s15
	v_add_f64 v[10:11], v[10:11], v[194:195]
	s_add_i32 s15, s14, 0xf0
	s_waitcnt vmcnt(0) lgkmcnt(1)
	v_mul_f64 v[194:195], v[204:205], v[4:5]
	v_mul_f64 v[4:5], v[202:203], v[4:5]
	v_fmac_f64_e32 v[4:5], v[204:205], v[2:3]
	v_fma_f64 v[194:195], v[202:203], v[2:3], -v[194:195]
	v_add_f64 v[52:53], v[52:53], v[4:5]
	scratch_load_dwordx4 v[2:5], off, s15
	v_add_f64 v[10:11], v[10:11], v[194:195]
	s_add_i32 s15, s14, 0x100
	s_waitcnt vmcnt(0) lgkmcnt(0)
	v_mul_f64 v[194:195], v[208:209], v[4:5]
	v_fma_f64 v[194:195], v[206:207], v[2:3], -v[194:195]
	v_add_f64 v[10:11], v[10:11], v[194:195]
	scratch_load_dwordx4 v[194:197], off, s15
	v_mul_f64 v[4:5], v[206:207], v[4:5]
	v_fmac_f64_e32 v[4:5], v[208:209], v[2:3]
	v_add_f64 v[52:53], v[52:53], v[4:5]
	ds_read_b128 v[2:5], v49 offset:1232
	s_add_i32 s15, s14, 0x110
	s_waitcnt vmcnt(0) lgkmcnt(0)
	v_mul_f64 v[198:199], v[4:5], v[196:197]
	v_fma_f64 v[198:199], v[2:3], v[194:195], -v[198:199]
	v_mul_f64 v[2:3], v[2:3], v[196:197]
	v_fmac_f64_e32 v[2:3], v[4:5], v[194:195]
	scratch_load_dwordx4 v[194:197], off, s15
	v_add_f64 v[52:53], v[52:53], v[2:3]
	ds_read_b128 v[2:5], v49 offset:1248
	v_add_f64 v[10:11], v[10:11], v[198:199]
	s_add_i32 s15, s14, 0x120
	s_addk_i32 s14, 0x130
	s_waitcnt vmcnt(0) lgkmcnt(0)
	v_mul_f64 v[198:199], v[4:5], v[196:197]
	v_fma_f64 v[198:199], v[2:3], v[194:195], -v[198:199]
	v_mul_f64 v[2:3], v[2:3], v[196:197]
	v_fmac_f64_e32 v[2:3], v[4:5], v[194:195]
	scratch_load_dwordx4 v[194:197], off, s15
	v_add_f64 v[52:53], v[52:53], v[2:3]
	ds_read_b128 v[2:5], v49 offset:1264
	v_add_f64 v[10:11], v[10:11], v[198:199]
	s_waitcnt vmcnt(0) lgkmcnt(0)
	v_mul_f64 v[198:199], v[4:5], v[196:197]
	v_fma_f64 v[198:199], v[2:3], v[194:195], -v[198:199]
	v_mul_f64 v[2:3], v[2:3], v[196:197]
	v_fmac_f64_e32 v[2:3], v[4:5], v[194:195]
	scratch_load_dwordx4 v[194:197], off, s14
	v_add_f64 v[52:53], v[52:53], v[2:3]
	ds_read_b128 v[2:5], v49 offset:1280
	v_add_f64 v[10:11], v[10:11], v[198:199]
	s_add_i32 s14, s13, 8
	v_cmp_eq_u32_e32 vcc, s14, v7
	s_add_i32 s13, s13, 20
	s_or_b64 s[10:11], vcc, s[10:11]
	v_mov_b32_e32 v193, s13
	s_mov_b32 s13, s14
	s_waitcnt vmcnt(0) lgkmcnt(0)
	v_mul_f64 v[198:199], v[4:5], v[196:197]
	v_mul_f64 v[196:197], v[2:3], v[196:197]
	v_fma_f64 v[198:199], v[2:3], v[194:195], -v[198:199]
	v_fmac_f64_e32 v[196:197], v[4:5], v[194:195]
	v_add_f64 v[2:3], v[10:11], v[198:199]
	v_add_f64 v[4:5], v[52:53], v[196:197]
	s_andn2_b64 exec, exec, s[10:11]
	s_cbranch_execnz .LBB60_669
; %bb.670:
	s_or_b64 exec, exec, s[10:11]
.LBB60_671:
	s_or_b64 exec, exec, s[0:1]
	v_and_b32_e32 v6, 7, v6
	v_cmp_ne_u32_e32 vcc, 0, v6
	s_and_saveexec_b64 s[0:1], vcc
	s_cbranch_execz .LBB60_675
; %bb.672:
	v_lshlrev_b32_e32 v10, 4, v193
	v_add_u32_e32 v7, 0x3d0, v10
	v_add_u32_e32 v192, 0, v10
	s_mov_b64 s[10:11], 0
.LBB60_673:                             ; =>This Inner Loop Header: Depth=1
	scratch_load_dwordx4 v[194:197], v192, off
	ds_read_b128 v[198:201], v7
	v_add_u32_e32 v6, -1, v6
	v_cmp_eq_u32_e32 vcc, 0, v6
	v_add_u32_e32 v7, 16, v7
	v_add_u32_e32 v192, 16, v192
	s_or_b64 s[10:11], vcc, s[10:11]
	s_waitcnt vmcnt(0) lgkmcnt(0)
	v_mul_f64 v[10:11], v[200:201], v[196:197]
	v_mul_f64 v[52:53], v[198:199], v[196:197]
	v_fma_f64 v[10:11], v[198:199], v[194:195], -v[10:11]
	v_fmac_f64_e32 v[52:53], v[200:201], v[194:195]
	v_add_f64 v[2:3], v[2:3], v[10:11]
	v_add_f64 v[4:5], v[4:5], v[52:53]
	s_andn2_b64 exec, exec, s[10:11]
	s_cbranch_execnz .LBB60_673
; %bb.674:
	s_or_b64 exec, exec, s[10:11]
.LBB60_675:
	s_or_b64 exec, exec, s[0:1]
.LBB60_676:
	s_or_b64 exec, exec, s[8:9]
	v_mov_b32_e32 v6, 0
	ds_read_b128 v[192:195], v6 offset:176
	s_waitcnt lgkmcnt(0)
	v_mul_f64 v[6:7], v[4:5], v[194:195]
	v_mul_f64 v[196:197], v[2:3], v[194:195]
	v_fma_f64 v[194:195], v[2:3], v[192:193], -v[6:7]
	v_fmac_f64_e32 v[196:197], v[4:5], v[192:193]
	scratch_store_dwordx4 off, v[194:197], off offset:176
.LBB60_677:
	s_or_b64 exec, exec, s[4:5]
	scratch_load_dwordx4 v[2:5], v182, off
	v_cmp_lt_u32_e64 s[0:1], 10, v0
	s_waitcnt vmcnt(0)
	ds_write_b128 v9, v[2:5]
	s_waitcnt lgkmcnt(0)
	; wave barrier
	s_waitcnt lgkmcnt(0)
	s_and_saveexec_b64 s[4:5], s[0:1]
	s_cbranch_execz .LBB60_691
; %bb.678:
	ds_read_b128 v[2:5], v9
	s_andn2_b64 vcc, exec, s[6:7]
	s_cbranch_vccnz .LBB60_680
; %bb.679:
	scratch_load_dwordx4 v[192:195], v8, off
	s_waitcnt vmcnt(0) lgkmcnt(0)
	v_mul_f64 v[10:11], v[2:3], v[194:195]
	v_mul_f64 v[6:7], v[4:5], v[194:195]
	v_fmac_f64_e32 v[10:11], v[4:5], v[192:193]
	v_fma_f64 v[2:3], v[2:3], v[192:193], -v[6:7]
	v_mov_b64_e32 v[4:5], v[10:11]
.LBB60_680:
	s_and_saveexec_b64 s[8:9], s[2:3]
	s_cbranch_execz .LBB60_690
; %bb.681:
	v_add_u32_e32 v7, -12, v0
	v_add_u32_e32 v6, -11, v0
	v_cmp_lt_u32_e32 vcc, 6, v7
	v_mov_b32_e32 v193, 11
	s_and_saveexec_b64 s[2:3], vcc
	s_cbranch_execz .LBB60_685
; %bb.682:
	v_and_b32_e32 v7, -8, v6
	s_mov_b32 s12, 0
	s_mov_b64 s[10:11], 0
	v_mov_b32_e32 v192, 0
	s_mov_b32 s13, 0
.LBB60_683:                             ; =>This Inner Loop Header: Depth=1
	v_readfirstlane_b32 s14, v192
	s_add_i32 s14, s14, s12
	s_add_i32 s15, s14, 0xb0
	v_mov_b32_e32 v49, s12
	ds_read_b128 v[194:197], v49 offset:1152
	ds_read_b128 v[198:201], v49 offset:1168
	;; [unrolled: 1-line block ×4, first 2 shown]
	scratch_load_dwordx4 v[210:213], off, s15
	s_add_i32 s15, s14, 0xc0
	s_addk_i32 s12, 0x80
	s_waitcnt vmcnt(0) lgkmcnt(3)
	v_mul_f64 v[10:11], v[196:197], v[212:213]
	v_mul_f64 v[52:53], v[194:195], v[212:213]
	v_fma_f64 v[10:11], v[194:195], v[210:211], -v[10:11]
	v_fmac_f64_e32 v[52:53], v[196:197], v[210:211]
	v_add_f64 v[10:11], v[2:3], v[10:11]
	v_add_f64 v[52:53], v[4:5], v[52:53]
	scratch_load_dwordx4 v[2:5], off, s15
	s_add_i32 s15, s14, 0xd0
	s_waitcnt vmcnt(0) lgkmcnt(2)
	v_mul_f64 v[194:195], v[200:201], v[4:5]
	v_mul_f64 v[4:5], v[198:199], v[4:5]
	v_fmac_f64_e32 v[4:5], v[200:201], v[2:3]
	v_fma_f64 v[194:195], v[198:199], v[2:3], -v[194:195]
	v_add_f64 v[52:53], v[52:53], v[4:5]
	scratch_load_dwordx4 v[2:5], off, s15
	v_add_f64 v[10:11], v[10:11], v[194:195]
	s_add_i32 s15, s14, 0xe0
	s_waitcnt vmcnt(0) lgkmcnt(1)
	v_mul_f64 v[194:195], v[204:205], v[4:5]
	v_mul_f64 v[4:5], v[202:203], v[4:5]
	v_fmac_f64_e32 v[4:5], v[204:205], v[2:3]
	v_fma_f64 v[194:195], v[202:203], v[2:3], -v[194:195]
	v_add_f64 v[52:53], v[52:53], v[4:5]
	scratch_load_dwordx4 v[2:5], off, s15
	v_add_f64 v[10:11], v[10:11], v[194:195]
	s_add_i32 s15, s14, 0xf0
	s_waitcnt vmcnt(0) lgkmcnt(0)
	v_mul_f64 v[194:195], v[208:209], v[4:5]
	v_fma_f64 v[194:195], v[206:207], v[2:3], -v[194:195]
	v_add_f64 v[10:11], v[10:11], v[194:195]
	scratch_load_dwordx4 v[194:197], off, s15
	v_mul_f64 v[4:5], v[206:207], v[4:5]
	v_fmac_f64_e32 v[4:5], v[208:209], v[2:3]
	v_add_f64 v[52:53], v[52:53], v[4:5]
	ds_read_b128 v[2:5], v49 offset:1216
	s_add_i32 s15, s14, 0x100
	s_waitcnt vmcnt(0) lgkmcnt(0)
	v_mul_f64 v[198:199], v[4:5], v[196:197]
	v_fma_f64 v[198:199], v[2:3], v[194:195], -v[198:199]
	v_mul_f64 v[2:3], v[2:3], v[196:197]
	v_fmac_f64_e32 v[2:3], v[4:5], v[194:195]
	scratch_load_dwordx4 v[194:197], off, s15
	v_add_f64 v[52:53], v[52:53], v[2:3]
	ds_read_b128 v[2:5], v49 offset:1232
	v_add_f64 v[10:11], v[10:11], v[198:199]
	s_add_i32 s15, s14, 0x110
	s_addk_i32 s14, 0x120
	s_waitcnt vmcnt(0) lgkmcnt(0)
	v_mul_f64 v[198:199], v[4:5], v[196:197]
	v_fma_f64 v[198:199], v[2:3], v[194:195], -v[198:199]
	v_mul_f64 v[2:3], v[2:3], v[196:197]
	v_fmac_f64_e32 v[2:3], v[4:5], v[194:195]
	scratch_load_dwordx4 v[194:197], off, s15
	v_add_f64 v[52:53], v[52:53], v[2:3]
	ds_read_b128 v[2:5], v49 offset:1248
	v_add_f64 v[10:11], v[10:11], v[198:199]
	s_waitcnt vmcnt(0) lgkmcnt(0)
	v_mul_f64 v[198:199], v[4:5], v[196:197]
	v_fma_f64 v[198:199], v[2:3], v[194:195], -v[198:199]
	v_mul_f64 v[2:3], v[2:3], v[196:197]
	v_fmac_f64_e32 v[2:3], v[4:5], v[194:195]
	scratch_load_dwordx4 v[194:197], off, s14
	v_add_f64 v[52:53], v[52:53], v[2:3]
	ds_read_b128 v[2:5], v49 offset:1264
	v_add_f64 v[10:11], v[10:11], v[198:199]
	s_add_i32 s14, s13, 8
	v_cmp_eq_u32_e32 vcc, s14, v7
	s_add_i32 s13, s13, 19
	s_or_b64 s[10:11], vcc, s[10:11]
	v_mov_b32_e32 v193, s13
	s_mov_b32 s13, s14
	s_waitcnt vmcnt(0) lgkmcnt(0)
	v_mul_f64 v[198:199], v[4:5], v[196:197]
	v_mul_f64 v[196:197], v[2:3], v[196:197]
	v_fma_f64 v[198:199], v[2:3], v[194:195], -v[198:199]
	v_fmac_f64_e32 v[196:197], v[4:5], v[194:195]
	v_add_f64 v[2:3], v[10:11], v[198:199]
	v_add_f64 v[4:5], v[52:53], v[196:197]
	s_andn2_b64 exec, exec, s[10:11]
	s_cbranch_execnz .LBB60_683
; %bb.684:
	s_or_b64 exec, exec, s[10:11]
.LBB60_685:
	s_or_b64 exec, exec, s[2:3]
	v_and_b32_e32 v6, 7, v6
	v_cmp_ne_u32_e32 vcc, 0, v6
	s_and_saveexec_b64 s[2:3], vcc
	s_cbranch_execz .LBB60_689
; %bb.686:
	v_lshlrev_b32_e32 v10, 4, v193
	v_add_u32_e32 v7, 0x3d0, v10
	v_add_u32_e32 v192, 0, v10
	s_mov_b64 s[10:11], 0
.LBB60_687:                             ; =>This Inner Loop Header: Depth=1
	scratch_load_dwordx4 v[194:197], v192, off
	ds_read_b128 v[198:201], v7
	v_add_u32_e32 v6, -1, v6
	v_cmp_eq_u32_e32 vcc, 0, v6
	v_add_u32_e32 v7, 16, v7
	v_add_u32_e32 v192, 16, v192
	s_or_b64 s[10:11], vcc, s[10:11]
	s_waitcnt vmcnt(0) lgkmcnt(0)
	v_mul_f64 v[10:11], v[200:201], v[196:197]
	v_mul_f64 v[52:53], v[198:199], v[196:197]
	v_fma_f64 v[10:11], v[198:199], v[194:195], -v[10:11]
	v_fmac_f64_e32 v[52:53], v[200:201], v[194:195]
	v_add_f64 v[2:3], v[2:3], v[10:11]
	v_add_f64 v[4:5], v[4:5], v[52:53]
	s_andn2_b64 exec, exec, s[10:11]
	s_cbranch_execnz .LBB60_687
; %bb.688:
	s_or_b64 exec, exec, s[10:11]
.LBB60_689:
	s_or_b64 exec, exec, s[2:3]
.LBB60_690:
	s_or_b64 exec, exec, s[8:9]
	v_mov_b32_e32 v6, 0
	ds_read_b128 v[192:195], v6 offset:160
	s_waitcnt lgkmcnt(0)
	v_mul_f64 v[6:7], v[4:5], v[194:195]
	v_mul_f64 v[196:197], v[2:3], v[194:195]
	v_fma_f64 v[194:195], v[2:3], v[192:193], -v[6:7]
	v_fmac_f64_e32 v[196:197], v[4:5], v[192:193]
	scratch_store_dwordx4 off, v[194:197], off offset:160
.LBB60_691:
	s_or_b64 exec, exec, s[4:5]
	scratch_load_dwordx4 v[2:5], v183, off
	v_cmp_lt_u32_e64 s[2:3], 9, v0
	s_waitcnt vmcnt(0)
	ds_write_b128 v9, v[2:5]
	s_waitcnt lgkmcnt(0)
	; wave barrier
	s_waitcnt lgkmcnt(0)
	s_and_saveexec_b64 s[4:5], s[2:3]
	s_cbranch_execz .LBB60_705
; %bb.692:
	ds_read_b128 v[2:5], v9
	s_andn2_b64 vcc, exec, s[6:7]
	s_cbranch_vccnz .LBB60_694
; %bb.693:
	scratch_load_dwordx4 v[192:195], v8, off
	s_waitcnt vmcnt(0) lgkmcnt(0)
	v_mul_f64 v[10:11], v[2:3], v[194:195]
	v_mul_f64 v[6:7], v[4:5], v[194:195]
	v_fmac_f64_e32 v[10:11], v[4:5], v[192:193]
	v_fma_f64 v[2:3], v[2:3], v[192:193], -v[6:7]
	v_mov_b64_e32 v[4:5], v[10:11]
.LBB60_694:
	s_and_saveexec_b64 s[8:9], s[0:1]
	s_cbranch_execz .LBB60_704
; %bb.695:
	v_add_u32_e32 v7, -11, v0
	v_add_u32_e32 v6, -10, v0
	v_cmp_lt_u32_e32 vcc, 6, v7
	v_mov_b32_e32 v193, 10
	s_and_saveexec_b64 s[0:1], vcc
	s_cbranch_execz .LBB60_699
; %bb.696:
	v_and_b32_e32 v7, -8, v6
	s_mov_b32 s12, 0
	s_mov_b64 s[10:11], 0
	v_mov_b32_e32 v192, 0
	s_mov_b32 s13, 0
.LBB60_697:                             ; =>This Inner Loop Header: Depth=1
	v_readfirstlane_b32 s14, v192
	s_add_i32 s14, s14, s12
	s_add_i32 s15, s14, 0xa0
	v_mov_b32_e32 v49, s12
	ds_read_b128 v[194:197], v49 offset:1136
	ds_read_b128 v[198:201], v49 offset:1152
	;; [unrolled: 1-line block ×4, first 2 shown]
	scratch_load_dwordx4 v[210:213], off, s15
	s_add_i32 s15, s14, 0xb0
	s_addk_i32 s12, 0x80
	s_waitcnt vmcnt(0) lgkmcnt(3)
	v_mul_f64 v[10:11], v[196:197], v[212:213]
	v_mul_f64 v[52:53], v[194:195], v[212:213]
	v_fma_f64 v[10:11], v[194:195], v[210:211], -v[10:11]
	v_fmac_f64_e32 v[52:53], v[196:197], v[210:211]
	v_add_f64 v[10:11], v[2:3], v[10:11]
	v_add_f64 v[52:53], v[4:5], v[52:53]
	scratch_load_dwordx4 v[2:5], off, s15
	s_add_i32 s15, s14, 0xc0
	s_waitcnt vmcnt(0) lgkmcnt(2)
	v_mul_f64 v[194:195], v[200:201], v[4:5]
	v_mul_f64 v[4:5], v[198:199], v[4:5]
	v_fmac_f64_e32 v[4:5], v[200:201], v[2:3]
	v_fma_f64 v[194:195], v[198:199], v[2:3], -v[194:195]
	v_add_f64 v[52:53], v[52:53], v[4:5]
	scratch_load_dwordx4 v[2:5], off, s15
	v_add_f64 v[10:11], v[10:11], v[194:195]
	s_add_i32 s15, s14, 0xd0
	s_waitcnt vmcnt(0) lgkmcnt(1)
	v_mul_f64 v[194:195], v[204:205], v[4:5]
	v_mul_f64 v[4:5], v[202:203], v[4:5]
	v_fmac_f64_e32 v[4:5], v[204:205], v[2:3]
	v_fma_f64 v[194:195], v[202:203], v[2:3], -v[194:195]
	v_add_f64 v[52:53], v[52:53], v[4:5]
	scratch_load_dwordx4 v[2:5], off, s15
	v_add_f64 v[10:11], v[10:11], v[194:195]
	s_add_i32 s15, s14, 0xe0
	s_waitcnt vmcnt(0) lgkmcnt(0)
	v_mul_f64 v[194:195], v[208:209], v[4:5]
	v_fma_f64 v[194:195], v[206:207], v[2:3], -v[194:195]
	v_add_f64 v[10:11], v[10:11], v[194:195]
	scratch_load_dwordx4 v[194:197], off, s15
	v_mul_f64 v[4:5], v[206:207], v[4:5]
	v_fmac_f64_e32 v[4:5], v[208:209], v[2:3]
	v_add_f64 v[52:53], v[52:53], v[4:5]
	ds_read_b128 v[2:5], v49 offset:1200
	s_add_i32 s15, s14, 0xf0
	s_waitcnt vmcnt(0) lgkmcnt(0)
	v_mul_f64 v[198:199], v[4:5], v[196:197]
	v_fma_f64 v[198:199], v[2:3], v[194:195], -v[198:199]
	v_mul_f64 v[2:3], v[2:3], v[196:197]
	v_fmac_f64_e32 v[2:3], v[4:5], v[194:195]
	scratch_load_dwordx4 v[194:197], off, s15
	v_add_f64 v[52:53], v[52:53], v[2:3]
	ds_read_b128 v[2:5], v49 offset:1216
	v_add_f64 v[10:11], v[10:11], v[198:199]
	s_add_i32 s15, s14, 0x100
	s_addk_i32 s14, 0x110
	s_waitcnt vmcnt(0) lgkmcnt(0)
	v_mul_f64 v[198:199], v[4:5], v[196:197]
	v_fma_f64 v[198:199], v[2:3], v[194:195], -v[198:199]
	v_mul_f64 v[2:3], v[2:3], v[196:197]
	v_fmac_f64_e32 v[2:3], v[4:5], v[194:195]
	scratch_load_dwordx4 v[194:197], off, s15
	v_add_f64 v[52:53], v[52:53], v[2:3]
	ds_read_b128 v[2:5], v49 offset:1232
	v_add_f64 v[10:11], v[10:11], v[198:199]
	s_waitcnt vmcnt(0) lgkmcnt(0)
	v_mul_f64 v[198:199], v[4:5], v[196:197]
	v_fma_f64 v[198:199], v[2:3], v[194:195], -v[198:199]
	v_mul_f64 v[2:3], v[2:3], v[196:197]
	v_fmac_f64_e32 v[2:3], v[4:5], v[194:195]
	scratch_load_dwordx4 v[194:197], off, s14
	v_add_f64 v[52:53], v[52:53], v[2:3]
	ds_read_b128 v[2:5], v49 offset:1248
	v_add_f64 v[10:11], v[10:11], v[198:199]
	s_add_i32 s14, s13, 8
	v_cmp_eq_u32_e32 vcc, s14, v7
	s_add_i32 s13, s13, 18
	s_or_b64 s[10:11], vcc, s[10:11]
	v_mov_b32_e32 v193, s13
	s_mov_b32 s13, s14
	s_waitcnt vmcnt(0) lgkmcnt(0)
	v_mul_f64 v[198:199], v[4:5], v[196:197]
	v_mul_f64 v[196:197], v[2:3], v[196:197]
	v_fma_f64 v[198:199], v[2:3], v[194:195], -v[198:199]
	v_fmac_f64_e32 v[196:197], v[4:5], v[194:195]
	v_add_f64 v[2:3], v[10:11], v[198:199]
	v_add_f64 v[4:5], v[52:53], v[196:197]
	s_andn2_b64 exec, exec, s[10:11]
	s_cbranch_execnz .LBB60_697
; %bb.698:
	s_or_b64 exec, exec, s[10:11]
.LBB60_699:
	s_or_b64 exec, exec, s[0:1]
	v_and_b32_e32 v6, 7, v6
	v_cmp_ne_u32_e32 vcc, 0, v6
	s_and_saveexec_b64 s[0:1], vcc
	s_cbranch_execz .LBB60_703
; %bb.700:
	v_lshlrev_b32_e32 v10, 4, v193
	v_add_u32_e32 v7, 0x3d0, v10
	v_add_u32_e32 v192, 0, v10
	s_mov_b64 s[10:11], 0
.LBB60_701:                             ; =>This Inner Loop Header: Depth=1
	scratch_load_dwordx4 v[194:197], v192, off
	ds_read_b128 v[198:201], v7
	v_add_u32_e32 v6, -1, v6
	v_cmp_eq_u32_e32 vcc, 0, v6
	v_add_u32_e32 v7, 16, v7
	v_add_u32_e32 v192, 16, v192
	s_or_b64 s[10:11], vcc, s[10:11]
	s_waitcnt vmcnt(0) lgkmcnt(0)
	v_mul_f64 v[10:11], v[200:201], v[196:197]
	v_mul_f64 v[52:53], v[198:199], v[196:197]
	v_fma_f64 v[10:11], v[198:199], v[194:195], -v[10:11]
	v_fmac_f64_e32 v[52:53], v[200:201], v[194:195]
	v_add_f64 v[2:3], v[2:3], v[10:11]
	v_add_f64 v[4:5], v[4:5], v[52:53]
	s_andn2_b64 exec, exec, s[10:11]
	s_cbranch_execnz .LBB60_701
; %bb.702:
	s_or_b64 exec, exec, s[10:11]
.LBB60_703:
	s_or_b64 exec, exec, s[0:1]
.LBB60_704:
	s_or_b64 exec, exec, s[8:9]
	v_mov_b32_e32 v6, 0
	ds_read_b128 v[192:195], v6 offset:144
	s_waitcnt lgkmcnt(0)
	v_mul_f64 v[6:7], v[4:5], v[194:195]
	v_mul_f64 v[196:197], v[2:3], v[194:195]
	v_fma_f64 v[194:195], v[2:3], v[192:193], -v[6:7]
	v_fmac_f64_e32 v[196:197], v[4:5], v[192:193]
	scratch_store_dwordx4 off, v[194:197], off offset:144
.LBB60_705:
	s_or_b64 exec, exec, s[4:5]
	scratch_load_dwordx4 v[2:5], v184, off
	v_cmp_lt_u32_e64 s[0:1], 8, v0
	s_waitcnt vmcnt(0)
	ds_write_b128 v9, v[2:5]
	s_waitcnt lgkmcnt(0)
	; wave barrier
	s_waitcnt lgkmcnt(0)
	s_and_saveexec_b64 s[4:5], s[0:1]
	s_cbranch_execz .LBB60_719
; %bb.706:
	ds_read_b128 v[2:5], v9
	s_andn2_b64 vcc, exec, s[6:7]
	s_cbranch_vccnz .LBB60_708
; %bb.707:
	scratch_load_dwordx4 v[192:195], v8, off
	s_waitcnt vmcnt(0) lgkmcnt(0)
	v_mul_f64 v[10:11], v[2:3], v[194:195]
	v_mul_f64 v[6:7], v[4:5], v[194:195]
	v_fmac_f64_e32 v[10:11], v[4:5], v[192:193]
	v_fma_f64 v[2:3], v[2:3], v[192:193], -v[6:7]
	v_mov_b64_e32 v[4:5], v[10:11]
.LBB60_708:
	s_and_saveexec_b64 s[8:9], s[2:3]
	s_cbranch_execz .LBB60_718
; %bb.709:
	v_add_u32_e32 v7, -10, v0
	v_add_u32_e32 v6, -9, v0
	v_cmp_lt_u32_e32 vcc, 6, v7
	v_mov_b32_e32 v193, 9
	s_and_saveexec_b64 s[2:3], vcc
	s_cbranch_execz .LBB60_713
; %bb.710:
	v_and_b32_e32 v7, -8, v6
	s_mov_b32 s12, 0
	s_mov_b64 s[10:11], 0
	v_mov_b32_e32 v192, 0
	s_mov_b32 s13, 0
.LBB60_711:                             ; =>This Inner Loop Header: Depth=1
	v_readfirstlane_b32 s14, v192
	s_add_i32 s14, s14, s12
	s_add_i32 s15, s14, 0x90
	v_mov_b32_e32 v49, s12
	ds_read_b128 v[194:197], v49 offset:1120
	ds_read_b128 v[198:201], v49 offset:1136
	;; [unrolled: 1-line block ×4, first 2 shown]
	scratch_load_dwordx4 v[210:213], off, s15
	s_add_i32 s15, s14, 0xa0
	s_addk_i32 s12, 0x80
	s_waitcnt vmcnt(0) lgkmcnt(3)
	v_mul_f64 v[10:11], v[196:197], v[212:213]
	v_mul_f64 v[52:53], v[194:195], v[212:213]
	v_fma_f64 v[10:11], v[194:195], v[210:211], -v[10:11]
	v_fmac_f64_e32 v[52:53], v[196:197], v[210:211]
	v_add_f64 v[10:11], v[2:3], v[10:11]
	v_add_f64 v[52:53], v[4:5], v[52:53]
	scratch_load_dwordx4 v[2:5], off, s15
	s_add_i32 s15, s14, 0xb0
	s_waitcnt vmcnt(0) lgkmcnt(2)
	v_mul_f64 v[194:195], v[200:201], v[4:5]
	v_mul_f64 v[4:5], v[198:199], v[4:5]
	v_fmac_f64_e32 v[4:5], v[200:201], v[2:3]
	v_fma_f64 v[194:195], v[198:199], v[2:3], -v[194:195]
	v_add_f64 v[52:53], v[52:53], v[4:5]
	scratch_load_dwordx4 v[2:5], off, s15
	v_add_f64 v[10:11], v[10:11], v[194:195]
	s_add_i32 s15, s14, 0xc0
	s_waitcnt vmcnt(0) lgkmcnt(1)
	v_mul_f64 v[194:195], v[204:205], v[4:5]
	v_mul_f64 v[4:5], v[202:203], v[4:5]
	v_fmac_f64_e32 v[4:5], v[204:205], v[2:3]
	v_fma_f64 v[194:195], v[202:203], v[2:3], -v[194:195]
	v_add_f64 v[52:53], v[52:53], v[4:5]
	scratch_load_dwordx4 v[2:5], off, s15
	v_add_f64 v[10:11], v[10:11], v[194:195]
	s_add_i32 s15, s14, 0xd0
	s_waitcnt vmcnt(0) lgkmcnt(0)
	v_mul_f64 v[194:195], v[208:209], v[4:5]
	v_fma_f64 v[194:195], v[206:207], v[2:3], -v[194:195]
	v_add_f64 v[10:11], v[10:11], v[194:195]
	scratch_load_dwordx4 v[194:197], off, s15
	v_mul_f64 v[4:5], v[206:207], v[4:5]
	v_fmac_f64_e32 v[4:5], v[208:209], v[2:3]
	v_add_f64 v[52:53], v[52:53], v[4:5]
	ds_read_b128 v[2:5], v49 offset:1184
	s_add_i32 s15, s14, 0xe0
	s_waitcnt vmcnt(0) lgkmcnt(0)
	v_mul_f64 v[198:199], v[4:5], v[196:197]
	v_fma_f64 v[198:199], v[2:3], v[194:195], -v[198:199]
	v_mul_f64 v[2:3], v[2:3], v[196:197]
	v_fmac_f64_e32 v[2:3], v[4:5], v[194:195]
	scratch_load_dwordx4 v[194:197], off, s15
	v_add_f64 v[52:53], v[52:53], v[2:3]
	ds_read_b128 v[2:5], v49 offset:1200
	v_add_f64 v[10:11], v[10:11], v[198:199]
	s_add_i32 s15, s14, 0xf0
	s_addk_i32 s14, 0x100
	s_waitcnt vmcnt(0) lgkmcnt(0)
	v_mul_f64 v[198:199], v[4:5], v[196:197]
	v_fma_f64 v[198:199], v[2:3], v[194:195], -v[198:199]
	v_mul_f64 v[2:3], v[2:3], v[196:197]
	v_fmac_f64_e32 v[2:3], v[4:5], v[194:195]
	scratch_load_dwordx4 v[194:197], off, s15
	v_add_f64 v[52:53], v[52:53], v[2:3]
	ds_read_b128 v[2:5], v49 offset:1216
	v_add_f64 v[10:11], v[10:11], v[198:199]
	s_waitcnt vmcnt(0) lgkmcnt(0)
	v_mul_f64 v[198:199], v[4:5], v[196:197]
	v_fma_f64 v[198:199], v[2:3], v[194:195], -v[198:199]
	v_mul_f64 v[2:3], v[2:3], v[196:197]
	v_fmac_f64_e32 v[2:3], v[4:5], v[194:195]
	scratch_load_dwordx4 v[194:197], off, s14
	v_add_f64 v[52:53], v[52:53], v[2:3]
	ds_read_b128 v[2:5], v49 offset:1232
	v_add_f64 v[10:11], v[10:11], v[198:199]
	s_add_i32 s14, s13, 8
	v_cmp_eq_u32_e32 vcc, s14, v7
	s_add_i32 s13, s13, 17
	s_or_b64 s[10:11], vcc, s[10:11]
	v_mov_b32_e32 v193, s13
	s_mov_b32 s13, s14
	s_waitcnt vmcnt(0) lgkmcnt(0)
	v_mul_f64 v[198:199], v[4:5], v[196:197]
	v_mul_f64 v[196:197], v[2:3], v[196:197]
	v_fma_f64 v[198:199], v[2:3], v[194:195], -v[198:199]
	v_fmac_f64_e32 v[196:197], v[4:5], v[194:195]
	v_add_f64 v[2:3], v[10:11], v[198:199]
	v_add_f64 v[4:5], v[52:53], v[196:197]
	s_andn2_b64 exec, exec, s[10:11]
	s_cbranch_execnz .LBB60_711
; %bb.712:
	s_or_b64 exec, exec, s[10:11]
.LBB60_713:
	s_or_b64 exec, exec, s[2:3]
	v_and_b32_e32 v6, 7, v6
	v_cmp_ne_u32_e32 vcc, 0, v6
	s_and_saveexec_b64 s[2:3], vcc
	s_cbranch_execz .LBB60_717
; %bb.714:
	v_lshlrev_b32_e32 v10, 4, v193
	v_add_u32_e32 v7, 0x3d0, v10
	v_add_u32_e32 v192, 0, v10
	s_mov_b64 s[10:11], 0
.LBB60_715:                             ; =>This Inner Loop Header: Depth=1
	scratch_load_dwordx4 v[194:197], v192, off
	ds_read_b128 v[198:201], v7
	v_add_u32_e32 v6, -1, v6
	v_cmp_eq_u32_e32 vcc, 0, v6
	v_add_u32_e32 v7, 16, v7
	v_add_u32_e32 v192, 16, v192
	s_or_b64 s[10:11], vcc, s[10:11]
	s_waitcnt vmcnt(0) lgkmcnt(0)
	v_mul_f64 v[10:11], v[200:201], v[196:197]
	v_mul_f64 v[52:53], v[198:199], v[196:197]
	v_fma_f64 v[10:11], v[198:199], v[194:195], -v[10:11]
	v_fmac_f64_e32 v[52:53], v[200:201], v[194:195]
	v_add_f64 v[2:3], v[2:3], v[10:11]
	v_add_f64 v[4:5], v[4:5], v[52:53]
	s_andn2_b64 exec, exec, s[10:11]
	s_cbranch_execnz .LBB60_715
; %bb.716:
	s_or_b64 exec, exec, s[10:11]
.LBB60_717:
	s_or_b64 exec, exec, s[2:3]
.LBB60_718:
	s_or_b64 exec, exec, s[8:9]
	v_mov_b32_e32 v6, 0
	ds_read_b128 v[192:195], v6 offset:128
	s_waitcnt lgkmcnt(0)
	v_mul_f64 v[6:7], v[4:5], v[194:195]
	v_mul_f64 v[196:197], v[2:3], v[194:195]
	v_fma_f64 v[194:195], v[2:3], v[192:193], -v[6:7]
	v_fmac_f64_e32 v[196:197], v[4:5], v[192:193]
	scratch_store_dwordx4 off, v[194:197], off offset:128
.LBB60_719:
	s_or_b64 exec, exec, s[4:5]
	scratch_load_dwordx4 v[2:5], v185, off
	v_cmp_lt_u32_e64 s[2:3], 7, v0
	s_waitcnt vmcnt(0)
	ds_write_b128 v9, v[2:5]
	s_waitcnt lgkmcnt(0)
	; wave barrier
	s_waitcnt lgkmcnt(0)
	s_and_saveexec_b64 s[4:5], s[2:3]
	s_cbranch_execz .LBB60_733
; %bb.720:
	ds_read_b128 v[2:5], v9
	s_andn2_b64 vcc, exec, s[6:7]
	s_cbranch_vccnz .LBB60_722
; %bb.721:
	scratch_load_dwordx4 v[192:195], v8, off
	s_waitcnt vmcnt(0) lgkmcnt(0)
	v_mul_f64 v[10:11], v[2:3], v[194:195]
	v_mul_f64 v[6:7], v[4:5], v[194:195]
	v_fmac_f64_e32 v[10:11], v[4:5], v[192:193]
	v_fma_f64 v[2:3], v[2:3], v[192:193], -v[6:7]
	v_mov_b64_e32 v[4:5], v[10:11]
.LBB60_722:
	s_and_saveexec_b64 s[8:9], s[0:1]
	s_cbranch_execz .LBB60_732
; %bb.723:
	v_add_u32_e32 v6, -9, v0
	v_cmp_lt_u32_e32 vcc, 6, v6
	v_mov_b32_e32 v6, 8
	s_and_saveexec_b64 s[0:1], vcc
	s_cbranch_execz .LBB60_727
; %bb.724:
	v_and_b32_e32 v6, 56, v0
	s_mov_b32 s12, 8
	s_mov_b32 s13, 0
	s_mov_b64 s[10:11], 0
	v_mov_b32_e32 v7, 0
.LBB60_725:                             ; =>This Inner Loop Header: Depth=1
	s_nop 0
	v_readfirstlane_b32 s14, v7
	s_add_i32 s14, s14, s13
	s_add_i32 s15, s14, 0x80
	v_mov_b32_e32 v49, s13
	ds_read_b128 v[192:195], v49 offset:1104
	ds_read_b128 v[196:199], v49 offset:1120
	ds_read_b128 v[200:203], v49 offset:1136
	ds_read_b128 v[204:207], v49 offset:1152
	scratch_load_dwordx4 v[208:211], off, s15
	s_add_i32 s15, s14, 0x90
	s_add_i32 s12, s12, 8
	s_addk_i32 s13, 0x80
	v_cmp_eq_u32_e32 vcc, s12, v6
	s_waitcnt vmcnt(0) lgkmcnt(3)
	v_mul_f64 v[10:11], v[194:195], v[210:211]
	v_mul_f64 v[52:53], v[192:193], v[210:211]
	v_fma_f64 v[10:11], v[192:193], v[208:209], -v[10:11]
	v_fmac_f64_e32 v[52:53], v[194:195], v[208:209]
	v_add_f64 v[10:11], v[2:3], v[10:11]
	v_add_f64 v[52:53], v[4:5], v[52:53]
	scratch_load_dwordx4 v[2:5], off, s15
	s_add_i32 s15, s14, 0xa0
	s_waitcnt vmcnt(0) lgkmcnt(2)
	v_mul_f64 v[192:193], v[198:199], v[4:5]
	v_mul_f64 v[4:5], v[196:197], v[4:5]
	v_fmac_f64_e32 v[4:5], v[198:199], v[2:3]
	v_fma_f64 v[192:193], v[196:197], v[2:3], -v[192:193]
	v_add_f64 v[52:53], v[52:53], v[4:5]
	scratch_load_dwordx4 v[2:5], off, s15
	v_add_f64 v[10:11], v[10:11], v[192:193]
	s_add_i32 s15, s14, 0xb0
	s_waitcnt vmcnt(0) lgkmcnt(1)
	v_mul_f64 v[192:193], v[202:203], v[4:5]
	v_mul_f64 v[4:5], v[200:201], v[4:5]
	v_fmac_f64_e32 v[4:5], v[202:203], v[2:3]
	v_fma_f64 v[192:193], v[200:201], v[2:3], -v[192:193]
	v_add_f64 v[52:53], v[52:53], v[4:5]
	scratch_load_dwordx4 v[2:5], off, s15
	v_add_f64 v[10:11], v[10:11], v[192:193]
	s_add_i32 s15, s14, 0xc0
	s_waitcnt vmcnt(0) lgkmcnt(0)
	v_mul_f64 v[192:193], v[206:207], v[4:5]
	v_fma_f64 v[192:193], v[204:205], v[2:3], -v[192:193]
	v_add_f64 v[10:11], v[10:11], v[192:193]
	scratch_load_dwordx4 v[192:195], off, s15
	v_mul_f64 v[4:5], v[204:205], v[4:5]
	v_fmac_f64_e32 v[4:5], v[206:207], v[2:3]
	v_add_f64 v[52:53], v[52:53], v[4:5]
	ds_read_b128 v[2:5], v49 offset:1168
	s_add_i32 s15, s14, 0xd0
	s_waitcnt vmcnt(0) lgkmcnt(0)
	v_mul_f64 v[196:197], v[4:5], v[194:195]
	v_fma_f64 v[196:197], v[2:3], v[192:193], -v[196:197]
	v_mul_f64 v[2:3], v[2:3], v[194:195]
	v_fmac_f64_e32 v[2:3], v[4:5], v[192:193]
	scratch_load_dwordx4 v[192:195], off, s15
	v_add_f64 v[52:53], v[52:53], v[2:3]
	ds_read_b128 v[2:5], v49 offset:1184
	v_add_f64 v[10:11], v[10:11], v[196:197]
	s_add_i32 s15, s14, 0xe0
	s_addk_i32 s14, 0xf0
	s_or_b64 s[10:11], vcc, s[10:11]
	s_waitcnt vmcnt(0) lgkmcnt(0)
	v_mul_f64 v[196:197], v[4:5], v[194:195]
	v_fma_f64 v[196:197], v[2:3], v[192:193], -v[196:197]
	v_mul_f64 v[2:3], v[2:3], v[194:195]
	v_fmac_f64_e32 v[2:3], v[4:5], v[192:193]
	scratch_load_dwordx4 v[192:195], off, s15
	v_add_f64 v[52:53], v[52:53], v[2:3]
	ds_read_b128 v[2:5], v49 offset:1200
	v_add_f64 v[10:11], v[10:11], v[196:197]
	s_waitcnt vmcnt(0) lgkmcnt(0)
	v_mul_f64 v[196:197], v[4:5], v[194:195]
	v_fma_f64 v[196:197], v[2:3], v[192:193], -v[196:197]
	v_mul_f64 v[2:3], v[2:3], v[194:195]
	v_fmac_f64_e32 v[2:3], v[4:5], v[192:193]
	scratch_load_dwordx4 v[192:195], off, s14
	v_add_f64 v[52:53], v[52:53], v[2:3]
	ds_read_b128 v[2:5], v49 offset:1216
	v_add_f64 v[10:11], v[10:11], v[196:197]
	s_waitcnt vmcnt(0) lgkmcnt(0)
	v_mul_f64 v[196:197], v[4:5], v[194:195]
	v_mul_f64 v[194:195], v[2:3], v[194:195]
	v_fma_f64 v[196:197], v[2:3], v[192:193], -v[196:197]
	v_fmac_f64_e32 v[194:195], v[4:5], v[192:193]
	v_add_f64 v[2:3], v[10:11], v[196:197]
	v_add_f64 v[4:5], v[52:53], v[194:195]
	s_andn2_b64 exec, exec, s[10:11]
	s_cbranch_execnz .LBB60_725
; %bb.726:
	s_or_b64 exec, exec, s[10:11]
.LBB60_727:
	s_or_b64 exec, exec, s[0:1]
	v_and_b32_e32 v7, 7, v0
	v_cmp_ne_u32_e32 vcc, 0, v7
	s_and_saveexec_b64 s[0:1], vcc
	s_cbranch_execz .LBB60_731
; %bb.728:
	v_lshlrev_b32_e32 v10, 4, v6
	v_add_u32_e32 v6, 0x3d0, v10
	v_add_u32_e32 v192, 0, v10
	s_mov_b64 s[10:11], 0
.LBB60_729:                             ; =>This Inner Loop Header: Depth=1
	scratch_load_dwordx4 v[194:197], v192, off
	ds_read_b128 v[198:201], v6
	v_add_u32_e32 v7, -1, v7
	v_cmp_eq_u32_e32 vcc, 0, v7
	v_add_u32_e32 v6, 16, v6
	v_add_u32_e32 v192, 16, v192
	s_or_b64 s[10:11], vcc, s[10:11]
	s_waitcnt vmcnt(0) lgkmcnt(0)
	v_mul_f64 v[10:11], v[200:201], v[196:197]
	v_mul_f64 v[52:53], v[198:199], v[196:197]
	v_fma_f64 v[10:11], v[198:199], v[194:195], -v[10:11]
	v_fmac_f64_e32 v[52:53], v[200:201], v[194:195]
	v_add_f64 v[2:3], v[2:3], v[10:11]
	v_add_f64 v[4:5], v[4:5], v[52:53]
	s_andn2_b64 exec, exec, s[10:11]
	s_cbranch_execnz .LBB60_729
; %bb.730:
	s_or_b64 exec, exec, s[10:11]
.LBB60_731:
	s_or_b64 exec, exec, s[0:1]
.LBB60_732:
	s_or_b64 exec, exec, s[8:9]
	v_mov_b32_e32 v6, 0
	ds_read_b128 v[192:195], v6 offset:112
	s_waitcnt lgkmcnt(0)
	v_mul_f64 v[6:7], v[4:5], v[194:195]
	v_mul_f64 v[196:197], v[2:3], v[194:195]
	v_fma_f64 v[194:195], v[2:3], v[192:193], -v[6:7]
	v_fmac_f64_e32 v[196:197], v[4:5], v[192:193]
	scratch_store_dwordx4 off, v[194:197], off offset:112
.LBB60_733:
	s_or_b64 exec, exec, s[4:5]
	scratch_load_dwordx4 v[2:5], v186, off
	v_cmp_lt_u32_e64 s[0:1], 6, v0
	s_waitcnt vmcnt(0)
	ds_write_b128 v9, v[2:5]
	s_waitcnt lgkmcnt(0)
	; wave barrier
	s_waitcnt lgkmcnt(0)
	s_and_saveexec_b64 s[4:5], s[0:1]
	s_cbranch_execz .LBB60_747
; %bb.734:
	ds_read_b128 v[2:5], v9
	s_andn2_b64 vcc, exec, s[6:7]
	s_cbranch_vccnz .LBB60_736
; %bb.735:
	scratch_load_dwordx4 v[192:195], v8, off
	s_waitcnt vmcnt(0) lgkmcnt(0)
	v_mul_f64 v[10:11], v[2:3], v[194:195]
	v_mul_f64 v[6:7], v[4:5], v[194:195]
	v_fmac_f64_e32 v[10:11], v[4:5], v[192:193]
	v_fma_f64 v[2:3], v[2:3], v[192:193], -v[6:7]
	v_mov_b64_e32 v[4:5], v[10:11]
.LBB60_736:
	s_and_saveexec_b64 s[8:9], s[2:3]
	s_cbranch_execz .LBB60_746
; %bb.737:
	v_add_u32_e32 v7, -8, v0
	v_add_u32_e32 v6, -7, v0
	v_cmp_lt_u32_e32 vcc, 6, v7
	v_mov_b32_e32 v193, 7
	s_and_saveexec_b64 s[2:3], vcc
	s_cbranch_execz .LBB60_741
; %bb.738:
	v_and_b32_e32 v7, -8, v6
	s_mov_b32 s12, 0
	s_mov_b64 s[10:11], 0
	v_mov_b32_e32 v192, 0
	s_mov_b32 s13, 0
.LBB60_739:                             ; =>This Inner Loop Header: Depth=1
	v_readfirstlane_b32 s14, v192
	s_add_i32 s14, s14, s12
	s_add_i32 s15, s14, 0x70
	v_mov_b32_e32 v49, s12
	ds_read_b128 v[194:197], v49 offset:1088
	ds_read_b128 v[198:201], v49 offset:1104
	;; [unrolled: 1-line block ×4, first 2 shown]
	scratch_load_dwordx4 v[210:213], off, s15
	s_add_i32 s15, s14, 0x80
	s_addk_i32 s12, 0x80
	s_waitcnt vmcnt(0) lgkmcnt(3)
	v_mul_f64 v[10:11], v[196:197], v[212:213]
	v_mul_f64 v[52:53], v[194:195], v[212:213]
	v_fma_f64 v[10:11], v[194:195], v[210:211], -v[10:11]
	v_fmac_f64_e32 v[52:53], v[196:197], v[210:211]
	v_add_f64 v[10:11], v[2:3], v[10:11]
	v_add_f64 v[52:53], v[4:5], v[52:53]
	scratch_load_dwordx4 v[2:5], off, s15
	s_add_i32 s15, s14, 0x90
	s_waitcnt vmcnt(0) lgkmcnt(2)
	v_mul_f64 v[194:195], v[200:201], v[4:5]
	v_mul_f64 v[4:5], v[198:199], v[4:5]
	v_fmac_f64_e32 v[4:5], v[200:201], v[2:3]
	v_fma_f64 v[194:195], v[198:199], v[2:3], -v[194:195]
	v_add_f64 v[52:53], v[52:53], v[4:5]
	scratch_load_dwordx4 v[2:5], off, s15
	v_add_f64 v[10:11], v[10:11], v[194:195]
	s_add_i32 s15, s14, 0xa0
	s_waitcnt vmcnt(0) lgkmcnt(1)
	v_mul_f64 v[194:195], v[204:205], v[4:5]
	v_mul_f64 v[4:5], v[202:203], v[4:5]
	v_fmac_f64_e32 v[4:5], v[204:205], v[2:3]
	v_fma_f64 v[194:195], v[202:203], v[2:3], -v[194:195]
	v_add_f64 v[52:53], v[52:53], v[4:5]
	scratch_load_dwordx4 v[2:5], off, s15
	v_add_f64 v[10:11], v[10:11], v[194:195]
	s_add_i32 s15, s14, 0xb0
	s_waitcnt vmcnt(0) lgkmcnt(0)
	v_mul_f64 v[194:195], v[208:209], v[4:5]
	v_fma_f64 v[194:195], v[206:207], v[2:3], -v[194:195]
	v_add_f64 v[10:11], v[10:11], v[194:195]
	scratch_load_dwordx4 v[194:197], off, s15
	v_mul_f64 v[4:5], v[206:207], v[4:5]
	v_fmac_f64_e32 v[4:5], v[208:209], v[2:3]
	v_add_f64 v[52:53], v[52:53], v[4:5]
	ds_read_b128 v[2:5], v49 offset:1152
	s_add_i32 s15, s14, 0xc0
	s_waitcnt vmcnt(0) lgkmcnt(0)
	v_mul_f64 v[198:199], v[4:5], v[196:197]
	v_fma_f64 v[198:199], v[2:3], v[194:195], -v[198:199]
	v_mul_f64 v[2:3], v[2:3], v[196:197]
	v_fmac_f64_e32 v[2:3], v[4:5], v[194:195]
	scratch_load_dwordx4 v[194:197], off, s15
	v_add_f64 v[52:53], v[52:53], v[2:3]
	ds_read_b128 v[2:5], v49 offset:1168
	v_add_f64 v[10:11], v[10:11], v[198:199]
	s_add_i32 s15, s14, 0xd0
	s_addk_i32 s14, 0xe0
	s_waitcnt vmcnt(0) lgkmcnt(0)
	v_mul_f64 v[198:199], v[4:5], v[196:197]
	v_fma_f64 v[198:199], v[2:3], v[194:195], -v[198:199]
	v_mul_f64 v[2:3], v[2:3], v[196:197]
	v_fmac_f64_e32 v[2:3], v[4:5], v[194:195]
	scratch_load_dwordx4 v[194:197], off, s15
	v_add_f64 v[52:53], v[52:53], v[2:3]
	ds_read_b128 v[2:5], v49 offset:1184
	v_add_f64 v[10:11], v[10:11], v[198:199]
	s_waitcnt vmcnt(0) lgkmcnt(0)
	v_mul_f64 v[198:199], v[4:5], v[196:197]
	v_fma_f64 v[198:199], v[2:3], v[194:195], -v[198:199]
	v_mul_f64 v[2:3], v[2:3], v[196:197]
	v_fmac_f64_e32 v[2:3], v[4:5], v[194:195]
	scratch_load_dwordx4 v[194:197], off, s14
	v_add_f64 v[52:53], v[52:53], v[2:3]
	ds_read_b128 v[2:5], v49 offset:1200
	v_add_f64 v[10:11], v[10:11], v[198:199]
	s_add_i32 s14, s13, 8
	v_cmp_eq_u32_e32 vcc, s14, v7
	s_add_i32 s13, s13, 15
	s_or_b64 s[10:11], vcc, s[10:11]
	v_mov_b32_e32 v193, s13
	s_mov_b32 s13, s14
	s_waitcnt vmcnt(0) lgkmcnt(0)
	v_mul_f64 v[198:199], v[4:5], v[196:197]
	v_mul_f64 v[196:197], v[2:3], v[196:197]
	v_fma_f64 v[198:199], v[2:3], v[194:195], -v[198:199]
	v_fmac_f64_e32 v[196:197], v[4:5], v[194:195]
	v_add_f64 v[2:3], v[10:11], v[198:199]
	v_add_f64 v[4:5], v[52:53], v[196:197]
	s_andn2_b64 exec, exec, s[10:11]
	s_cbranch_execnz .LBB60_739
; %bb.740:
	s_or_b64 exec, exec, s[10:11]
.LBB60_741:
	s_or_b64 exec, exec, s[2:3]
	v_and_b32_e32 v6, 7, v6
	v_cmp_ne_u32_e32 vcc, 0, v6
	s_and_saveexec_b64 s[2:3], vcc
	s_cbranch_execz .LBB60_745
; %bb.742:
	v_lshlrev_b32_e32 v10, 4, v193
	v_add_u32_e32 v7, 0x3d0, v10
	v_add_u32_e32 v192, 0, v10
	s_mov_b64 s[10:11], 0
.LBB60_743:                             ; =>This Inner Loop Header: Depth=1
	scratch_load_dwordx4 v[194:197], v192, off
	ds_read_b128 v[198:201], v7
	v_add_u32_e32 v6, -1, v6
	v_cmp_eq_u32_e32 vcc, 0, v6
	v_add_u32_e32 v7, 16, v7
	v_add_u32_e32 v192, 16, v192
	s_or_b64 s[10:11], vcc, s[10:11]
	s_waitcnt vmcnt(0) lgkmcnt(0)
	v_mul_f64 v[10:11], v[200:201], v[196:197]
	v_mul_f64 v[52:53], v[198:199], v[196:197]
	v_fma_f64 v[10:11], v[198:199], v[194:195], -v[10:11]
	v_fmac_f64_e32 v[52:53], v[200:201], v[194:195]
	v_add_f64 v[2:3], v[2:3], v[10:11]
	v_add_f64 v[4:5], v[4:5], v[52:53]
	s_andn2_b64 exec, exec, s[10:11]
	s_cbranch_execnz .LBB60_743
; %bb.744:
	s_or_b64 exec, exec, s[10:11]
.LBB60_745:
	s_or_b64 exec, exec, s[2:3]
.LBB60_746:
	s_or_b64 exec, exec, s[8:9]
	v_mov_b32_e32 v6, 0
	ds_read_b128 v[192:195], v6 offset:96
	s_waitcnt lgkmcnt(0)
	v_mul_f64 v[6:7], v[4:5], v[194:195]
	v_mul_f64 v[196:197], v[2:3], v[194:195]
	v_fma_f64 v[194:195], v[2:3], v[192:193], -v[6:7]
	v_fmac_f64_e32 v[196:197], v[4:5], v[192:193]
	scratch_store_dwordx4 off, v[194:197], off offset:96
.LBB60_747:
	s_or_b64 exec, exec, s[4:5]
	scratch_load_dwordx4 v[2:5], v187, off
	v_cmp_lt_u32_e64 s[2:3], 5, v0
	s_waitcnt vmcnt(0)
	ds_write_b128 v9, v[2:5]
	s_waitcnt lgkmcnt(0)
	; wave barrier
	s_waitcnt lgkmcnt(0)
	s_and_saveexec_b64 s[4:5], s[2:3]
	s_cbranch_execz .LBB60_761
; %bb.748:
	ds_read_b128 v[2:5], v9
	s_andn2_b64 vcc, exec, s[6:7]
	s_cbranch_vccnz .LBB60_750
; %bb.749:
	scratch_load_dwordx4 v[192:195], v8, off
	s_waitcnt vmcnt(0) lgkmcnt(0)
	v_mul_f64 v[10:11], v[2:3], v[194:195]
	v_mul_f64 v[6:7], v[4:5], v[194:195]
	v_fmac_f64_e32 v[10:11], v[4:5], v[192:193]
	v_fma_f64 v[2:3], v[2:3], v[192:193], -v[6:7]
	v_mov_b64_e32 v[4:5], v[10:11]
.LBB60_750:
	s_and_saveexec_b64 s[8:9], s[0:1]
	s_cbranch_execz .LBB60_760
; %bb.751:
	v_add_u32_e32 v7, -7, v0
	v_add_u32_e32 v6, -6, v0
	v_cmp_lt_u32_e32 vcc, 6, v7
	v_mov_b32_e32 v193, 6
	s_and_saveexec_b64 s[0:1], vcc
	s_cbranch_execz .LBB60_755
; %bb.752:
	v_and_b32_e32 v7, -8, v6
	s_mov_b32 s12, 0
	s_mov_b64 s[10:11], 0
	v_mov_b32_e32 v192, 0
	s_mov_b32 s13, 0
.LBB60_753:                             ; =>This Inner Loop Header: Depth=1
	v_readfirstlane_b32 s14, v192
	s_add_i32 s14, s14, s12
	s_add_i32 s15, s14, 0x60
	v_mov_b32_e32 v49, s12
	ds_read_b128 v[194:197], v49 offset:1072
	ds_read_b128 v[198:201], v49 offset:1088
	;; [unrolled: 1-line block ×4, first 2 shown]
	scratch_load_dwordx4 v[210:213], off, s15
	s_add_i32 s15, s14, 0x70
	s_addk_i32 s12, 0x80
	s_waitcnt vmcnt(0) lgkmcnt(3)
	v_mul_f64 v[10:11], v[196:197], v[212:213]
	v_mul_f64 v[52:53], v[194:195], v[212:213]
	v_fma_f64 v[10:11], v[194:195], v[210:211], -v[10:11]
	v_fmac_f64_e32 v[52:53], v[196:197], v[210:211]
	v_add_f64 v[10:11], v[2:3], v[10:11]
	v_add_f64 v[52:53], v[4:5], v[52:53]
	scratch_load_dwordx4 v[2:5], off, s15
	s_add_i32 s15, s14, 0x80
	s_waitcnt vmcnt(0) lgkmcnt(2)
	v_mul_f64 v[194:195], v[200:201], v[4:5]
	v_mul_f64 v[4:5], v[198:199], v[4:5]
	v_fmac_f64_e32 v[4:5], v[200:201], v[2:3]
	v_fma_f64 v[194:195], v[198:199], v[2:3], -v[194:195]
	v_add_f64 v[52:53], v[52:53], v[4:5]
	scratch_load_dwordx4 v[2:5], off, s15
	v_add_f64 v[10:11], v[10:11], v[194:195]
	s_add_i32 s15, s14, 0x90
	s_waitcnt vmcnt(0) lgkmcnt(1)
	v_mul_f64 v[194:195], v[204:205], v[4:5]
	v_mul_f64 v[4:5], v[202:203], v[4:5]
	v_fmac_f64_e32 v[4:5], v[204:205], v[2:3]
	v_fma_f64 v[194:195], v[202:203], v[2:3], -v[194:195]
	v_add_f64 v[52:53], v[52:53], v[4:5]
	scratch_load_dwordx4 v[2:5], off, s15
	v_add_f64 v[10:11], v[10:11], v[194:195]
	s_add_i32 s15, s14, 0xa0
	s_waitcnt vmcnt(0) lgkmcnt(0)
	v_mul_f64 v[194:195], v[208:209], v[4:5]
	v_fma_f64 v[194:195], v[206:207], v[2:3], -v[194:195]
	v_add_f64 v[10:11], v[10:11], v[194:195]
	scratch_load_dwordx4 v[194:197], off, s15
	v_mul_f64 v[4:5], v[206:207], v[4:5]
	v_fmac_f64_e32 v[4:5], v[208:209], v[2:3]
	v_add_f64 v[52:53], v[52:53], v[4:5]
	ds_read_b128 v[2:5], v49 offset:1136
	s_add_i32 s15, s14, 0xb0
	s_waitcnt vmcnt(0) lgkmcnt(0)
	v_mul_f64 v[198:199], v[4:5], v[196:197]
	v_fma_f64 v[198:199], v[2:3], v[194:195], -v[198:199]
	v_mul_f64 v[2:3], v[2:3], v[196:197]
	v_fmac_f64_e32 v[2:3], v[4:5], v[194:195]
	scratch_load_dwordx4 v[194:197], off, s15
	v_add_f64 v[52:53], v[52:53], v[2:3]
	ds_read_b128 v[2:5], v49 offset:1152
	v_add_f64 v[10:11], v[10:11], v[198:199]
	s_add_i32 s15, s14, 0xc0
	s_addk_i32 s14, 0xd0
	s_waitcnt vmcnt(0) lgkmcnt(0)
	v_mul_f64 v[198:199], v[4:5], v[196:197]
	v_fma_f64 v[198:199], v[2:3], v[194:195], -v[198:199]
	v_mul_f64 v[2:3], v[2:3], v[196:197]
	v_fmac_f64_e32 v[2:3], v[4:5], v[194:195]
	scratch_load_dwordx4 v[194:197], off, s15
	v_add_f64 v[52:53], v[52:53], v[2:3]
	ds_read_b128 v[2:5], v49 offset:1168
	v_add_f64 v[10:11], v[10:11], v[198:199]
	s_waitcnt vmcnt(0) lgkmcnt(0)
	v_mul_f64 v[198:199], v[4:5], v[196:197]
	v_fma_f64 v[198:199], v[2:3], v[194:195], -v[198:199]
	v_mul_f64 v[2:3], v[2:3], v[196:197]
	v_fmac_f64_e32 v[2:3], v[4:5], v[194:195]
	scratch_load_dwordx4 v[194:197], off, s14
	v_add_f64 v[52:53], v[52:53], v[2:3]
	ds_read_b128 v[2:5], v49 offset:1184
	v_add_f64 v[10:11], v[10:11], v[198:199]
	s_add_i32 s14, s13, 8
	v_cmp_eq_u32_e32 vcc, s14, v7
	s_add_i32 s13, s13, 14
	s_or_b64 s[10:11], vcc, s[10:11]
	v_mov_b32_e32 v193, s13
	s_mov_b32 s13, s14
	s_waitcnt vmcnt(0) lgkmcnt(0)
	v_mul_f64 v[198:199], v[4:5], v[196:197]
	v_mul_f64 v[196:197], v[2:3], v[196:197]
	v_fma_f64 v[198:199], v[2:3], v[194:195], -v[198:199]
	v_fmac_f64_e32 v[196:197], v[4:5], v[194:195]
	v_add_f64 v[2:3], v[10:11], v[198:199]
	v_add_f64 v[4:5], v[52:53], v[196:197]
	s_andn2_b64 exec, exec, s[10:11]
	s_cbranch_execnz .LBB60_753
; %bb.754:
	s_or_b64 exec, exec, s[10:11]
.LBB60_755:
	s_or_b64 exec, exec, s[0:1]
	v_and_b32_e32 v6, 7, v6
	v_cmp_ne_u32_e32 vcc, 0, v6
	s_and_saveexec_b64 s[0:1], vcc
	s_cbranch_execz .LBB60_759
; %bb.756:
	v_lshlrev_b32_e32 v10, 4, v193
	v_add_u32_e32 v7, 0x3d0, v10
	v_add_u32_e32 v192, 0, v10
	s_mov_b64 s[10:11], 0
.LBB60_757:                             ; =>This Inner Loop Header: Depth=1
	scratch_load_dwordx4 v[194:197], v192, off
	ds_read_b128 v[198:201], v7
	v_add_u32_e32 v6, -1, v6
	v_cmp_eq_u32_e32 vcc, 0, v6
	v_add_u32_e32 v7, 16, v7
	v_add_u32_e32 v192, 16, v192
	s_or_b64 s[10:11], vcc, s[10:11]
	s_waitcnt vmcnt(0) lgkmcnt(0)
	v_mul_f64 v[10:11], v[200:201], v[196:197]
	v_mul_f64 v[52:53], v[198:199], v[196:197]
	v_fma_f64 v[10:11], v[198:199], v[194:195], -v[10:11]
	v_fmac_f64_e32 v[52:53], v[200:201], v[194:195]
	v_add_f64 v[2:3], v[2:3], v[10:11]
	v_add_f64 v[4:5], v[4:5], v[52:53]
	s_andn2_b64 exec, exec, s[10:11]
	s_cbranch_execnz .LBB60_757
; %bb.758:
	s_or_b64 exec, exec, s[10:11]
.LBB60_759:
	s_or_b64 exec, exec, s[0:1]
.LBB60_760:
	s_or_b64 exec, exec, s[8:9]
	v_mov_b32_e32 v6, 0
	ds_read_b128 v[192:195], v6 offset:80
	s_waitcnt lgkmcnt(0)
	v_mul_f64 v[6:7], v[4:5], v[194:195]
	v_mul_f64 v[196:197], v[2:3], v[194:195]
	v_fma_f64 v[194:195], v[2:3], v[192:193], -v[6:7]
	v_fmac_f64_e32 v[196:197], v[4:5], v[192:193]
	scratch_store_dwordx4 off, v[194:197], off offset:80
.LBB60_761:
	s_or_b64 exec, exec, s[4:5]
	scratch_load_dwordx4 v[2:5], v188, off
	v_cmp_lt_u32_e64 s[0:1], 4, v0
	s_waitcnt vmcnt(0)
	ds_write_b128 v9, v[2:5]
	s_waitcnt lgkmcnt(0)
	; wave barrier
	s_waitcnt lgkmcnt(0)
	s_and_saveexec_b64 s[4:5], s[0:1]
	s_cbranch_execz .LBB60_775
; %bb.762:
	ds_read_b128 v[2:5], v9
	s_andn2_b64 vcc, exec, s[6:7]
	s_cbranch_vccnz .LBB60_764
; %bb.763:
	scratch_load_dwordx4 v[192:195], v8, off
	s_waitcnt vmcnt(0) lgkmcnt(0)
	v_mul_f64 v[10:11], v[2:3], v[194:195]
	v_mul_f64 v[6:7], v[4:5], v[194:195]
	v_fmac_f64_e32 v[10:11], v[4:5], v[192:193]
	v_fma_f64 v[2:3], v[2:3], v[192:193], -v[6:7]
	v_mov_b64_e32 v[4:5], v[10:11]
.LBB60_764:
	s_and_saveexec_b64 s[8:9], s[2:3]
	s_cbranch_execz .LBB60_774
; %bb.765:
	v_add_u32_e32 v7, -6, v0
	v_add_u32_e32 v6, -5, v0
	v_cmp_lt_u32_e32 vcc, 6, v7
	v_mov_b32_e32 v193, 5
	s_and_saveexec_b64 s[2:3], vcc
	s_cbranch_execz .LBB60_769
; %bb.766:
	v_and_b32_e32 v7, -8, v6
	s_mov_b32 s12, 0
	s_mov_b64 s[10:11], 0
	v_mov_b32_e32 v192, 0
	s_mov_b32 s13, 0
.LBB60_767:                             ; =>This Inner Loop Header: Depth=1
	v_readfirstlane_b32 s14, v192
	s_add_i32 s14, s14, s12
	s_add_i32 s15, s14, 0x50
	v_mov_b32_e32 v49, s12
	ds_read_b128 v[194:197], v49 offset:1056
	ds_read_b128 v[198:201], v49 offset:1072
	;; [unrolled: 1-line block ×4, first 2 shown]
	scratch_load_dwordx4 v[210:213], off, s15
	s_add_i32 s15, s14, 0x60
	s_addk_i32 s12, 0x80
	s_waitcnt vmcnt(0) lgkmcnt(3)
	v_mul_f64 v[10:11], v[196:197], v[212:213]
	v_mul_f64 v[52:53], v[194:195], v[212:213]
	v_fma_f64 v[10:11], v[194:195], v[210:211], -v[10:11]
	v_fmac_f64_e32 v[52:53], v[196:197], v[210:211]
	v_add_f64 v[10:11], v[2:3], v[10:11]
	v_add_f64 v[52:53], v[4:5], v[52:53]
	scratch_load_dwordx4 v[2:5], off, s15
	s_add_i32 s15, s14, 0x70
	s_waitcnt vmcnt(0) lgkmcnt(2)
	v_mul_f64 v[194:195], v[200:201], v[4:5]
	v_mul_f64 v[4:5], v[198:199], v[4:5]
	v_fmac_f64_e32 v[4:5], v[200:201], v[2:3]
	v_fma_f64 v[194:195], v[198:199], v[2:3], -v[194:195]
	v_add_f64 v[52:53], v[52:53], v[4:5]
	scratch_load_dwordx4 v[2:5], off, s15
	v_add_f64 v[10:11], v[10:11], v[194:195]
	s_add_i32 s15, s14, 0x80
	s_waitcnt vmcnt(0) lgkmcnt(1)
	v_mul_f64 v[194:195], v[204:205], v[4:5]
	v_mul_f64 v[4:5], v[202:203], v[4:5]
	v_fmac_f64_e32 v[4:5], v[204:205], v[2:3]
	v_fma_f64 v[194:195], v[202:203], v[2:3], -v[194:195]
	v_add_f64 v[52:53], v[52:53], v[4:5]
	scratch_load_dwordx4 v[2:5], off, s15
	v_add_f64 v[10:11], v[10:11], v[194:195]
	s_add_i32 s15, s14, 0x90
	s_waitcnt vmcnt(0) lgkmcnt(0)
	v_mul_f64 v[194:195], v[208:209], v[4:5]
	v_fma_f64 v[194:195], v[206:207], v[2:3], -v[194:195]
	v_add_f64 v[10:11], v[10:11], v[194:195]
	scratch_load_dwordx4 v[194:197], off, s15
	v_mul_f64 v[4:5], v[206:207], v[4:5]
	v_fmac_f64_e32 v[4:5], v[208:209], v[2:3]
	v_add_f64 v[52:53], v[52:53], v[4:5]
	ds_read_b128 v[2:5], v49 offset:1120
	s_add_i32 s15, s14, 0xa0
	s_waitcnt vmcnt(0) lgkmcnt(0)
	v_mul_f64 v[198:199], v[4:5], v[196:197]
	v_fma_f64 v[198:199], v[2:3], v[194:195], -v[198:199]
	v_mul_f64 v[2:3], v[2:3], v[196:197]
	v_fmac_f64_e32 v[2:3], v[4:5], v[194:195]
	scratch_load_dwordx4 v[194:197], off, s15
	v_add_f64 v[52:53], v[52:53], v[2:3]
	ds_read_b128 v[2:5], v49 offset:1136
	v_add_f64 v[10:11], v[10:11], v[198:199]
	s_add_i32 s15, s14, 0xb0
	s_addk_i32 s14, 0xc0
	s_waitcnt vmcnt(0) lgkmcnt(0)
	v_mul_f64 v[198:199], v[4:5], v[196:197]
	v_fma_f64 v[198:199], v[2:3], v[194:195], -v[198:199]
	v_mul_f64 v[2:3], v[2:3], v[196:197]
	v_fmac_f64_e32 v[2:3], v[4:5], v[194:195]
	scratch_load_dwordx4 v[194:197], off, s15
	v_add_f64 v[52:53], v[52:53], v[2:3]
	ds_read_b128 v[2:5], v49 offset:1152
	v_add_f64 v[10:11], v[10:11], v[198:199]
	s_waitcnt vmcnt(0) lgkmcnt(0)
	v_mul_f64 v[198:199], v[4:5], v[196:197]
	v_fma_f64 v[198:199], v[2:3], v[194:195], -v[198:199]
	v_mul_f64 v[2:3], v[2:3], v[196:197]
	v_fmac_f64_e32 v[2:3], v[4:5], v[194:195]
	scratch_load_dwordx4 v[194:197], off, s14
	v_add_f64 v[52:53], v[52:53], v[2:3]
	ds_read_b128 v[2:5], v49 offset:1168
	v_add_f64 v[10:11], v[10:11], v[198:199]
	s_add_i32 s14, s13, 8
	v_cmp_eq_u32_e32 vcc, s14, v7
	s_add_i32 s13, s13, 13
	s_or_b64 s[10:11], vcc, s[10:11]
	v_mov_b32_e32 v193, s13
	s_mov_b32 s13, s14
	s_waitcnt vmcnt(0) lgkmcnt(0)
	v_mul_f64 v[198:199], v[4:5], v[196:197]
	v_mul_f64 v[196:197], v[2:3], v[196:197]
	v_fma_f64 v[198:199], v[2:3], v[194:195], -v[198:199]
	v_fmac_f64_e32 v[196:197], v[4:5], v[194:195]
	v_add_f64 v[2:3], v[10:11], v[198:199]
	v_add_f64 v[4:5], v[52:53], v[196:197]
	s_andn2_b64 exec, exec, s[10:11]
	s_cbranch_execnz .LBB60_767
; %bb.768:
	s_or_b64 exec, exec, s[10:11]
.LBB60_769:
	s_or_b64 exec, exec, s[2:3]
	v_and_b32_e32 v6, 7, v6
	v_cmp_ne_u32_e32 vcc, 0, v6
	s_and_saveexec_b64 s[2:3], vcc
	s_cbranch_execz .LBB60_773
; %bb.770:
	v_lshlrev_b32_e32 v10, 4, v193
	v_add_u32_e32 v7, 0x3d0, v10
	v_add_u32_e32 v192, 0, v10
	s_mov_b64 s[10:11], 0
.LBB60_771:                             ; =>This Inner Loop Header: Depth=1
	scratch_load_dwordx4 v[194:197], v192, off
	ds_read_b128 v[198:201], v7
	v_add_u32_e32 v6, -1, v6
	v_cmp_eq_u32_e32 vcc, 0, v6
	v_add_u32_e32 v7, 16, v7
	v_add_u32_e32 v192, 16, v192
	s_or_b64 s[10:11], vcc, s[10:11]
	s_waitcnt vmcnt(0) lgkmcnt(0)
	v_mul_f64 v[10:11], v[200:201], v[196:197]
	v_mul_f64 v[52:53], v[198:199], v[196:197]
	v_fma_f64 v[10:11], v[198:199], v[194:195], -v[10:11]
	v_fmac_f64_e32 v[52:53], v[200:201], v[194:195]
	v_add_f64 v[2:3], v[2:3], v[10:11]
	v_add_f64 v[4:5], v[4:5], v[52:53]
	s_andn2_b64 exec, exec, s[10:11]
	s_cbranch_execnz .LBB60_771
; %bb.772:
	s_or_b64 exec, exec, s[10:11]
.LBB60_773:
	s_or_b64 exec, exec, s[2:3]
.LBB60_774:
	s_or_b64 exec, exec, s[8:9]
	v_mov_b32_e32 v6, 0
	ds_read_b128 v[192:195], v6 offset:64
	s_waitcnt lgkmcnt(0)
	v_mul_f64 v[6:7], v[4:5], v[194:195]
	v_mul_f64 v[196:197], v[2:3], v[194:195]
	v_fma_f64 v[194:195], v[2:3], v[192:193], -v[6:7]
	v_fmac_f64_e32 v[196:197], v[4:5], v[192:193]
	scratch_store_dwordx4 off, v[194:197], off offset:64
.LBB60_775:
	s_or_b64 exec, exec, s[4:5]
	scratch_load_dwordx4 v[2:5], v189, off
	v_cmp_lt_u32_e64 s[2:3], 3, v0
	s_waitcnt vmcnt(0)
	ds_write_b128 v9, v[2:5]
	s_waitcnt lgkmcnt(0)
	; wave barrier
	s_waitcnt lgkmcnt(0)
	s_and_saveexec_b64 s[4:5], s[2:3]
	s_cbranch_execz .LBB60_789
; %bb.776:
	ds_read_b128 v[2:5], v9
	s_andn2_b64 vcc, exec, s[6:7]
	s_cbranch_vccnz .LBB60_778
; %bb.777:
	scratch_load_dwordx4 v[192:195], v8, off
	s_waitcnt vmcnt(0) lgkmcnt(0)
	v_mul_f64 v[10:11], v[2:3], v[194:195]
	v_mul_f64 v[6:7], v[4:5], v[194:195]
	v_fmac_f64_e32 v[10:11], v[4:5], v[192:193]
	v_fma_f64 v[2:3], v[2:3], v[192:193], -v[6:7]
	v_mov_b64_e32 v[4:5], v[10:11]
.LBB60_778:
	s_and_saveexec_b64 s[8:9], s[0:1]
	s_cbranch_execz .LBB60_788
; %bb.779:
	v_add_u32_e32 v7, -5, v0
	v_add_u32_e32 v6, -4, v0
	v_cmp_lt_u32_e32 vcc, 6, v7
	v_mov_b32_e32 v193, 4
	s_and_saveexec_b64 s[0:1], vcc
	s_cbranch_execz .LBB60_783
; %bb.780:
	v_and_b32_e32 v7, -8, v6
	s_mov_b32 s12, 0
	s_mov_b64 s[10:11], 0
	v_mov_b32_e32 v192, 0
	s_mov_b32 s13, 0
.LBB60_781:                             ; =>This Inner Loop Header: Depth=1
	v_readfirstlane_b32 s14, v192
	s_add_i32 s14, s14, s12
	s_add_i32 s15, s14, 64
	v_mov_b32_e32 v49, s12
	ds_read_b128 v[194:197], v49 offset:1040
	ds_read_b128 v[198:201], v49 offset:1056
	;; [unrolled: 1-line block ×4, first 2 shown]
	scratch_load_dwordx4 v[210:213], off, s15
	s_add_i32 s15, s14, 0x50
	s_addk_i32 s12, 0x80
	s_waitcnt vmcnt(0) lgkmcnt(3)
	v_mul_f64 v[10:11], v[196:197], v[212:213]
	v_mul_f64 v[52:53], v[194:195], v[212:213]
	v_fma_f64 v[10:11], v[194:195], v[210:211], -v[10:11]
	v_fmac_f64_e32 v[52:53], v[196:197], v[210:211]
	v_add_f64 v[10:11], v[2:3], v[10:11]
	v_add_f64 v[52:53], v[4:5], v[52:53]
	scratch_load_dwordx4 v[2:5], off, s15
	s_add_i32 s15, s14, 0x60
	s_waitcnt vmcnt(0) lgkmcnt(2)
	v_mul_f64 v[194:195], v[200:201], v[4:5]
	v_mul_f64 v[4:5], v[198:199], v[4:5]
	v_fmac_f64_e32 v[4:5], v[200:201], v[2:3]
	v_fma_f64 v[194:195], v[198:199], v[2:3], -v[194:195]
	v_add_f64 v[52:53], v[52:53], v[4:5]
	scratch_load_dwordx4 v[2:5], off, s15
	v_add_f64 v[10:11], v[10:11], v[194:195]
	s_add_i32 s15, s14, 0x70
	s_waitcnt vmcnt(0) lgkmcnt(1)
	v_mul_f64 v[194:195], v[204:205], v[4:5]
	v_mul_f64 v[4:5], v[202:203], v[4:5]
	v_fmac_f64_e32 v[4:5], v[204:205], v[2:3]
	v_fma_f64 v[194:195], v[202:203], v[2:3], -v[194:195]
	v_add_f64 v[52:53], v[52:53], v[4:5]
	scratch_load_dwordx4 v[2:5], off, s15
	v_add_f64 v[10:11], v[10:11], v[194:195]
	s_add_i32 s15, s14, 0x80
	s_waitcnt vmcnt(0) lgkmcnt(0)
	v_mul_f64 v[194:195], v[208:209], v[4:5]
	v_fma_f64 v[194:195], v[206:207], v[2:3], -v[194:195]
	v_add_f64 v[10:11], v[10:11], v[194:195]
	scratch_load_dwordx4 v[194:197], off, s15
	v_mul_f64 v[4:5], v[206:207], v[4:5]
	v_fmac_f64_e32 v[4:5], v[208:209], v[2:3]
	v_add_f64 v[52:53], v[52:53], v[4:5]
	ds_read_b128 v[2:5], v49 offset:1104
	s_add_i32 s15, s14, 0x90
	s_waitcnt vmcnt(0) lgkmcnt(0)
	v_mul_f64 v[198:199], v[4:5], v[196:197]
	v_fma_f64 v[198:199], v[2:3], v[194:195], -v[198:199]
	v_mul_f64 v[2:3], v[2:3], v[196:197]
	v_fmac_f64_e32 v[2:3], v[4:5], v[194:195]
	scratch_load_dwordx4 v[194:197], off, s15
	v_add_f64 v[52:53], v[52:53], v[2:3]
	ds_read_b128 v[2:5], v49 offset:1120
	v_add_f64 v[10:11], v[10:11], v[198:199]
	s_add_i32 s15, s14, 0xa0
	s_addk_i32 s14, 0xb0
	s_waitcnt vmcnt(0) lgkmcnt(0)
	v_mul_f64 v[198:199], v[4:5], v[196:197]
	v_fma_f64 v[198:199], v[2:3], v[194:195], -v[198:199]
	v_mul_f64 v[2:3], v[2:3], v[196:197]
	v_fmac_f64_e32 v[2:3], v[4:5], v[194:195]
	scratch_load_dwordx4 v[194:197], off, s15
	v_add_f64 v[52:53], v[52:53], v[2:3]
	ds_read_b128 v[2:5], v49 offset:1136
	v_add_f64 v[10:11], v[10:11], v[198:199]
	s_waitcnt vmcnt(0) lgkmcnt(0)
	v_mul_f64 v[198:199], v[4:5], v[196:197]
	v_fma_f64 v[198:199], v[2:3], v[194:195], -v[198:199]
	v_mul_f64 v[2:3], v[2:3], v[196:197]
	v_fmac_f64_e32 v[2:3], v[4:5], v[194:195]
	scratch_load_dwordx4 v[194:197], off, s14
	v_add_f64 v[52:53], v[52:53], v[2:3]
	ds_read_b128 v[2:5], v49 offset:1152
	v_add_f64 v[10:11], v[10:11], v[198:199]
	s_add_i32 s14, s13, 8
	v_cmp_eq_u32_e32 vcc, s14, v7
	s_add_i32 s13, s13, 12
	s_or_b64 s[10:11], vcc, s[10:11]
	v_mov_b32_e32 v193, s13
	s_mov_b32 s13, s14
	s_waitcnt vmcnt(0) lgkmcnt(0)
	v_mul_f64 v[198:199], v[4:5], v[196:197]
	v_mul_f64 v[196:197], v[2:3], v[196:197]
	v_fma_f64 v[198:199], v[2:3], v[194:195], -v[198:199]
	v_fmac_f64_e32 v[196:197], v[4:5], v[194:195]
	v_add_f64 v[2:3], v[10:11], v[198:199]
	v_add_f64 v[4:5], v[52:53], v[196:197]
	s_andn2_b64 exec, exec, s[10:11]
	s_cbranch_execnz .LBB60_781
; %bb.782:
	s_or_b64 exec, exec, s[10:11]
.LBB60_783:
	s_or_b64 exec, exec, s[0:1]
	v_and_b32_e32 v6, 7, v6
	v_cmp_ne_u32_e32 vcc, 0, v6
	s_and_saveexec_b64 s[0:1], vcc
	s_cbranch_execz .LBB60_787
; %bb.784:
	v_lshlrev_b32_e32 v10, 4, v193
	v_add_u32_e32 v7, 0x3d0, v10
	v_add_u32_e32 v192, 0, v10
	s_mov_b64 s[10:11], 0
.LBB60_785:                             ; =>This Inner Loop Header: Depth=1
	scratch_load_dwordx4 v[194:197], v192, off
	ds_read_b128 v[198:201], v7
	v_add_u32_e32 v6, -1, v6
	v_cmp_eq_u32_e32 vcc, 0, v6
	v_add_u32_e32 v7, 16, v7
	v_add_u32_e32 v192, 16, v192
	s_or_b64 s[10:11], vcc, s[10:11]
	s_waitcnt vmcnt(0) lgkmcnt(0)
	v_mul_f64 v[10:11], v[200:201], v[196:197]
	v_mul_f64 v[52:53], v[198:199], v[196:197]
	v_fma_f64 v[10:11], v[198:199], v[194:195], -v[10:11]
	v_fmac_f64_e32 v[52:53], v[200:201], v[194:195]
	v_add_f64 v[2:3], v[2:3], v[10:11]
	v_add_f64 v[4:5], v[4:5], v[52:53]
	s_andn2_b64 exec, exec, s[10:11]
	s_cbranch_execnz .LBB60_785
; %bb.786:
	s_or_b64 exec, exec, s[10:11]
.LBB60_787:
	s_or_b64 exec, exec, s[0:1]
.LBB60_788:
	s_or_b64 exec, exec, s[8:9]
	v_mov_b32_e32 v6, 0
	ds_read_b128 v[192:195], v6 offset:48
	s_waitcnt lgkmcnt(0)
	v_mul_f64 v[6:7], v[4:5], v[194:195]
	v_mul_f64 v[196:197], v[2:3], v[194:195]
	v_fma_f64 v[194:195], v[2:3], v[192:193], -v[6:7]
	v_fmac_f64_e32 v[196:197], v[4:5], v[192:193]
	scratch_store_dwordx4 off, v[194:197], off offset:48
.LBB60_789:
	s_or_b64 exec, exec, s[4:5]
	scratch_load_dwordx4 v[2:5], v190, off
	v_cmp_lt_u32_e64 s[4:5], 2, v0
	s_waitcnt vmcnt(0)
	ds_write_b128 v9, v[2:5]
	s_waitcnt lgkmcnt(0)
	; wave barrier
	s_waitcnt lgkmcnt(0)
	s_and_saveexec_b64 s[0:1], s[4:5]
	s_cbranch_execz .LBB60_803
; %bb.790:
	ds_read_b128 v[2:5], v9
	s_andn2_b64 vcc, exec, s[6:7]
	s_cbranch_vccnz .LBB60_792
; %bb.791:
	scratch_load_dwordx4 v[192:195], v8, off
	s_waitcnt vmcnt(0) lgkmcnt(0)
	v_mul_f64 v[10:11], v[2:3], v[194:195]
	v_mul_f64 v[6:7], v[4:5], v[194:195]
	v_fmac_f64_e32 v[10:11], v[4:5], v[192:193]
	v_fma_f64 v[2:3], v[2:3], v[192:193], -v[6:7]
	v_mov_b64_e32 v[4:5], v[10:11]
.LBB60_792:
	s_and_saveexec_b64 s[8:9], s[2:3]
	s_cbranch_execz .LBB60_802
; %bb.793:
	v_add_u32_e32 v7, -4, v0
	v_add_u32_e32 v6, -3, v0
	v_cmp_lt_u32_e32 vcc, 6, v7
	v_mov_b32_e32 v193, 3
	s_and_saveexec_b64 s[2:3], vcc
	s_cbranch_execz .LBB60_797
; %bb.794:
	v_and_b32_e32 v7, -8, v6
	s_mov_b32 s12, 0
	s_mov_b64 s[10:11], 0
	v_mov_b32_e32 v192, 0
	s_mov_b32 s13, 0
.LBB60_795:                             ; =>This Inner Loop Header: Depth=1
	v_readfirstlane_b32 s14, v192
	s_add_i32 s14, s14, s12
	s_add_i32 s15, s14, 48
	v_mov_b32_e32 v49, s12
	ds_read_b128 v[194:197], v49 offset:1024
	ds_read_b128 v[198:201], v49 offset:1040
	;; [unrolled: 1-line block ×4, first 2 shown]
	scratch_load_dwordx4 v[210:213], off, s15
	s_add_i32 s15, s14, 64
	s_addk_i32 s12, 0x80
	s_waitcnt vmcnt(0) lgkmcnt(3)
	v_mul_f64 v[10:11], v[196:197], v[212:213]
	v_mul_f64 v[52:53], v[194:195], v[212:213]
	v_fma_f64 v[10:11], v[194:195], v[210:211], -v[10:11]
	v_fmac_f64_e32 v[52:53], v[196:197], v[210:211]
	v_add_f64 v[10:11], v[2:3], v[10:11]
	v_add_f64 v[52:53], v[4:5], v[52:53]
	scratch_load_dwordx4 v[2:5], off, s15
	s_add_i32 s15, s14, 0x50
	s_waitcnt vmcnt(0) lgkmcnt(2)
	v_mul_f64 v[194:195], v[200:201], v[4:5]
	v_mul_f64 v[4:5], v[198:199], v[4:5]
	v_fmac_f64_e32 v[4:5], v[200:201], v[2:3]
	v_fma_f64 v[194:195], v[198:199], v[2:3], -v[194:195]
	v_add_f64 v[52:53], v[52:53], v[4:5]
	scratch_load_dwordx4 v[2:5], off, s15
	v_add_f64 v[10:11], v[10:11], v[194:195]
	s_add_i32 s15, s14, 0x60
	s_waitcnt vmcnt(0) lgkmcnt(1)
	v_mul_f64 v[194:195], v[204:205], v[4:5]
	v_mul_f64 v[4:5], v[202:203], v[4:5]
	v_fmac_f64_e32 v[4:5], v[204:205], v[2:3]
	v_fma_f64 v[194:195], v[202:203], v[2:3], -v[194:195]
	v_add_f64 v[52:53], v[52:53], v[4:5]
	scratch_load_dwordx4 v[2:5], off, s15
	v_add_f64 v[10:11], v[10:11], v[194:195]
	s_add_i32 s15, s14, 0x70
	s_waitcnt vmcnt(0) lgkmcnt(0)
	v_mul_f64 v[194:195], v[208:209], v[4:5]
	v_fma_f64 v[194:195], v[206:207], v[2:3], -v[194:195]
	v_add_f64 v[10:11], v[10:11], v[194:195]
	scratch_load_dwordx4 v[194:197], off, s15
	v_mul_f64 v[4:5], v[206:207], v[4:5]
	v_fmac_f64_e32 v[4:5], v[208:209], v[2:3]
	v_add_f64 v[52:53], v[52:53], v[4:5]
	ds_read_b128 v[2:5], v49 offset:1088
	s_add_i32 s15, s14, 0x80
	s_waitcnt vmcnt(0) lgkmcnt(0)
	v_mul_f64 v[198:199], v[4:5], v[196:197]
	v_fma_f64 v[198:199], v[2:3], v[194:195], -v[198:199]
	v_mul_f64 v[2:3], v[2:3], v[196:197]
	v_fmac_f64_e32 v[2:3], v[4:5], v[194:195]
	scratch_load_dwordx4 v[194:197], off, s15
	v_add_f64 v[52:53], v[52:53], v[2:3]
	ds_read_b128 v[2:5], v49 offset:1104
	v_add_f64 v[10:11], v[10:11], v[198:199]
	s_add_i32 s15, s14, 0x90
	s_addk_i32 s14, 0xa0
	s_waitcnt vmcnt(0) lgkmcnt(0)
	v_mul_f64 v[198:199], v[4:5], v[196:197]
	v_fma_f64 v[198:199], v[2:3], v[194:195], -v[198:199]
	v_mul_f64 v[2:3], v[2:3], v[196:197]
	v_fmac_f64_e32 v[2:3], v[4:5], v[194:195]
	scratch_load_dwordx4 v[194:197], off, s15
	v_add_f64 v[52:53], v[52:53], v[2:3]
	ds_read_b128 v[2:5], v49 offset:1120
	v_add_f64 v[10:11], v[10:11], v[198:199]
	s_waitcnt vmcnt(0) lgkmcnt(0)
	v_mul_f64 v[198:199], v[4:5], v[196:197]
	v_fma_f64 v[198:199], v[2:3], v[194:195], -v[198:199]
	v_mul_f64 v[2:3], v[2:3], v[196:197]
	v_fmac_f64_e32 v[2:3], v[4:5], v[194:195]
	scratch_load_dwordx4 v[194:197], off, s14
	v_add_f64 v[52:53], v[52:53], v[2:3]
	ds_read_b128 v[2:5], v49 offset:1136
	v_add_f64 v[10:11], v[10:11], v[198:199]
	s_add_i32 s14, s13, 8
	v_cmp_eq_u32_e32 vcc, s14, v7
	s_add_i32 s13, s13, 11
	s_or_b64 s[10:11], vcc, s[10:11]
	v_mov_b32_e32 v193, s13
	s_mov_b32 s13, s14
	s_waitcnt vmcnt(0) lgkmcnt(0)
	v_mul_f64 v[198:199], v[4:5], v[196:197]
	v_mul_f64 v[196:197], v[2:3], v[196:197]
	v_fma_f64 v[198:199], v[2:3], v[194:195], -v[198:199]
	v_fmac_f64_e32 v[196:197], v[4:5], v[194:195]
	v_add_f64 v[2:3], v[10:11], v[198:199]
	v_add_f64 v[4:5], v[52:53], v[196:197]
	s_andn2_b64 exec, exec, s[10:11]
	s_cbranch_execnz .LBB60_795
; %bb.796:
	s_or_b64 exec, exec, s[10:11]
.LBB60_797:
	s_or_b64 exec, exec, s[2:3]
	v_and_b32_e32 v6, 7, v6
	v_cmp_ne_u32_e32 vcc, 0, v6
	s_and_saveexec_b64 s[2:3], vcc
	s_cbranch_execz .LBB60_801
; %bb.798:
	v_lshlrev_b32_e32 v10, 4, v193
	v_add_u32_e32 v7, 0x3d0, v10
	v_add_u32_e32 v192, 0, v10
	s_mov_b64 s[10:11], 0
.LBB60_799:                             ; =>This Inner Loop Header: Depth=1
	scratch_load_dwordx4 v[194:197], v192, off
	ds_read_b128 v[198:201], v7
	v_add_u32_e32 v6, -1, v6
	v_cmp_eq_u32_e32 vcc, 0, v6
	v_add_u32_e32 v7, 16, v7
	v_add_u32_e32 v192, 16, v192
	s_or_b64 s[10:11], vcc, s[10:11]
	s_waitcnt vmcnt(0) lgkmcnt(0)
	v_mul_f64 v[10:11], v[200:201], v[196:197]
	v_mul_f64 v[52:53], v[198:199], v[196:197]
	v_fma_f64 v[10:11], v[198:199], v[194:195], -v[10:11]
	v_fmac_f64_e32 v[52:53], v[200:201], v[194:195]
	v_add_f64 v[2:3], v[2:3], v[10:11]
	v_add_f64 v[4:5], v[4:5], v[52:53]
	s_andn2_b64 exec, exec, s[10:11]
	s_cbranch_execnz .LBB60_799
; %bb.800:
	s_or_b64 exec, exec, s[10:11]
.LBB60_801:
	s_or_b64 exec, exec, s[2:3]
.LBB60_802:
	s_or_b64 exec, exec, s[8:9]
	v_mov_b32_e32 v6, 0
	ds_read_b128 v[192:195], v6 offset:32
	s_waitcnt lgkmcnt(0)
	v_mul_f64 v[6:7], v[4:5], v[194:195]
	v_mul_f64 v[196:197], v[2:3], v[194:195]
	v_fma_f64 v[194:195], v[2:3], v[192:193], -v[6:7]
	v_fmac_f64_e32 v[196:197], v[4:5], v[192:193]
	scratch_store_dwordx4 off, v[194:197], off offset:32
.LBB60_803:
	s_or_b64 exec, exec, s[0:1]
	scratch_load_dwordx4 v[2:5], v191, off
	v_cmp_lt_u32_e64 s[0:1], 1, v0
	s_waitcnt vmcnt(0)
	ds_write_b128 v9, v[2:5]
	s_waitcnt lgkmcnt(0)
	; wave barrier
	s_waitcnt lgkmcnt(0)
	s_and_saveexec_b64 s[2:3], s[0:1]
	s_cbranch_execz .LBB60_817
; %bb.804:
	ds_read_b128 v[2:5], v9
	s_andn2_b64 vcc, exec, s[6:7]
	s_cbranch_vccnz .LBB60_806
; %bb.805:
	scratch_load_dwordx4 v[192:195], v8, off
	s_waitcnt vmcnt(0) lgkmcnt(0)
	v_mul_f64 v[10:11], v[2:3], v[194:195]
	v_mul_f64 v[6:7], v[4:5], v[194:195]
	v_fmac_f64_e32 v[10:11], v[4:5], v[192:193]
	v_fma_f64 v[2:3], v[2:3], v[192:193], -v[6:7]
	v_mov_b64_e32 v[4:5], v[10:11]
.LBB60_806:
	s_and_saveexec_b64 s[8:9], s[4:5]
	s_cbranch_execz .LBB60_816
; %bb.807:
	v_add_u32_e32 v7, -3, v0
	v_add_u32_e32 v6, -2, v0
	v_cmp_lt_u32_e32 vcc, 6, v7
	v_mov_b32_e32 v193, 2
	s_and_saveexec_b64 s[4:5], vcc
	s_cbranch_execz .LBB60_811
; %bb.808:
	v_and_b32_e32 v7, -8, v6
	s_mov_b32 s12, 0
	s_mov_b64 s[10:11], 0
	v_mov_b32_e32 v192, 0
	s_mov_b32 s13, 0
.LBB60_809:                             ; =>This Inner Loop Header: Depth=1
	v_readfirstlane_b32 s14, v192
	s_add_i32 s14, s14, s12
	s_add_i32 s15, s14, 32
	v_mov_b32_e32 v49, s12
	ds_read_b128 v[194:197], v49 offset:1008
	ds_read_b128 v[198:201], v49 offset:1024
	;; [unrolled: 1-line block ×4, first 2 shown]
	scratch_load_dwordx4 v[210:213], off, s15
	s_add_i32 s15, s14, 48
	s_addk_i32 s12, 0x80
	s_waitcnt vmcnt(0) lgkmcnt(3)
	v_mul_f64 v[10:11], v[196:197], v[212:213]
	v_mul_f64 v[52:53], v[194:195], v[212:213]
	v_fma_f64 v[10:11], v[194:195], v[210:211], -v[10:11]
	v_fmac_f64_e32 v[52:53], v[196:197], v[210:211]
	v_add_f64 v[10:11], v[2:3], v[10:11]
	v_add_f64 v[52:53], v[4:5], v[52:53]
	scratch_load_dwordx4 v[2:5], off, s15
	s_add_i32 s15, s14, 64
	s_waitcnt vmcnt(0) lgkmcnt(2)
	v_mul_f64 v[194:195], v[200:201], v[4:5]
	v_mul_f64 v[4:5], v[198:199], v[4:5]
	v_fmac_f64_e32 v[4:5], v[200:201], v[2:3]
	v_fma_f64 v[194:195], v[198:199], v[2:3], -v[194:195]
	v_add_f64 v[52:53], v[52:53], v[4:5]
	scratch_load_dwordx4 v[2:5], off, s15
	v_add_f64 v[10:11], v[10:11], v[194:195]
	s_add_i32 s15, s14, 0x50
	s_waitcnt vmcnt(0) lgkmcnt(1)
	v_mul_f64 v[194:195], v[204:205], v[4:5]
	v_mul_f64 v[4:5], v[202:203], v[4:5]
	v_fmac_f64_e32 v[4:5], v[204:205], v[2:3]
	v_fma_f64 v[194:195], v[202:203], v[2:3], -v[194:195]
	v_add_f64 v[52:53], v[52:53], v[4:5]
	scratch_load_dwordx4 v[2:5], off, s15
	v_add_f64 v[10:11], v[10:11], v[194:195]
	s_add_i32 s15, s14, 0x60
	s_waitcnt vmcnt(0) lgkmcnt(0)
	v_mul_f64 v[194:195], v[208:209], v[4:5]
	v_fma_f64 v[194:195], v[206:207], v[2:3], -v[194:195]
	v_add_f64 v[10:11], v[10:11], v[194:195]
	scratch_load_dwordx4 v[194:197], off, s15
	v_mul_f64 v[4:5], v[206:207], v[4:5]
	v_fmac_f64_e32 v[4:5], v[208:209], v[2:3]
	v_add_f64 v[52:53], v[52:53], v[4:5]
	ds_read_b128 v[2:5], v49 offset:1072
	s_add_i32 s15, s14, 0x70
	s_waitcnt vmcnt(0) lgkmcnt(0)
	v_mul_f64 v[198:199], v[4:5], v[196:197]
	v_fma_f64 v[198:199], v[2:3], v[194:195], -v[198:199]
	v_mul_f64 v[2:3], v[2:3], v[196:197]
	v_fmac_f64_e32 v[2:3], v[4:5], v[194:195]
	scratch_load_dwordx4 v[194:197], off, s15
	v_add_f64 v[52:53], v[52:53], v[2:3]
	ds_read_b128 v[2:5], v49 offset:1088
	v_add_f64 v[10:11], v[10:11], v[198:199]
	s_add_i32 s15, s14, 0x80
	s_addk_i32 s14, 0x90
	s_waitcnt vmcnt(0) lgkmcnt(0)
	v_mul_f64 v[198:199], v[4:5], v[196:197]
	v_fma_f64 v[198:199], v[2:3], v[194:195], -v[198:199]
	v_mul_f64 v[2:3], v[2:3], v[196:197]
	v_fmac_f64_e32 v[2:3], v[4:5], v[194:195]
	scratch_load_dwordx4 v[194:197], off, s15
	v_add_f64 v[52:53], v[52:53], v[2:3]
	ds_read_b128 v[2:5], v49 offset:1104
	v_add_f64 v[10:11], v[10:11], v[198:199]
	s_waitcnt vmcnt(0) lgkmcnt(0)
	v_mul_f64 v[198:199], v[4:5], v[196:197]
	v_fma_f64 v[198:199], v[2:3], v[194:195], -v[198:199]
	v_mul_f64 v[2:3], v[2:3], v[196:197]
	v_fmac_f64_e32 v[2:3], v[4:5], v[194:195]
	scratch_load_dwordx4 v[194:197], off, s14
	v_add_f64 v[52:53], v[52:53], v[2:3]
	ds_read_b128 v[2:5], v49 offset:1120
	v_add_f64 v[10:11], v[10:11], v[198:199]
	s_add_i32 s14, s13, 8
	v_cmp_eq_u32_e32 vcc, s14, v7
	s_add_i32 s13, s13, 10
	s_or_b64 s[10:11], vcc, s[10:11]
	v_mov_b32_e32 v193, s13
	s_mov_b32 s13, s14
	s_waitcnt vmcnt(0) lgkmcnt(0)
	v_mul_f64 v[198:199], v[4:5], v[196:197]
	v_mul_f64 v[196:197], v[2:3], v[196:197]
	v_fma_f64 v[198:199], v[2:3], v[194:195], -v[198:199]
	v_fmac_f64_e32 v[196:197], v[4:5], v[194:195]
	v_add_f64 v[2:3], v[10:11], v[198:199]
	v_add_f64 v[4:5], v[52:53], v[196:197]
	s_andn2_b64 exec, exec, s[10:11]
	s_cbranch_execnz .LBB60_809
; %bb.810:
	s_or_b64 exec, exec, s[10:11]
.LBB60_811:
	s_or_b64 exec, exec, s[4:5]
	v_and_b32_e32 v6, 7, v6
	v_cmp_ne_u32_e32 vcc, 0, v6
	s_and_saveexec_b64 s[4:5], vcc
	s_cbranch_execz .LBB60_815
; %bb.812:
	v_lshlrev_b32_e32 v10, 4, v193
	v_add_u32_e32 v7, 0x3d0, v10
	v_add_u32_e32 v192, 0, v10
	s_mov_b64 s[10:11], 0
.LBB60_813:                             ; =>This Inner Loop Header: Depth=1
	scratch_load_dwordx4 v[194:197], v192, off
	ds_read_b128 v[198:201], v7
	v_add_u32_e32 v6, -1, v6
	v_cmp_eq_u32_e32 vcc, 0, v6
	v_add_u32_e32 v7, 16, v7
	v_add_u32_e32 v192, 16, v192
	s_or_b64 s[10:11], vcc, s[10:11]
	s_waitcnt vmcnt(0) lgkmcnt(0)
	v_mul_f64 v[10:11], v[200:201], v[196:197]
	v_mul_f64 v[52:53], v[198:199], v[196:197]
	v_fma_f64 v[10:11], v[198:199], v[194:195], -v[10:11]
	v_fmac_f64_e32 v[52:53], v[200:201], v[194:195]
	v_add_f64 v[2:3], v[2:3], v[10:11]
	v_add_f64 v[4:5], v[4:5], v[52:53]
	s_andn2_b64 exec, exec, s[10:11]
	s_cbranch_execnz .LBB60_813
; %bb.814:
	s_or_b64 exec, exec, s[10:11]
.LBB60_815:
	s_or_b64 exec, exec, s[4:5]
.LBB60_816:
	s_or_b64 exec, exec, s[8:9]
	v_mov_b32_e32 v6, 0
	ds_read_b128 v[192:195], v6 offset:16
	s_waitcnt lgkmcnt(0)
	v_mul_f64 v[6:7], v[4:5], v[194:195]
	v_mul_f64 v[196:197], v[2:3], v[194:195]
	v_fma_f64 v[194:195], v[2:3], v[192:193], -v[6:7]
	v_fmac_f64_e32 v[196:197], v[4:5], v[192:193]
	scratch_store_dwordx4 off, v[194:197], off offset:16
.LBB60_817:
	s_or_b64 exec, exec, s[2:3]
	scratch_load_dwordx4 v[2:5], off, off
	v_cmp_ne_u32_e32 vcc, 0, v0
	s_mov_b64 s[2:3], 0
	s_mov_b64 s[10:11], 0
                                        ; implicit-def: $vgpr6_vgpr7
                                        ; implicit-def: $vgpr192
	s_waitcnt vmcnt(0)
	ds_write_b128 v9, v[2:5]
	s_waitcnt lgkmcnt(0)
	; wave barrier
	s_waitcnt lgkmcnt(0)
	s_and_saveexec_b64 s[4:5], vcc
	s_cbranch_execz .LBB60_831
; %bb.818:
	ds_read_b128 v[2:5], v9
	s_andn2_b64 vcc, exec, s[6:7]
	s_cbranch_vccnz .LBB60_820
; %bb.819:
	scratch_load_dwordx4 v[192:195], v8, off
	s_waitcnt vmcnt(0) lgkmcnt(0)
	v_mul_f64 v[10:11], v[2:3], v[194:195]
	v_mul_f64 v[6:7], v[4:5], v[194:195]
	v_fmac_f64_e32 v[10:11], v[4:5], v[192:193]
	v_fma_f64 v[2:3], v[2:3], v[192:193], -v[6:7]
	v_mov_b64_e32 v[4:5], v[10:11]
.LBB60_820:
	s_and_saveexec_b64 s[8:9], s[0:1]
	s_cbranch_execz .LBB60_830
; %bb.821:
	v_add_u32_e32 v7, -2, v0
	v_add_u32_e32 v6, -1, v0
	v_cmp_lt_u32_e32 vcc, 6, v7
	v_mov_b32_e32 v193, 1
	s_and_saveexec_b64 s[0:1], vcc
	s_cbranch_execz .LBB60_825
; %bb.822:
	v_and_b32_e32 v7, -8, v6
	s_mov_b32 s12, 0
	v_mov_b32_e32 v192, 0
	s_mov_b32 s13, 0
.LBB60_823:                             ; =>This Inner Loop Header: Depth=1
	v_readfirstlane_b32 s14, v192
	s_add_i32 s14, s14, s12
	s_add_i32 s15, s14, 16
	v_mov_b32_e32 v49, s12
	ds_read_b128 v[194:197], v49 offset:992
	ds_read_b128 v[198:201], v49 offset:1008
	;; [unrolled: 1-line block ×4, first 2 shown]
	scratch_load_dwordx4 v[210:213], off, s15
	s_add_i32 s15, s14, 32
	s_addk_i32 s12, 0x80
	s_waitcnt vmcnt(0) lgkmcnt(3)
	v_mul_f64 v[10:11], v[196:197], v[212:213]
	v_mul_f64 v[52:53], v[194:195], v[212:213]
	v_fma_f64 v[10:11], v[194:195], v[210:211], -v[10:11]
	v_fmac_f64_e32 v[52:53], v[196:197], v[210:211]
	v_add_f64 v[10:11], v[2:3], v[10:11]
	v_add_f64 v[52:53], v[4:5], v[52:53]
	scratch_load_dwordx4 v[2:5], off, s15
	s_add_i32 s15, s14, 48
	s_waitcnt vmcnt(0) lgkmcnt(2)
	v_mul_f64 v[194:195], v[200:201], v[4:5]
	v_mul_f64 v[4:5], v[198:199], v[4:5]
	v_fmac_f64_e32 v[4:5], v[200:201], v[2:3]
	v_fma_f64 v[194:195], v[198:199], v[2:3], -v[194:195]
	v_add_f64 v[52:53], v[52:53], v[4:5]
	scratch_load_dwordx4 v[2:5], off, s15
	v_add_f64 v[10:11], v[10:11], v[194:195]
	s_add_i32 s15, s14, 64
	s_waitcnt vmcnt(0) lgkmcnt(1)
	v_mul_f64 v[194:195], v[204:205], v[4:5]
	v_mul_f64 v[4:5], v[202:203], v[4:5]
	v_fmac_f64_e32 v[4:5], v[204:205], v[2:3]
	v_fma_f64 v[194:195], v[202:203], v[2:3], -v[194:195]
	v_add_f64 v[52:53], v[52:53], v[4:5]
	scratch_load_dwordx4 v[2:5], off, s15
	v_add_f64 v[10:11], v[10:11], v[194:195]
	s_add_i32 s15, s14, 0x50
	s_waitcnt vmcnt(0) lgkmcnt(0)
	v_mul_f64 v[194:195], v[208:209], v[4:5]
	v_fma_f64 v[194:195], v[206:207], v[2:3], -v[194:195]
	v_add_f64 v[10:11], v[10:11], v[194:195]
	scratch_load_dwordx4 v[194:197], off, s15
	v_mul_f64 v[4:5], v[206:207], v[4:5]
	v_fmac_f64_e32 v[4:5], v[208:209], v[2:3]
	v_add_f64 v[52:53], v[52:53], v[4:5]
	ds_read_b128 v[2:5], v49 offset:1056
	s_add_i32 s15, s14, 0x60
	s_waitcnt vmcnt(0) lgkmcnt(0)
	v_mul_f64 v[198:199], v[4:5], v[196:197]
	v_fma_f64 v[198:199], v[2:3], v[194:195], -v[198:199]
	v_mul_f64 v[2:3], v[2:3], v[196:197]
	v_fmac_f64_e32 v[2:3], v[4:5], v[194:195]
	scratch_load_dwordx4 v[194:197], off, s15
	v_add_f64 v[52:53], v[52:53], v[2:3]
	ds_read_b128 v[2:5], v49 offset:1072
	v_add_f64 v[10:11], v[10:11], v[198:199]
	s_add_i32 s15, s14, 0x70
	s_addk_i32 s14, 0x80
	s_waitcnt vmcnt(0) lgkmcnt(0)
	v_mul_f64 v[198:199], v[4:5], v[196:197]
	v_fma_f64 v[198:199], v[2:3], v[194:195], -v[198:199]
	v_mul_f64 v[2:3], v[2:3], v[196:197]
	v_fmac_f64_e32 v[2:3], v[4:5], v[194:195]
	scratch_load_dwordx4 v[194:197], off, s15
	v_add_f64 v[52:53], v[52:53], v[2:3]
	ds_read_b128 v[2:5], v49 offset:1088
	v_add_f64 v[10:11], v[10:11], v[198:199]
	s_waitcnt vmcnt(0) lgkmcnt(0)
	v_mul_f64 v[198:199], v[4:5], v[196:197]
	v_fma_f64 v[198:199], v[2:3], v[194:195], -v[198:199]
	v_mul_f64 v[2:3], v[2:3], v[196:197]
	v_fmac_f64_e32 v[2:3], v[4:5], v[194:195]
	scratch_load_dwordx4 v[194:197], off, s14
	v_add_f64 v[52:53], v[52:53], v[2:3]
	ds_read_b128 v[2:5], v49 offset:1104
	v_add_f64 v[10:11], v[10:11], v[198:199]
	s_add_i32 s14, s13, 8
	v_cmp_eq_u32_e32 vcc, s14, v7
	s_add_i32 s13, s13, 9
	s_or_b64 s[10:11], vcc, s[10:11]
	v_mov_b32_e32 v193, s13
	s_mov_b32 s13, s14
	s_waitcnt vmcnt(0) lgkmcnt(0)
	v_mul_f64 v[198:199], v[4:5], v[196:197]
	v_mul_f64 v[196:197], v[2:3], v[196:197]
	v_fma_f64 v[198:199], v[2:3], v[194:195], -v[198:199]
	v_fmac_f64_e32 v[196:197], v[4:5], v[194:195]
	v_add_f64 v[2:3], v[10:11], v[198:199]
	v_add_f64 v[4:5], v[52:53], v[196:197]
	s_andn2_b64 exec, exec, s[10:11]
	s_cbranch_execnz .LBB60_823
; %bb.824:
	s_or_b64 exec, exec, s[10:11]
.LBB60_825:
	s_or_b64 exec, exec, s[0:1]
	v_and_b32_e32 v6, 7, v6
	v_cmp_ne_u32_e32 vcc, 0, v6
	s_and_saveexec_b64 s[0:1], vcc
	s_cbranch_execz .LBB60_829
; %bb.826:
	v_lshlrev_b32_e32 v10, 4, v193
	v_add_u32_e32 v7, 0x3d0, v10
	v_add_u32_e32 v192, 0, v10
	s_mov_b64 s[10:11], 0
.LBB60_827:                             ; =>This Inner Loop Header: Depth=1
	scratch_load_dwordx4 v[194:197], v192, off
	ds_read_b128 v[198:201], v7
	v_add_u32_e32 v6, -1, v6
	v_cmp_eq_u32_e32 vcc, 0, v6
	v_add_u32_e32 v7, 16, v7
	v_add_u32_e32 v192, 16, v192
	s_or_b64 s[10:11], vcc, s[10:11]
	s_waitcnt vmcnt(0) lgkmcnt(0)
	v_mul_f64 v[10:11], v[200:201], v[196:197]
	v_mul_f64 v[52:53], v[198:199], v[196:197]
	v_fma_f64 v[10:11], v[198:199], v[194:195], -v[10:11]
	v_fmac_f64_e32 v[52:53], v[200:201], v[194:195]
	v_add_f64 v[2:3], v[2:3], v[10:11]
	v_add_f64 v[4:5], v[4:5], v[52:53]
	s_andn2_b64 exec, exec, s[10:11]
	s_cbranch_execnz .LBB60_827
; %bb.828:
	s_or_b64 exec, exec, s[10:11]
.LBB60_829:
	s_or_b64 exec, exec, s[0:1]
.LBB60_830:
	s_or_b64 exec, exec, s[8:9]
	v_mov_b32_e32 v6, 0
	ds_read_b128 v[194:197], v6
	v_mov_b32_e32 v6, 0
	v_or_b32_e32 v192, 8, v6
	s_mov_b64 s[10:11], exec
	s_waitcnt lgkmcnt(0)
	v_mul_f64 v[10:11], v[4:5], v[196:197]
	v_mul_f64 v[6:7], v[2:3], v[196:197]
	v_fma_f64 v[2:3], v[2:3], v[194:195], -v[10:11]
	v_fmac_f64_e32 v[6:7], v[4:5], v[194:195]
	scratch_store_dwordx2 off, v[2:3], off
.LBB60_831:
	s_or_b64 exec, exec, s[4:5]
	s_and_b64 vcc, exec, s[2:3]
	s_cbranch_vccnz .LBB60_833
	s_branch .LBB60_1320
.LBB60_832:
	s_mov_b64 s[10:11], 0
                                        ; implicit-def: $vgpr6_vgpr7
                                        ; implicit-def: $vgpr192
	s_cbranch_execz .LBB60_1320
.LBB60_833:
	scratch_load_dwordx4 v[2:5], v191, off
	v_cndmask_b32_e64 v6, 0, 1, s[6:7]
	v_cmp_eq_u32_e64 s[2:3], 0, v0
	v_cmp_ne_u32_e64 s[0:1], 1, v6
	s_waitcnt vmcnt(0)
	ds_write_b128 v9, v[2:5]
	s_waitcnt lgkmcnt(0)
	; wave barrier
	s_waitcnt lgkmcnt(0)
	s_and_saveexec_b64 s[4:5], s[2:3]
	s_cbranch_execz .LBB60_837
; %bb.834:
	ds_read_b128 v[2:5], v9
	s_and_b64 vcc, exec, s[0:1]
	s_cbranch_vccnz .LBB60_836
; %bb.835:
	scratch_load_dwordx4 v[192:195], v8, off
	s_waitcnt vmcnt(0) lgkmcnt(0)
	v_mul_f64 v[10:11], v[2:3], v[194:195]
	v_mul_f64 v[6:7], v[4:5], v[194:195]
	v_fmac_f64_e32 v[10:11], v[4:5], v[192:193]
	v_fma_f64 v[2:3], v[2:3], v[192:193], -v[6:7]
	v_mov_b64_e32 v[4:5], v[10:11]
.LBB60_836:
	v_mov_b32_e32 v6, 0
	ds_read_b128 v[192:195], v6 offset:16
	s_waitcnt lgkmcnt(0)
	v_mul_f64 v[6:7], v[4:5], v[194:195]
	v_mul_f64 v[196:197], v[2:3], v[194:195]
	v_fma_f64 v[194:195], v[2:3], v[192:193], -v[6:7]
	v_fmac_f64_e32 v[196:197], v[4:5], v[192:193]
	scratch_store_dwordx4 off, v[194:197], off offset:16
.LBB60_837:
	s_or_b64 exec, exec, s[4:5]
	scratch_load_dwordx4 v[2:5], v190, off
	v_cmp_gt_u32_e32 vcc, 2, v0
	s_waitcnt vmcnt(0)
	ds_write_b128 v9, v[2:5]
	s_waitcnt lgkmcnt(0)
	; wave barrier
	s_waitcnt lgkmcnt(0)
	s_and_saveexec_b64 s[4:5], vcc
	s_cbranch_execz .LBB60_843
; %bb.838:
	ds_read_b128 v[2:5], v9
	s_and_b64 vcc, exec, s[0:1]
	s_cbranch_vccnz .LBB60_840
; %bb.839:
	scratch_load_dwordx4 v[192:195], v8, off
	s_waitcnt vmcnt(0) lgkmcnt(0)
	v_mul_f64 v[10:11], v[2:3], v[194:195]
	v_mul_f64 v[6:7], v[4:5], v[194:195]
	v_fmac_f64_e32 v[10:11], v[4:5], v[192:193]
	v_fma_f64 v[2:3], v[2:3], v[192:193], -v[6:7]
	v_mov_b64_e32 v[4:5], v[10:11]
.LBB60_840:
	s_and_saveexec_b64 s[6:7], s[2:3]
	s_cbranch_execz .LBB60_842
; %bb.841:
	scratch_load_dwordx4 v[192:195], v8, off offset:16
	ds_read_b128 v[196:199], v9 offset:16
	s_waitcnt vmcnt(0) lgkmcnt(0)
	v_mul_f64 v[6:7], v[198:199], v[194:195]
	v_mul_f64 v[10:11], v[196:197], v[194:195]
	v_fma_f64 v[6:7], v[196:197], v[192:193], -v[6:7]
	v_fmac_f64_e32 v[10:11], v[198:199], v[192:193]
	v_add_f64 v[2:3], v[2:3], v[6:7]
	v_add_f64 v[4:5], v[4:5], v[10:11]
.LBB60_842:
	s_or_b64 exec, exec, s[6:7]
	v_mov_b32_e32 v6, 0
	ds_read_b128 v[192:195], v6 offset:32
	s_waitcnt lgkmcnt(0)
	v_mul_f64 v[6:7], v[4:5], v[194:195]
	v_mul_f64 v[196:197], v[2:3], v[194:195]
	v_fma_f64 v[194:195], v[2:3], v[192:193], -v[6:7]
	v_fmac_f64_e32 v[196:197], v[4:5], v[192:193]
	scratch_store_dwordx4 off, v[194:197], off offset:32
.LBB60_843:
	s_or_b64 exec, exec, s[4:5]
	scratch_load_dwordx4 v[2:5], v189, off
	v_cmp_gt_u32_e64 s[4:5], 3, v0
	s_waitcnt vmcnt(0)
	ds_write_b128 v9, v[2:5]
	s_waitcnt lgkmcnt(0)
	; wave barrier
	s_waitcnt lgkmcnt(0)
	s_and_saveexec_b64 s[6:7], s[4:5]
	s_cbranch_execz .LBB60_851
; %bb.844:
	ds_read_b128 v[2:5], v9
	s_and_b64 vcc, exec, s[0:1]
	s_cbranch_vccnz .LBB60_846
; %bb.845:
	scratch_load_dwordx4 v[192:195], v8, off
	s_waitcnt vmcnt(0) lgkmcnt(0)
	v_mul_f64 v[10:11], v[2:3], v[194:195]
	v_mul_f64 v[6:7], v[4:5], v[194:195]
	v_fmac_f64_e32 v[10:11], v[4:5], v[192:193]
	v_fma_f64 v[2:3], v[2:3], v[192:193], -v[6:7]
	v_mov_b64_e32 v[4:5], v[10:11]
.LBB60_846:
	v_cmp_ne_u32_e32 vcc, 2, v0
	s_and_saveexec_b64 s[8:9], vcc
	s_cbranch_execz .LBB60_850
; %bb.847:
	scratch_load_dwordx4 v[192:195], v8, off offset:16
	ds_read_b128 v[196:199], v9 offset:16
	s_waitcnt vmcnt(0) lgkmcnt(0)
	v_mul_f64 v[6:7], v[198:199], v[194:195]
	v_mul_f64 v[10:11], v[196:197], v[194:195]
	v_fma_f64 v[6:7], v[196:197], v[192:193], -v[6:7]
	v_fmac_f64_e32 v[10:11], v[198:199], v[192:193]
	v_add_f64 v[2:3], v[2:3], v[6:7]
	v_add_f64 v[4:5], v[4:5], v[10:11]
	s_and_saveexec_b64 s[12:13], s[2:3]
	s_cbranch_execz .LBB60_849
; %bb.848:
	scratch_load_dwordx4 v[192:195], off, off offset:32
	v_mov_b32_e32 v6, 0
	ds_read_b128 v[196:199], v6 offset:1008
	s_waitcnt vmcnt(0) lgkmcnt(0)
	v_mul_f64 v[6:7], v[196:197], v[194:195]
	v_mul_f64 v[10:11], v[198:199], v[194:195]
	v_fmac_f64_e32 v[6:7], v[198:199], v[192:193]
	v_fma_f64 v[10:11], v[196:197], v[192:193], -v[10:11]
	v_add_f64 v[4:5], v[4:5], v[6:7]
	v_add_f64 v[2:3], v[2:3], v[10:11]
.LBB60_849:
	s_or_b64 exec, exec, s[12:13]
.LBB60_850:
	s_or_b64 exec, exec, s[8:9]
	v_mov_b32_e32 v6, 0
	ds_read_b128 v[192:195], v6 offset:48
	s_waitcnt lgkmcnt(0)
	v_mul_f64 v[6:7], v[4:5], v[194:195]
	v_mul_f64 v[196:197], v[2:3], v[194:195]
	v_fma_f64 v[194:195], v[2:3], v[192:193], -v[6:7]
	v_fmac_f64_e32 v[196:197], v[4:5], v[192:193]
	scratch_store_dwordx4 off, v[194:197], off offset:48
.LBB60_851:
	s_or_b64 exec, exec, s[6:7]
	scratch_load_dwordx4 v[2:5], v188, off
	v_cmp_gt_u32_e32 vcc, 4, v0
	s_waitcnt vmcnt(0)
	ds_write_b128 v9, v[2:5]
	s_waitcnt lgkmcnt(0)
	; wave barrier
	s_waitcnt lgkmcnt(0)
	s_and_saveexec_b64 s[6:7], vcc
	s_cbranch_execz .LBB60_859
; %bb.852:
	ds_read_b128 v[2:5], v9
	s_and_b64 vcc, exec, s[0:1]
	s_cbranch_vccnz .LBB60_854
; %bb.853:
	scratch_load_dwordx4 v[192:195], v8, off
	s_waitcnt vmcnt(0) lgkmcnt(0)
	v_mul_f64 v[10:11], v[2:3], v[194:195]
	v_mul_f64 v[6:7], v[4:5], v[194:195]
	v_fmac_f64_e32 v[10:11], v[4:5], v[192:193]
	v_fma_f64 v[2:3], v[2:3], v[192:193], -v[6:7]
	v_mov_b64_e32 v[4:5], v[10:11]
.LBB60_854:
	v_cmp_ne_u32_e32 vcc, 3, v0
	s_and_saveexec_b64 s[8:9], vcc
	s_cbranch_execz .LBB60_858
; %bb.855:
	v_mov_b32_e32 v7, 0
	v_add_u32_e32 v6, 0x3e0, v72
	v_add3_u32 v7, v72, v7, 24
	s_mov_b64 s[12:13], 0
	v_mov_b32_e32 v192, v0
.LBB60_856:                             ; =>This Inner Loop Header: Depth=1
	v_add_u32_e32 v10, -8, v7
	scratch_load_dwordx4 v[194:197], v10, off
	ds_read_b128 v[198:201], v6
	v_add_u32_e32 v192, 1, v192
	v_cmp_lt_u32_e32 vcc, 2, v192
	v_add_u32_e32 v6, 16, v6
	v_add_u32_e32 v7, 16, v7
	s_or_b64 s[12:13], vcc, s[12:13]
	s_waitcnt vmcnt(0) lgkmcnt(0)
	v_mul_f64 v[10:11], v[200:201], v[196:197]
	v_mul_f64 v[52:53], v[198:199], v[196:197]
	v_fma_f64 v[10:11], v[198:199], v[194:195], -v[10:11]
	v_fmac_f64_e32 v[52:53], v[200:201], v[194:195]
	v_add_f64 v[2:3], v[2:3], v[10:11]
	v_add_f64 v[4:5], v[4:5], v[52:53]
	s_andn2_b64 exec, exec, s[12:13]
	s_cbranch_execnz .LBB60_856
; %bb.857:
	s_or_b64 exec, exec, s[12:13]
.LBB60_858:
	s_or_b64 exec, exec, s[8:9]
	v_mov_b32_e32 v6, 0
	ds_read_b128 v[192:195], v6 offset:64
	s_waitcnt lgkmcnt(0)
	v_mul_f64 v[6:7], v[4:5], v[194:195]
	v_mul_f64 v[196:197], v[2:3], v[194:195]
	v_fma_f64 v[194:195], v[2:3], v[192:193], -v[6:7]
	v_fmac_f64_e32 v[196:197], v[4:5], v[192:193]
	scratch_store_dwordx4 off, v[194:197], off offset:64
.LBB60_859:
	s_or_b64 exec, exec, s[6:7]
	scratch_load_dwordx4 v[2:5], v187, off
	v_cmp_gt_u32_e64 s[6:7], 5, v0
	s_waitcnt vmcnt(0)
	ds_write_b128 v9, v[2:5]
	s_waitcnt lgkmcnt(0)
	; wave barrier
	s_waitcnt lgkmcnt(0)
	s_and_saveexec_b64 s[8:9], s[6:7]
	s_cbranch_execz .LBB60_867
; %bb.860:
	ds_read_b128 v[2:5], v9
	s_and_b64 vcc, exec, s[0:1]
	s_cbranch_vccnz .LBB60_862
; %bb.861:
	scratch_load_dwordx4 v[192:195], v8, off
	s_waitcnt vmcnt(0) lgkmcnt(0)
	v_mul_f64 v[10:11], v[2:3], v[194:195]
	v_mul_f64 v[6:7], v[4:5], v[194:195]
	v_fmac_f64_e32 v[10:11], v[4:5], v[192:193]
	v_fma_f64 v[2:3], v[2:3], v[192:193], -v[6:7]
	v_mov_b64_e32 v[4:5], v[10:11]
.LBB60_862:
	v_cmp_ne_u32_e32 vcc, 4, v0
	s_and_saveexec_b64 s[12:13], vcc
	s_cbranch_execz .LBB60_866
; %bb.863:
	v_mov_b32_e32 v7, 0
	v_add_u32_e32 v6, 0x3e0, v72
	v_add3_u32 v7, v72, v7, 24
	s_mov_b64 s[14:15], 0
	v_mov_b32_e32 v192, v0
.LBB60_864:                             ; =>This Inner Loop Header: Depth=1
	v_add_u32_e32 v10, -8, v7
	scratch_load_dwordx4 v[194:197], v10, off
	ds_read_b128 v[198:201], v6
	v_add_u32_e32 v192, 1, v192
	v_cmp_lt_u32_e32 vcc, 3, v192
	v_add_u32_e32 v6, 16, v6
	v_add_u32_e32 v7, 16, v7
	s_or_b64 s[14:15], vcc, s[14:15]
	s_waitcnt vmcnt(0) lgkmcnt(0)
	v_mul_f64 v[10:11], v[200:201], v[196:197]
	v_mul_f64 v[52:53], v[198:199], v[196:197]
	v_fma_f64 v[10:11], v[198:199], v[194:195], -v[10:11]
	v_fmac_f64_e32 v[52:53], v[200:201], v[194:195]
	v_add_f64 v[2:3], v[2:3], v[10:11]
	v_add_f64 v[4:5], v[4:5], v[52:53]
	s_andn2_b64 exec, exec, s[14:15]
	s_cbranch_execnz .LBB60_864
; %bb.865:
	s_or_b64 exec, exec, s[14:15]
.LBB60_866:
	s_or_b64 exec, exec, s[12:13]
	v_mov_b32_e32 v6, 0
	ds_read_b128 v[192:195], v6 offset:80
	s_waitcnt lgkmcnt(0)
	v_mul_f64 v[6:7], v[4:5], v[194:195]
	v_mul_f64 v[196:197], v[2:3], v[194:195]
	v_fma_f64 v[194:195], v[2:3], v[192:193], -v[6:7]
	v_fmac_f64_e32 v[196:197], v[4:5], v[192:193]
	scratch_store_dwordx4 off, v[194:197], off offset:80
.LBB60_867:
	s_or_b64 exec, exec, s[8:9]
	scratch_load_dwordx4 v[2:5], v186, off
	v_cmp_gt_u32_e32 vcc, 6, v0
	s_waitcnt vmcnt(0)
	ds_write_b128 v9, v[2:5]
	s_waitcnt lgkmcnt(0)
	; wave barrier
	s_waitcnt lgkmcnt(0)
	s_and_saveexec_b64 s[8:9], vcc
	s_cbranch_execz .LBB60_875
; %bb.868:
	ds_read_b128 v[2:5], v9
	s_and_b64 vcc, exec, s[0:1]
	s_cbranch_vccnz .LBB60_870
; %bb.869:
	scratch_load_dwordx4 v[192:195], v8, off
	s_waitcnt vmcnt(0) lgkmcnt(0)
	v_mul_f64 v[10:11], v[2:3], v[194:195]
	v_mul_f64 v[6:7], v[4:5], v[194:195]
	v_fmac_f64_e32 v[10:11], v[4:5], v[192:193]
	v_fma_f64 v[2:3], v[2:3], v[192:193], -v[6:7]
	v_mov_b64_e32 v[4:5], v[10:11]
.LBB60_870:
	v_cmp_ne_u32_e32 vcc, 5, v0
	s_and_saveexec_b64 s[12:13], vcc
	s_cbranch_execz .LBB60_874
; %bb.871:
	v_mov_b32_e32 v7, 0
	v_add_u32_e32 v6, 0x3e0, v72
	v_add3_u32 v7, v72, v7, 24
	s_mov_b64 s[14:15], 0
	v_mov_b32_e32 v192, v0
.LBB60_872:                             ; =>This Inner Loop Header: Depth=1
	v_add_u32_e32 v10, -8, v7
	scratch_load_dwordx4 v[194:197], v10, off
	ds_read_b128 v[198:201], v6
	v_add_u32_e32 v192, 1, v192
	v_cmp_lt_u32_e32 vcc, 4, v192
	v_add_u32_e32 v6, 16, v6
	v_add_u32_e32 v7, 16, v7
	s_or_b64 s[14:15], vcc, s[14:15]
	s_waitcnt vmcnt(0) lgkmcnt(0)
	v_mul_f64 v[10:11], v[200:201], v[196:197]
	v_mul_f64 v[52:53], v[198:199], v[196:197]
	v_fma_f64 v[10:11], v[198:199], v[194:195], -v[10:11]
	v_fmac_f64_e32 v[52:53], v[200:201], v[194:195]
	v_add_f64 v[2:3], v[2:3], v[10:11]
	v_add_f64 v[4:5], v[4:5], v[52:53]
	s_andn2_b64 exec, exec, s[14:15]
	s_cbranch_execnz .LBB60_872
; %bb.873:
	s_or_b64 exec, exec, s[14:15]
.LBB60_874:
	s_or_b64 exec, exec, s[12:13]
	v_mov_b32_e32 v6, 0
	ds_read_b128 v[192:195], v6 offset:96
	s_waitcnt lgkmcnt(0)
	v_mul_f64 v[6:7], v[4:5], v[194:195]
	v_mul_f64 v[196:197], v[2:3], v[194:195]
	v_fma_f64 v[194:195], v[2:3], v[192:193], -v[6:7]
	v_fmac_f64_e32 v[196:197], v[4:5], v[192:193]
	scratch_store_dwordx4 off, v[194:197], off offset:96
.LBB60_875:
	s_or_b64 exec, exec, s[8:9]
	scratch_load_dwordx4 v[2:5], v185, off
	v_cmp_gt_u32_e64 s[8:9], 7, v0
	s_waitcnt vmcnt(0)
	ds_write_b128 v9, v[2:5]
	s_waitcnt lgkmcnt(0)
	; wave barrier
	s_waitcnt lgkmcnt(0)
	s_and_saveexec_b64 s[12:13], s[8:9]
	s_cbranch_execz .LBB60_883
; %bb.876:
	ds_read_b128 v[2:5], v9
	s_and_b64 vcc, exec, s[0:1]
	s_cbranch_vccnz .LBB60_878
; %bb.877:
	scratch_load_dwordx4 v[192:195], v8, off
	s_waitcnt vmcnt(0) lgkmcnt(0)
	v_mul_f64 v[10:11], v[2:3], v[194:195]
	v_mul_f64 v[6:7], v[4:5], v[194:195]
	v_fmac_f64_e32 v[10:11], v[4:5], v[192:193]
	v_fma_f64 v[2:3], v[2:3], v[192:193], -v[6:7]
	v_mov_b64_e32 v[4:5], v[10:11]
.LBB60_878:
	v_cmp_ne_u32_e32 vcc, 6, v0
	s_and_saveexec_b64 s[14:15], vcc
	s_cbranch_execz .LBB60_882
; %bb.879:
	v_mov_b32_e32 v7, 0
	v_add_u32_e32 v6, 0x3e0, v72
	v_add3_u32 v7, v72, v7, 24
	s_mov_b64 s[16:17], 0
	v_mov_b32_e32 v192, v0
.LBB60_880:                             ; =>This Inner Loop Header: Depth=1
	v_add_u32_e32 v10, -8, v7
	scratch_load_dwordx4 v[194:197], v10, off
	ds_read_b128 v[198:201], v6
	v_add_u32_e32 v192, 1, v192
	v_cmp_lt_u32_e32 vcc, 5, v192
	v_add_u32_e32 v6, 16, v6
	v_add_u32_e32 v7, 16, v7
	s_or_b64 s[16:17], vcc, s[16:17]
	s_waitcnt vmcnt(0) lgkmcnt(0)
	v_mul_f64 v[10:11], v[200:201], v[196:197]
	v_mul_f64 v[52:53], v[198:199], v[196:197]
	v_fma_f64 v[10:11], v[198:199], v[194:195], -v[10:11]
	v_fmac_f64_e32 v[52:53], v[200:201], v[194:195]
	v_add_f64 v[2:3], v[2:3], v[10:11]
	v_add_f64 v[4:5], v[4:5], v[52:53]
	s_andn2_b64 exec, exec, s[16:17]
	s_cbranch_execnz .LBB60_880
; %bb.881:
	s_or_b64 exec, exec, s[16:17]
.LBB60_882:
	s_or_b64 exec, exec, s[14:15]
	v_mov_b32_e32 v6, 0
	ds_read_b128 v[192:195], v6 offset:112
	s_waitcnt lgkmcnt(0)
	v_mul_f64 v[6:7], v[4:5], v[194:195]
	v_mul_f64 v[196:197], v[2:3], v[194:195]
	v_fma_f64 v[194:195], v[2:3], v[192:193], -v[6:7]
	v_fmac_f64_e32 v[196:197], v[4:5], v[192:193]
	scratch_store_dwordx4 off, v[194:197], off offset:112
.LBB60_883:
	s_or_b64 exec, exec, s[12:13]
	scratch_load_dwordx4 v[2:5], v184, off
	v_cmp_gt_u32_e32 vcc, 8, v0
	s_waitcnt vmcnt(0)
	ds_write_b128 v9, v[2:5]
	s_waitcnt lgkmcnt(0)
	; wave barrier
	s_waitcnt lgkmcnt(0)
	s_and_saveexec_b64 s[12:13], vcc
	s_cbranch_execz .LBB60_891
; %bb.884:
	ds_read_b128 v[2:5], v9
	s_and_b64 vcc, exec, s[0:1]
	s_cbranch_vccnz .LBB60_886
; %bb.885:
	scratch_load_dwordx4 v[192:195], v8, off
	s_waitcnt vmcnt(0) lgkmcnt(0)
	v_mul_f64 v[10:11], v[2:3], v[194:195]
	v_mul_f64 v[6:7], v[4:5], v[194:195]
	v_fmac_f64_e32 v[10:11], v[4:5], v[192:193]
	v_fma_f64 v[2:3], v[2:3], v[192:193], -v[6:7]
	v_mov_b64_e32 v[4:5], v[10:11]
.LBB60_886:
	v_cmp_ne_u32_e32 vcc, 7, v0
	s_and_saveexec_b64 s[14:15], vcc
	s_cbranch_execz .LBB60_890
; %bb.887:
	v_mov_b32_e32 v7, 0
	v_add_u32_e32 v6, 0x3e0, v72
	v_add3_u32 v7, v72, v7, 24
	s_mov_b64 s[16:17], 0
	v_mov_b32_e32 v192, v0
.LBB60_888:                             ; =>This Inner Loop Header: Depth=1
	v_add_u32_e32 v10, -8, v7
	scratch_load_dwordx4 v[194:197], v10, off
	ds_read_b128 v[198:201], v6
	v_add_u32_e32 v192, 1, v192
	v_cmp_lt_u32_e32 vcc, 6, v192
	v_add_u32_e32 v6, 16, v6
	v_add_u32_e32 v7, 16, v7
	s_or_b64 s[16:17], vcc, s[16:17]
	s_waitcnt vmcnt(0) lgkmcnt(0)
	v_mul_f64 v[10:11], v[200:201], v[196:197]
	v_mul_f64 v[52:53], v[198:199], v[196:197]
	v_fma_f64 v[10:11], v[198:199], v[194:195], -v[10:11]
	v_fmac_f64_e32 v[52:53], v[200:201], v[194:195]
	v_add_f64 v[2:3], v[2:3], v[10:11]
	v_add_f64 v[4:5], v[4:5], v[52:53]
	s_andn2_b64 exec, exec, s[16:17]
	s_cbranch_execnz .LBB60_888
; %bb.889:
	s_or_b64 exec, exec, s[16:17]
.LBB60_890:
	s_or_b64 exec, exec, s[14:15]
	v_mov_b32_e32 v6, 0
	ds_read_b128 v[192:195], v6 offset:128
	s_waitcnt lgkmcnt(0)
	v_mul_f64 v[6:7], v[4:5], v[194:195]
	v_mul_f64 v[196:197], v[2:3], v[194:195]
	v_fma_f64 v[194:195], v[2:3], v[192:193], -v[6:7]
	v_fmac_f64_e32 v[196:197], v[4:5], v[192:193]
	scratch_store_dwordx4 off, v[194:197], off offset:128
.LBB60_891:
	s_or_b64 exec, exec, s[12:13]
	scratch_load_dwordx4 v[2:5], v183, off
	v_cmp_gt_u32_e32 vcc, 9, v0
	s_waitcnt vmcnt(0)
	ds_write_b128 v9, v[2:5]
	s_waitcnt lgkmcnt(0)
	; wave barrier
	s_waitcnt lgkmcnt(0)
	s_and_saveexec_b64 s[12:13], vcc
	s_cbranch_execz .LBB60_911
; %bb.892:
	ds_read_b128 v[2:5], v9
	s_and_b64 vcc, exec, s[0:1]
	s_cbranch_vccnz .LBB60_894
; %bb.893:
	scratch_load_dwordx4 v[192:195], v8, off
	s_waitcnt vmcnt(0) lgkmcnt(0)
	v_mul_f64 v[10:11], v[2:3], v[194:195]
	v_mul_f64 v[6:7], v[4:5], v[194:195]
	v_fmac_f64_e32 v[10:11], v[4:5], v[192:193]
	v_fma_f64 v[2:3], v[2:3], v[192:193], -v[6:7]
	v_mov_b64_e32 v[4:5], v[10:11]
.LBB60_894:
	v_cmp_ne_u32_e32 vcc, 8, v0
	s_and_saveexec_b64 s[14:15], vcc
	s_cbranch_execz .LBB60_910
; %bb.895:
	scratch_load_dwordx4 v[192:195], v8, off offset:16
	ds_read_b128 v[196:199], v9 offset:16
	s_waitcnt vmcnt(0) lgkmcnt(0)
	v_mul_f64 v[6:7], v[198:199], v[194:195]
	v_mul_f64 v[10:11], v[196:197], v[194:195]
	v_fma_f64 v[6:7], v[196:197], v[192:193], -v[6:7]
	v_fmac_f64_e32 v[10:11], v[198:199], v[192:193]
	v_add_f64 v[2:3], v[2:3], v[6:7]
	v_add_f64 v[4:5], v[4:5], v[10:11]
	s_and_saveexec_b64 s[16:17], s[8:9]
	s_cbranch_execz .LBB60_909
; %bb.896:
	scratch_load_dwordx4 v[192:195], v8, off offset:32
	ds_read_b128 v[196:199], v9 offset:32
	v_cmp_ne_u32_e32 vcc, 6, v0
	s_waitcnt vmcnt(0) lgkmcnt(0)
	v_mul_f64 v[6:7], v[198:199], v[194:195]
	v_mul_f64 v[10:11], v[196:197], v[194:195]
	v_fma_f64 v[6:7], v[196:197], v[192:193], -v[6:7]
	v_fmac_f64_e32 v[10:11], v[198:199], v[192:193]
	v_add_f64 v[2:3], v[2:3], v[6:7]
	v_add_f64 v[4:5], v[4:5], v[10:11]
	s_and_saveexec_b64 s[8:9], vcc
	s_cbranch_execz .LBB60_908
; %bb.897:
	scratch_load_dwordx4 v[192:195], v8, off offset:48
	ds_read_b128 v[196:199], v9 offset:48
	s_waitcnt vmcnt(0) lgkmcnt(0)
	v_mul_f64 v[6:7], v[198:199], v[194:195]
	v_mul_f64 v[10:11], v[196:197], v[194:195]
	v_fma_f64 v[6:7], v[196:197], v[192:193], -v[6:7]
	v_fmac_f64_e32 v[10:11], v[198:199], v[192:193]
	v_add_f64 v[2:3], v[2:3], v[6:7]
	v_add_f64 v[4:5], v[4:5], v[10:11]
	s_and_saveexec_b64 s[18:19], s[6:7]
	s_cbranch_execz .LBB60_907
; %bb.898:
	scratch_load_dwordx4 v[192:195], v8, off offset:64
	ds_read_b128 v[196:199], v9 offset:64
	v_cmp_ne_u32_e32 vcc, 4, v0
	s_waitcnt vmcnt(0) lgkmcnt(0)
	v_mul_f64 v[6:7], v[198:199], v[194:195]
	v_mul_f64 v[10:11], v[196:197], v[194:195]
	v_fma_f64 v[6:7], v[196:197], v[192:193], -v[6:7]
	v_fmac_f64_e32 v[10:11], v[198:199], v[192:193]
	v_add_f64 v[2:3], v[2:3], v[6:7]
	v_add_f64 v[4:5], v[4:5], v[10:11]
	;; [unrolled: 25-line block ×3, first 2 shown]
	s_and_saveexec_b64 s[4:5], vcc
	s_cbranch_execz .LBB60_904
; %bb.901:
	scratch_load_dwordx4 v[192:195], v8, off offset:112
	ds_read_b128 v[196:199], v9 offset:112
	s_waitcnt vmcnt(0) lgkmcnt(0)
	v_mul_f64 v[6:7], v[198:199], v[194:195]
	v_mul_f64 v[10:11], v[196:197], v[194:195]
	v_fma_f64 v[6:7], v[196:197], v[192:193], -v[6:7]
	v_fmac_f64_e32 v[10:11], v[198:199], v[192:193]
	v_add_f64 v[2:3], v[2:3], v[6:7]
	v_add_f64 v[4:5], v[4:5], v[10:11]
	s_and_saveexec_b64 s[22:23], s[2:3]
	s_cbranch_execz .LBB60_903
; %bb.902:
	scratch_load_dwordx4 v[192:195], v8, off offset:128
	ds_read_b128 v[196:199], v9 offset:128
	s_waitcnt vmcnt(0) lgkmcnt(0)
	v_mul_f64 v[6:7], v[198:199], v[194:195]
	v_mul_f64 v[10:11], v[196:197], v[194:195]
	v_fma_f64 v[6:7], v[196:197], v[192:193], -v[6:7]
	v_fmac_f64_e32 v[10:11], v[198:199], v[192:193]
	v_add_f64 v[2:3], v[2:3], v[6:7]
	v_add_f64 v[4:5], v[4:5], v[10:11]
.LBB60_903:
	s_or_b64 exec, exec, s[22:23]
.LBB60_904:
	s_or_b64 exec, exec, s[4:5]
.LBB60_905:
	s_or_b64 exec, exec, s[20:21]
.LBB60_906:
	s_or_b64 exec, exec, s[6:7]
.LBB60_907:
	s_or_b64 exec, exec, s[18:19]
.LBB60_908:
	s_or_b64 exec, exec, s[8:9]
.LBB60_909:
	s_or_b64 exec, exec, s[16:17]
.LBB60_910:
	s_or_b64 exec, exec, s[14:15]
	v_mov_b32_e32 v6, 0
	ds_read_b128 v[192:195], v6 offset:144
	s_waitcnt lgkmcnt(0)
	v_mul_f64 v[6:7], v[4:5], v[194:195]
	v_mul_f64 v[196:197], v[2:3], v[194:195]
	v_fma_f64 v[194:195], v[2:3], v[192:193], -v[6:7]
	v_fmac_f64_e32 v[196:197], v[4:5], v[192:193]
	scratch_store_dwordx4 off, v[194:197], off offset:144
.LBB60_911:
	s_or_b64 exec, exec, s[12:13]
	scratch_load_dwordx4 v[2:5], v182, off
	v_cmp_gt_u32_e32 vcc, 10, v0
	s_waitcnt vmcnt(0)
	ds_write_b128 v9, v[2:5]
	s_waitcnt lgkmcnt(0)
	; wave barrier
	s_waitcnt lgkmcnt(0)
	s_and_saveexec_b64 s[2:3], vcc
	s_cbranch_execz .LBB60_919
; %bb.912:
	ds_read_b128 v[2:5], v9
	s_and_b64 vcc, exec, s[0:1]
	s_cbranch_vccnz .LBB60_914
; %bb.913:
	scratch_load_dwordx4 v[192:195], v8, off
	s_waitcnt vmcnt(0) lgkmcnt(0)
	v_mul_f64 v[10:11], v[2:3], v[194:195]
	v_mul_f64 v[6:7], v[4:5], v[194:195]
	v_fmac_f64_e32 v[10:11], v[4:5], v[192:193]
	v_fma_f64 v[2:3], v[2:3], v[192:193], -v[6:7]
	v_mov_b64_e32 v[4:5], v[10:11]
.LBB60_914:
	v_cmp_ne_u32_e32 vcc, 9, v0
	s_and_saveexec_b64 s[4:5], vcc
	s_cbranch_execz .LBB60_918
; %bb.915:
	v_mov_b32_e32 v7, 0
	v_add_u32_e32 v6, 0x3e0, v72
	v_add3_u32 v7, v72, v7, 24
	s_mov_b64 s[6:7], 0
	v_mov_b32_e32 v192, v0
.LBB60_916:                             ; =>This Inner Loop Header: Depth=1
	v_add_u32_e32 v10, -8, v7
	scratch_load_dwordx4 v[194:197], v10, off
	ds_read_b128 v[198:201], v6
	v_add_u32_e32 v192, 1, v192
	v_cmp_lt_u32_e32 vcc, 8, v192
	v_add_u32_e32 v6, 16, v6
	v_add_u32_e32 v7, 16, v7
	s_or_b64 s[6:7], vcc, s[6:7]
	s_waitcnt vmcnt(0) lgkmcnt(0)
	v_mul_f64 v[10:11], v[200:201], v[196:197]
	v_mul_f64 v[52:53], v[198:199], v[196:197]
	v_fma_f64 v[10:11], v[198:199], v[194:195], -v[10:11]
	v_fmac_f64_e32 v[52:53], v[200:201], v[194:195]
	v_add_f64 v[2:3], v[2:3], v[10:11]
	v_add_f64 v[4:5], v[4:5], v[52:53]
	s_andn2_b64 exec, exec, s[6:7]
	s_cbranch_execnz .LBB60_916
; %bb.917:
	s_or_b64 exec, exec, s[6:7]
.LBB60_918:
	s_or_b64 exec, exec, s[4:5]
	v_mov_b32_e32 v6, 0
	ds_read_b128 v[192:195], v6 offset:160
	s_waitcnt lgkmcnt(0)
	v_mul_f64 v[6:7], v[4:5], v[194:195]
	v_mul_f64 v[196:197], v[2:3], v[194:195]
	v_fma_f64 v[194:195], v[2:3], v[192:193], -v[6:7]
	v_fmac_f64_e32 v[196:197], v[4:5], v[192:193]
	scratch_store_dwordx4 off, v[194:197], off offset:160
.LBB60_919:
	s_or_b64 exec, exec, s[2:3]
	scratch_load_dwordx4 v[2:5], v181, off
	v_cmp_gt_u32_e32 vcc, 11, v0
	s_waitcnt vmcnt(0)
	ds_write_b128 v9, v[2:5]
	s_waitcnt lgkmcnt(0)
	; wave barrier
	s_waitcnt lgkmcnt(0)
	s_and_saveexec_b64 s[2:3], vcc
	s_cbranch_execz .LBB60_927
; %bb.920:
	ds_read_b128 v[2:5], v9
	s_and_b64 vcc, exec, s[0:1]
	s_cbranch_vccnz .LBB60_922
; %bb.921:
	scratch_load_dwordx4 v[192:195], v8, off
	s_waitcnt vmcnt(0) lgkmcnt(0)
	v_mul_f64 v[10:11], v[2:3], v[194:195]
	v_mul_f64 v[6:7], v[4:5], v[194:195]
	v_fmac_f64_e32 v[10:11], v[4:5], v[192:193]
	v_fma_f64 v[2:3], v[2:3], v[192:193], -v[6:7]
	v_mov_b64_e32 v[4:5], v[10:11]
.LBB60_922:
	v_cmp_ne_u32_e32 vcc, 10, v0
	s_and_saveexec_b64 s[4:5], vcc
	s_cbranch_execz .LBB60_926
; %bb.923:
	v_mov_b32_e32 v7, 0
	v_add_u32_e32 v6, 0x3e0, v72
	v_add3_u32 v7, v72, v7, 24
	s_mov_b64 s[6:7], 0
	v_mov_b32_e32 v192, v0
.LBB60_924:                             ; =>This Inner Loop Header: Depth=1
	v_add_u32_e32 v10, -8, v7
	scratch_load_dwordx4 v[194:197], v10, off
	ds_read_b128 v[198:201], v6
	v_add_u32_e32 v192, 1, v192
	v_cmp_lt_u32_e32 vcc, 9, v192
	v_add_u32_e32 v6, 16, v6
	v_add_u32_e32 v7, 16, v7
	s_or_b64 s[6:7], vcc, s[6:7]
	s_waitcnt vmcnt(0) lgkmcnt(0)
	v_mul_f64 v[10:11], v[200:201], v[196:197]
	v_mul_f64 v[52:53], v[198:199], v[196:197]
	v_fma_f64 v[10:11], v[198:199], v[194:195], -v[10:11]
	v_fmac_f64_e32 v[52:53], v[200:201], v[194:195]
	v_add_f64 v[2:3], v[2:3], v[10:11]
	v_add_f64 v[4:5], v[4:5], v[52:53]
	s_andn2_b64 exec, exec, s[6:7]
	s_cbranch_execnz .LBB60_924
; %bb.925:
	s_or_b64 exec, exec, s[6:7]
.LBB60_926:
	s_or_b64 exec, exec, s[4:5]
	v_mov_b32_e32 v6, 0
	ds_read_b128 v[192:195], v6 offset:176
	s_waitcnt lgkmcnt(0)
	v_mul_f64 v[6:7], v[4:5], v[194:195]
	v_mul_f64 v[196:197], v[2:3], v[194:195]
	v_fma_f64 v[194:195], v[2:3], v[192:193], -v[6:7]
	v_fmac_f64_e32 v[196:197], v[4:5], v[192:193]
	scratch_store_dwordx4 off, v[194:197], off offset:176
.LBB60_927:
	s_or_b64 exec, exec, s[2:3]
	scratch_load_dwordx4 v[2:5], v180, off
	v_cmp_gt_u32_e32 vcc, 12, v0
	s_waitcnt vmcnt(0)
	ds_write_b128 v9, v[2:5]
	s_waitcnt lgkmcnt(0)
	; wave barrier
	s_waitcnt lgkmcnt(0)
	s_and_saveexec_b64 s[2:3], vcc
	s_cbranch_execz .LBB60_935
; %bb.928:
	ds_read_b128 v[2:5], v9
	s_and_b64 vcc, exec, s[0:1]
	s_cbranch_vccnz .LBB60_930
; %bb.929:
	scratch_load_dwordx4 v[192:195], v8, off
	s_waitcnt vmcnt(0) lgkmcnt(0)
	v_mul_f64 v[10:11], v[2:3], v[194:195]
	v_mul_f64 v[6:7], v[4:5], v[194:195]
	v_fmac_f64_e32 v[10:11], v[4:5], v[192:193]
	v_fma_f64 v[2:3], v[2:3], v[192:193], -v[6:7]
	v_mov_b64_e32 v[4:5], v[10:11]
.LBB60_930:
	v_cmp_ne_u32_e32 vcc, 11, v0
	s_and_saveexec_b64 s[4:5], vcc
	s_cbranch_execz .LBB60_934
; %bb.931:
	v_mov_b32_e32 v7, 0
	v_add_u32_e32 v6, 0x3e0, v72
	v_add3_u32 v7, v72, v7, 24
	s_mov_b64 s[6:7], 0
	v_mov_b32_e32 v192, v0
.LBB60_932:                             ; =>This Inner Loop Header: Depth=1
	v_add_u32_e32 v10, -8, v7
	scratch_load_dwordx4 v[194:197], v10, off
	ds_read_b128 v[198:201], v6
	v_add_u32_e32 v192, 1, v192
	v_cmp_lt_u32_e32 vcc, 10, v192
	v_add_u32_e32 v6, 16, v6
	v_add_u32_e32 v7, 16, v7
	s_or_b64 s[6:7], vcc, s[6:7]
	s_waitcnt vmcnt(0) lgkmcnt(0)
	v_mul_f64 v[10:11], v[200:201], v[196:197]
	v_mul_f64 v[52:53], v[198:199], v[196:197]
	v_fma_f64 v[10:11], v[198:199], v[194:195], -v[10:11]
	v_fmac_f64_e32 v[52:53], v[200:201], v[194:195]
	v_add_f64 v[2:3], v[2:3], v[10:11]
	v_add_f64 v[4:5], v[4:5], v[52:53]
	s_andn2_b64 exec, exec, s[6:7]
	s_cbranch_execnz .LBB60_932
; %bb.933:
	s_or_b64 exec, exec, s[6:7]
.LBB60_934:
	s_or_b64 exec, exec, s[4:5]
	v_mov_b32_e32 v6, 0
	ds_read_b128 v[192:195], v6 offset:192
	s_waitcnt lgkmcnt(0)
	v_mul_f64 v[6:7], v[4:5], v[194:195]
	v_mul_f64 v[196:197], v[2:3], v[194:195]
	v_fma_f64 v[194:195], v[2:3], v[192:193], -v[6:7]
	v_fmac_f64_e32 v[196:197], v[4:5], v[192:193]
	scratch_store_dwordx4 off, v[194:197], off offset:192
.LBB60_935:
	s_or_b64 exec, exec, s[2:3]
	scratch_load_dwordx4 v[2:5], v179, off
	v_cmp_gt_u32_e32 vcc, 13, v0
	s_waitcnt vmcnt(0)
	ds_write_b128 v9, v[2:5]
	s_waitcnt lgkmcnt(0)
	; wave barrier
	s_waitcnt lgkmcnt(0)
	s_and_saveexec_b64 s[2:3], vcc
	s_cbranch_execz .LBB60_943
; %bb.936:
	ds_read_b128 v[2:5], v9
	s_and_b64 vcc, exec, s[0:1]
	s_cbranch_vccnz .LBB60_938
; %bb.937:
	scratch_load_dwordx4 v[192:195], v8, off
	s_waitcnt vmcnt(0) lgkmcnt(0)
	v_mul_f64 v[10:11], v[2:3], v[194:195]
	v_mul_f64 v[6:7], v[4:5], v[194:195]
	v_fmac_f64_e32 v[10:11], v[4:5], v[192:193]
	v_fma_f64 v[2:3], v[2:3], v[192:193], -v[6:7]
	v_mov_b64_e32 v[4:5], v[10:11]
.LBB60_938:
	v_cmp_ne_u32_e32 vcc, 12, v0
	s_and_saveexec_b64 s[4:5], vcc
	s_cbranch_execz .LBB60_942
; %bb.939:
	v_mov_b32_e32 v7, 0
	v_add_u32_e32 v6, 0x3e0, v72
	v_add3_u32 v7, v72, v7, 24
	s_mov_b64 s[6:7], 0
	v_mov_b32_e32 v192, v0
.LBB60_940:                             ; =>This Inner Loop Header: Depth=1
	v_add_u32_e32 v10, -8, v7
	scratch_load_dwordx4 v[194:197], v10, off
	ds_read_b128 v[198:201], v6
	v_add_u32_e32 v192, 1, v192
	v_cmp_lt_u32_e32 vcc, 11, v192
	v_add_u32_e32 v6, 16, v6
	v_add_u32_e32 v7, 16, v7
	s_or_b64 s[6:7], vcc, s[6:7]
	s_waitcnt vmcnt(0) lgkmcnt(0)
	v_mul_f64 v[10:11], v[200:201], v[196:197]
	v_mul_f64 v[52:53], v[198:199], v[196:197]
	v_fma_f64 v[10:11], v[198:199], v[194:195], -v[10:11]
	v_fmac_f64_e32 v[52:53], v[200:201], v[194:195]
	v_add_f64 v[2:3], v[2:3], v[10:11]
	v_add_f64 v[4:5], v[4:5], v[52:53]
	s_andn2_b64 exec, exec, s[6:7]
	s_cbranch_execnz .LBB60_940
; %bb.941:
	s_or_b64 exec, exec, s[6:7]
.LBB60_942:
	s_or_b64 exec, exec, s[4:5]
	v_mov_b32_e32 v6, 0
	ds_read_b128 v[192:195], v6 offset:208
	s_waitcnt lgkmcnt(0)
	v_mul_f64 v[6:7], v[4:5], v[194:195]
	v_mul_f64 v[196:197], v[2:3], v[194:195]
	v_fma_f64 v[194:195], v[2:3], v[192:193], -v[6:7]
	v_fmac_f64_e32 v[196:197], v[4:5], v[192:193]
	scratch_store_dwordx4 off, v[194:197], off offset:208
.LBB60_943:
	s_or_b64 exec, exec, s[2:3]
	scratch_load_dwordx4 v[2:5], v178, off
	v_cmp_gt_u32_e32 vcc, 14, v0
	s_waitcnt vmcnt(0)
	ds_write_b128 v9, v[2:5]
	s_waitcnt lgkmcnt(0)
	; wave barrier
	s_waitcnt lgkmcnt(0)
	s_and_saveexec_b64 s[2:3], vcc
	s_cbranch_execz .LBB60_951
; %bb.944:
	ds_read_b128 v[2:5], v9
	s_and_b64 vcc, exec, s[0:1]
	s_cbranch_vccnz .LBB60_946
; %bb.945:
	scratch_load_dwordx4 v[192:195], v8, off
	s_waitcnt vmcnt(0) lgkmcnt(0)
	v_mul_f64 v[10:11], v[2:3], v[194:195]
	v_mul_f64 v[6:7], v[4:5], v[194:195]
	v_fmac_f64_e32 v[10:11], v[4:5], v[192:193]
	v_fma_f64 v[2:3], v[2:3], v[192:193], -v[6:7]
	v_mov_b64_e32 v[4:5], v[10:11]
.LBB60_946:
	v_cmp_ne_u32_e32 vcc, 13, v0
	s_and_saveexec_b64 s[4:5], vcc
	s_cbranch_execz .LBB60_950
; %bb.947:
	v_mov_b32_e32 v7, 0
	v_add_u32_e32 v6, 0x3e0, v72
	v_add3_u32 v7, v72, v7, 24
	s_mov_b64 s[6:7], 0
	v_mov_b32_e32 v192, v0
.LBB60_948:                             ; =>This Inner Loop Header: Depth=1
	v_add_u32_e32 v10, -8, v7
	scratch_load_dwordx4 v[194:197], v10, off
	ds_read_b128 v[198:201], v6
	v_add_u32_e32 v192, 1, v192
	v_cmp_lt_u32_e32 vcc, 12, v192
	v_add_u32_e32 v6, 16, v6
	v_add_u32_e32 v7, 16, v7
	s_or_b64 s[6:7], vcc, s[6:7]
	s_waitcnt vmcnt(0) lgkmcnt(0)
	v_mul_f64 v[10:11], v[200:201], v[196:197]
	v_mul_f64 v[52:53], v[198:199], v[196:197]
	v_fma_f64 v[10:11], v[198:199], v[194:195], -v[10:11]
	v_fmac_f64_e32 v[52:53], v[200:201], v[194:195]
	v_add_f64 v[2:3], v[2:3], v[10:11]
	v_add_f64 v[4:5], v[4:5], v[52:53]
	s_andn2_b64 exec, exec, s[6:7]
	s_cbranch_execnz .LBB60_948
; %bb.949:
	s_or_b64 exec, exec, s[6:7]
.LBB60_950:
	s_or_b64 exec, exec, s[4:5]
	v_mov_b32_e32 v6, 0
	ds_read_b128 v[192:195], v6 offset:224
	s_waitcnt lgkmcnt(0)
	v_mul_f64 v[6:7], v[4:5], v[194:195]
	v_mul_f64 v[196:197], v[2:3], v[194:195]
	v_fma_f64 v[194:195], v[2:3], v[192:193], -v[6:7]
	v_fmac_f64_e32 v[196:197], v[4:5], v[192:193]
	scratch_store_dwordx4 off, v[194:197], off offset:224
.LBB60_951:
	s_or_b64 exec, exec, s[2:3]
	scratch_load_dwordx4 v[2:5], v177, off
	v_cmp_gt_u32_e32 vcc, 15, v0
	s_waitcnt vmcnt(0)
	ds_write_b128 v9, v[2:5]
	s_waitcnt lgkmcnt(0)
	; wave barrier
	s_waitcnt lgkmcnt(0)
	s_and_saveexec_b64 s[2:3], vcc
	s_cbranch_execz .LBB60_959
; %bb.952:
	ds_read_b128 v[2:5], v9
	s_and_b64 vcc, exec, s[0:1]
	s_cbranch_vccnz .LBB60_954
; %bb.953:
	scratch_load_dwordx4 v[192:195], v8, off
	s_waitcnt vmcnt(0) lgkmcnt(0)
	v_mul_f64 v[10:11], v[2:3], v[194:195]
	v_mul_f64 v[6:7], v[4:5], v[194:195]
	v_fmac_f64_e32 v[10:11], v[4:5], v[192:193]
	v_fma_f64 v[2:3], v[2:3], v[192:193], -v[6:7]
	v_mov_b64_e32 v[4:5], v[10:11]
.LBB60_954:
	v_cmp_ne_u32_e32 vcc, 14, v0
	s_and_saveexec_b64 s[4:5], vcc
	s_cbranch_execz .LBB60_958
; %bb.955:
	v_mov_b32_e32 v7, 0
	v_add_u32_e32 v6, 0x3e0, v72
	v_add3_u32 v7, v72, v7, 24
	s_mov_b64 s[6:7], 0
	v_mov_b32_e32 v192, v0
.LBB60_956:                             ; =>This Inner Loop Header: Depth=1
	v_add_u32_e32 v10, -8, v7
	scratch_load_dwordx4 v[194:197], v10, off
	ds_read_b128 v[198:201], v6
	v_add_u32_e32 v192, 1, v192
	v_cmp_lt_u32_e32 vcc, 13, v192
	v_add_u32_e32 v6, 16, v6
	v_add_u32_e32 v7, 16, v7
	s_or_b64 s[6:7], vcc, s[6:7]
	s_waitcnt vmcnt(0) lgkmcnt(0)
	v_mul_f64 v[10:11], v[200:201], v[196:197]
	v_mul_f64 v[52:53], v[198:199], v[196:197]
	v_fma_f64 v[10:11], v[198:199], v[194:195], -v[10:11]
	v_fmac_f64_e32 v[52:53], v[200:201], v[194:195]
	v_add_f64 v[2:3], v[2:3], v[10:11]
	v_add_f64 v[4:5], v[4:5], v[52:53]
	s_andn2_b64 exec, exec, s[6:7]
	s_cbranch_execnz .LBB60_956
; %bb.957:
	s_or_b64 exec, exec, s[6:7]
.LBB60_958:
	s_or_b64 exec, exec, s[4:5]
	v_mov_b32_e32 v6, 0
	ds_read_b128 v[192:195], v6 offset:240
	s_waitcnt lgkmcnt(0)
	v_mul_f64 v[6:7], v[4:5], v[194:195]
	v_mul_f64 v[196:197], v[2:3], v[194:195]
	v_fma_f64 v[194:195], v[2:3], v[192:193], -v[6:7]
	v_fmac_f64_e32 v[196:197], v[4:5], v[192:193]
	scratch_store_dwordx4 off, v[194:197], off offset:240
.LBB60_959:
	s_or_b64 exec, exec, s[2:3]
	scratch_load_dwordx4 v[2:5], v176, off
	v_cmp_gt_u32_e32 vcc, 16, v0
	s_waitcnt vmcnt(0)
	ds_write_b128 v9, v[2:5]
	s_waitcnt lgkmcnt(0)
	; wave barrier
	s_waitcnt lgkmcnt(0)
	s_and_saveexec_b64 s[2:3], vcc
	s_cbranch_execz .LBB60_967
; %bb.960:
	ds_read_b128 v[2:5], v9
	s_and_b64 vcc, exec, s[0:1]
	s_cbranch_vccnz .LBB60_962
; %bb.961:
	scratch_load_dwordx4 v[192:195], v8, off
	s_waitcnt vmcnt(0) lgkmcnt(0)
	v_mul_f64 v[10:11], v[2:3], v[194:195]
	v_mul_f64 v[6:7], v[4:5], v[194:195]
	v_fmac_f64_e32 v[10:11], v[4:5], v[192:193]
	v_fma_f64 v[2:3], v[2:3], v[192:193], -v[6:7]
	v_mov_b64_e32 v[4:5], v[10:11]
.LBB60_962:
	v_cmp_ne_u32_e32 vcc, 15, v0
	s_and_saveexec_b64 s[4:5], vcc
	s_cbranch_execz .LBB60_966
; %bb.963:
	v_mov_b32_e32 v7, 0
	v_add_u32_e32 v6, 0x3e0, v72
	v_add3_u32 v7, v72, v7, 24
	s_mov_b64 s[6:7], 0
	v_mov_b32_e32 v192, v0
.LBB60_964:                             ; =>This Inner Loop Header: Depth=1
	v_add_u32_e32 v10, -8, v7
	scratch_load_dwordx4 v[194:197], v10, off
	ds_read_b128 v[198:201], v6
	v_add_u32_e32 v192, 1, v192
	v_cmp_lt_u32_e32 vcc, 14, v192
	v_add_u32_e32 v6, 16, v6
	v_add_u32_e32 v7, 16, v7
	s_or_b64 s[6:7], vcc, s[6:7]
	s_waitcnt vmcnt(0) lgkmcnt(0)
	v_mul_f64 v[10:11], v[200:201], v[196:197]
	v_mul_f64 v[52:53], v[198:199], v[196:197]
	v_fma_f64 v[10:11], v[198:199], v[194:195], -v[10:11]
	v_fmac_f64_e32 v[52:53], v[200:201], v[194:195]
	v_add_f64 v[2:3], v[2:3], v[10:11]
	v_add_f64 v[4:5], v[4:5], v[52:53]
	s_andn2_b64 exec, exec, s[6:7]
	s_cbranch_execnz .LBB60_964
; %bb.965:
	s_or_b64 exec, exec, s[6:7]
.LBB60_966:
	s_or_b64 exec, exec, s[4:5]
	v_mov_b32_e32 v6, 0
	ds_read_b128 v[192:195], v6 offset:256
	s_waitcnt lgkmcnt(0)
	v_mul_f64 v[6:7], v[4:5], v[194:195]
	v_mul_f64 v[196:197], v[2:3], v[194:195]
	v_fma_f64 v[194:195], v[2:3], v[192:193], -v[6:7]
	v_fmac_f64_e32 v[196:197], v[4:5], v[192:193]
	scratch_store_dwordx4 off, v[194:197], off offset:256
.LBB60_967:
	s_or_b64 exec, exec, s[2:3]
	scratch_load_dwordx4 v[2:5], v175, off
	v_cmp_gt_u32_e32 vcc, 17, v0
	s_waitcnt vmcnt(0)
	ds_write_b128 v9, v[2:5]
	s_waitcnt lgkmcnt(0)
	; wave barrier
	s_waitcnt lgkmcnt(0)
	s_and_saveexec_b64 s[2:3], vcc
	s_cbranch_execz .LBB60_975
; %bb.968:
	ds_read_b128 v[2:5], v9
	s_and_b64 vcc, exec, s[0:1]
	s_cbranch_vccnz .LBB60_970
; %bb.969:
	scratch_load_dwordx4 v[192:195], v8, off
	s_waitcnt vmcnt(0) lgkmcnt(0)
	v_mul_f64 v[10:11], v[2:3], v[194:195]
	v_mul_f64 v[6:7], v[4:5], v[194:195]
	v_fmac_f64_e32 v[10:11], v[4:5], v[192:193]
	v_fma_f64 v[2:3], v[2:3], v[192:193], -v[6:7]
	v_mov_b64_e32 v[4:5], v[10:11]
.LBB60_970:
	v_cmp_ne_u32_e32 vcc, 16, v0
	s_and_saveexec_b64 s[4:5], vcc
	s_cbranch_execz .LBB60_974
; %bb.971:
	v_mov_b32_e32 v7, 0
	v_add_u32_e32 v6, 0x3e0, v72
	v_add3_u32 v7, v72, v7, 24
	s_mov_b64 s[6:7], 0
	v_mov_b32_e32 v192, v0
.LBB60_972:                             ; =>This Inner Loop Header: Depth=1
	v_add_u32_e32 v10, -8, v7
	scratch_load_dwordx4 v[194:197], v10, off
	ds_read_b128 v[198:201], v6
	v_add_u32_e32 v192, 1, v192
	v_cmp_lt_u32_e32 vcc, 15, v192
	v_add_u32_e32 v6, 16, v6
	v_add_u32_e32 v7, 16, v7
	s_or_b64 s[6:7], vcc, s[6:7]
	s_waitcnt vmcnt(0) lgkmcnt(0)
	v_mul_f64 v[10:11], v[200:201], v[196:197]
	v_mul_f64 v[52:53], v[198:199], v[196:197]
	v_fma_f64 v[10:11], v[198:199], v[194:195], -v[10:11]
	v_fmac_f64_e32 v[52:53], v[200:201], v[194:195]
	v_add_f64 v[2:3], v[2:3], v[10:11]
	v_add_f64 v[4:5], v[4:5], v[52:53]
	s_andn2_b64 exec, exec, s[6:7]
	s_cbranch_execnz .LBB60_972
; %bb.973:
	s_or_b64 exec, exec, s[6:7]
.LBB60_974:
	s_or_b64 exec, exec, s[4:5]
	v_mov_b32_e32 v6, 0
	ds_read_b128 v[192:195], v6 offset:272
	s_waitcnt lgkmcnt(0)
	v_mul_f64 v[6:7], v[4:5], v[194:195]
	v_mul_f64 v[196:197], v[2:3], v[194:195]
	v_fma_f64 v[194:195], v[2:3], v[192:193], -v[6:7]
	v_fmac_f64_e32 v[196:197], v[4:5], v[192:193]
	scratch_store_dwordx4 off, v[194:197], off offset:272
.LBB60_975:
	s_or_b64 exec, exec, s[2:3]
	scratch_load_dwordx4 v[2:5], v174, off
	v_cmp_gt_u32_e32 vcc, 18, v0
	s_waitcnt vmcnt(0)
	ds_write_b128 v9, v[2:5]
	s_waitcnt lgkmcnt(0)
	; wave barrier
	s_waitcnt lgkmcnt(0)
	s_and_saveexec_b64 s[2:3], vcc
	s_cbranch_execz .LBB60_983
; %bb.976:
	ds_read_b128 v[2:5], v9
	s_and_b64 vcc, exec, s[0:1]
	s_cbranch_vccnz .LBB60_978
; %bb.977:
	scratch_load_dwordx4 v[192:195], v8, off
	s_waitcnt vmcnt(0) lgkmcnt(0)
	v_mul_f64 v[10:11], v[2:3], v[194:195]
	v_mul_f64 v[6:7], v[4:5], v[194:195]
	v_fmac_f64_e32 v[10:11], v[4:5], v[192:193]
	v_fma_f64 v[2:3], v[2:3], v[192:193], -v[6:7]
	v_mov_b64_e32 v[4:5], v[10:11]
.LBB60_978:
	v_cmp_ne_u32_e32 vcc, 17, v0
	s_and_saveexec_b64 s[4:5], vcc
	s_cbranch_execz .LBB60_982
; %bb.979:
	v_mov_b32_e32 v7, 0
	v_add_u32_e32 v6, 0x3e0, v72
	v_add3_u32 v7, v72, v7, 24
	s_mov_b64 s[6:7], 0
	v_mov_b32_e32 v192, v0
.LBB60_980:                             ; =>This Inner Loop Header: Depth=1
	v_add_u32_e32 v10, -8, v7
	scratch_load_dwordx4 v[194:197], v10, off
	ds_read_b128 v[198:201], v6
	v_add_u32_e32 v192, 1, v192
	v_cmp_lt_u32_e32 vcc, 16, v192
	v_add_u32_e32 v6, 16, v6
	v_add_u32_e32 v7, 16, v7
	s_or_b64 s[6:7], vcc, s[6:7]
	s_waitcnt vmcnt(0) lgkmcnt(0)
	v_mul_f64 v[10:11], v[200:201], v[196:197]
	v_mul_f64 v[52:53], v[198:199], v[196:197]
	v_fma_f64 v[10:11], v[198:199], v[194:195], -v[10:11]
	v_fmac_f64_e32 v[52:53], v[200:201], v[194:195]
	v_add_f64 v[2:3], v[2:3], v[10:11]
	v_add_f64 v[4:5], v[4:5], v[52:53]
	s_andn2_b64 exec, exec, s[6:7]
	s_cbranch_execnz .LBB60_980
; %bb.981:
	s_or_b64 exec, exec, s[6:7]
.LBB60_982:
	s_or_b64 exec, exec, s[4:5]
	v_mov_b32_e32 v6, 0
	ds_read_b128 v[192:195], v6 offset:288
	s_waitcnt lgkmcnt(0)
	v_mul_f64 v[6:7], v[4:5], v[194:195]
	v_mul_f64 v[196:197], v[2:3], v[194:195]
	v_fma_f64 v[194:195], v[2:3], v[192:193], -v[6:7]
	v_fmac_f64_e32 v[196:197], v[4:5], v[192:193]
	scratch_store_dwordx4 off, v[194:197], off offset:288
.LBB60_983:
	s_or_b64 exec, exec, s[2:3]
	scratch_load_dwordx4 v[2:5], v173, off
	v_cmp_gt_u32_e32 vcc, 19, v0
	s_waitcnt vmcnt(0)
	ds_write_b128 v9, v[2:5]
	s_waitcnt lgkmcnt(0)
	; wave barrier
	s_waitcnt lgkmcnt(0)
	s_and_saveexec_b64 s[2:3], vcc
	s_cbranch_execz .LBB60_991
; %bb.984:
	ds_read_b128 v[2:5], v9
	s_and_b64 vcc, exec, s[0:1]
	s_cbranch_vccnz .LBB60_986
; %bb.985:
	scratch_load_dwordx4 v[192:195], v8, off
	s_waitcnt vmcnt(0) lgkmcnt(0)
	v_mul_f64 v[10:11], v[2:3], v[194:195]
	v_mul_f64 v[6:7], v[4:5], v[194:195]
	v_fmac_f64_e32 v[10:11], v[4:5], v[192:193]
	v_fma_f64 v[2:3], v[2:3], v[192:193], -v[6:7]
	v_mov_b64_e32 v[4:5], v[10:11]
.LBB60_986:
	v_cmp_ne_u32_e32 vcc, 18, v0
	s_and_saveexec_b64 s[4:5], vcc
	s_cbranch_execz .LBB60_990
; %bb.987:
	v_mov_b32_e32 v7, 0
	v_add_u32_e32 v6, 0x3e0, v72
	v_add3_u32 v7, v72, v7, 24
	s_mov_b64 s[6:7], 0
	v_mov_b32_e32 v192, v0
.LBB60_988:                             ; =>This Inner Loop Header: Depth=1
	v_add_u32_e32 v10, -8, v7
	scratch_load_dwordx4 v[194:197], v10, off
	ds_read_b128 v[198:201], v6
	v_add_u32_e32 v192, 1, v192
	v_cmp_lt_u32_e32 vcc, 17, v192
	v_add_u32_e32 v6, 16, v6
	v_add_u32_e32 v7, 16, v7
	s_or_b64 s[6:7], vcc, s[6:7]
	s_waitcnt vmcnt(0) lgkmcnt(0)
	v_mul_f64 v[10:11], v[200:201], v[196:197]
	v_mul_f64 v[52:53], v[198:199], v[196:197]
	v_fma_f64 v[10:11], v[198:199], v[194:195], -v[10:11]
	v_fmac_f64_e32 v[52:53], v[200:201], v[194:195]
	v_add_f64 v[2:3], v[2:3], v[10:11]
	v_add_f64 v[4:5], v[4:5], v[52:53]
	s_andn2_b64 exec, exec, s[6:7]
	s_cbranch_execnz .LBB60_988
; %bb.989:
	s_or_b64 exec, exec, s[6:7]
.LBB60_990:
	s_or_b64 exec, exec, s[4:5]
	v_mov_b32_e32 v6, 0
	ds_read_b128 v[192:195], v6 offset:304
	s_waitcnt lgkmcnt(0)
	v_mul_f64 v[6:7], v[4:5], v[194:195]
	v_mul_f64 v[196:197], v[2:3], v[194:195]
	v_fma_f64 v[194:195], v[2:3], v[192:193], -v[6:7]
	v_fmac_f64_e32 v[196:197], v[4:5], v[192:193]
	scratch_store_dwordx4 off, v[194:197], off offset:304
.LBB60_991:
	s_or_b64 exec, exec, s[2:3]
	scratch_load_dwordx4 v[2:5], v172, off
	v_cmp_gt_u32_e32 vcc, 20, v0
	s_waitcnt vmcnt(0)
	ds_write_b128 v9, v[2:5]
	s_waitcnt lgkmcnt(0)
	; wave barrier
	s_waitcnt lgkmcnt(0)
	s_and_saveexec_b64 s[2:3], vcc
	s_cbranch_execz .LBB60_999
; %bb.992:
	ds_read_b128 v[2:5], v9
	s_and_b64 vcc, exec, s[0:1]
	s_cbranch_vccnz .LBB60_994
; %bb.993:
	scratch_load_dwordx4 v[192:195], v8, off
	s_waitcnt vmcnt(0) lgkmcnt(0)
	v_mul_f64 v[10:11], v[2:3], v[194:195]
	v_mul_f64 v[6:7], v[4:5], v[194:195]
	v_fmac_f64_e32 v[10:11], v[4:5], v[192:193]
	v_fma_f64 v[2:3], v[2:3], v[192:193], -v[6:7]
	v_mov_b64_e32 v[4:5], v[10:11]
.LBB60_994:
	v_cmp_ne_u32_e32 vcc, 19, v0
	s_and_saveexec_b64 s[4:5], vcc
	s_cbranch_execz .LBB60_998
; %bb.995:
	v_mov_b32_e32 v7, 0
	v_add_u32_e32 v6, 0x3e0, v72
	v_add3_u32 v7, v72, v7, 24
	s_mov_b64 s[6:7], 0
	v_mov_b32_e32 v192, v0
.LBB60_996:                             ; =>This Inner Loop Header: Depth=1
	v_add_u32_e32 v10, -8, v7
	scratch_load_dwordx4 v[194:197], v10, off
	ds_read_b128 v[198:201], v6
	v_add_u32_e32 v192, 1, v192
	v_cmp_lt_u32_e32 vcc, 18, v192
	v_add_u32_e32 v6, 16, v6
	v_add_u32_e32 v7, 16, v7
	s_or_b64 s[6:7], vcc, s[6:7]
	s_waitcnt vmcnt(0) lgkmcnt(0)
	v_mul_f64 v[10:11], v[200:201], v[196:197]
	v_mul_f64 v[52:53], v[198:199], v[196:197]
	v_fma_f64 v[10:11], v[198:199], v[194:195], -v[10:11]
	v_fmac_f64_e32 v[52:53], v[200:201], v[194:195]
	v_add_f64 v[2:3], v[2:3], v[10:11]
	v_add_f64 v[4:5], v[4:5], v[52:53]
	s_andn2_b64 exec, exec, s[6:7]
	s_cbranch_execnz .LBB60_996
; %bb.997:
	s_or_b64 exec, exec, s[6:7]
.LBB60_998:
	s_or_b64 exec, exec, s[4:5]
	v_mov_b32_e32 v6, 0
	ds_read_b128 v[192:195], v6 offset:320
	s_waitcnt lgkmcnt(0)
	v_mul_f64 v[6:7], v[4:5], v[194:195]
	v_mul_f64 v[196:197], v[2:3], v[194:195]
	v_fma_f64 v[194:195], v[2:3], v[192:193], -v[6:7]
	v_fmac_f64_e32 v[196:197], v[4:5], v[192:193]
	scratch_store_dwordx4 off, v[194:197], off offset:320
.LBB60_999:
	s_or_b64 exec, exec, s[2:3]
	scratch_load_dwordx4 v[2:5], v171, off
	v_cmp_gt_u32_e32 vcc, 21, v0
	s_waitcnt vmcnt(0)
	ds_write_b128 v9, v[2:5]
	s_waitcnt lgkmcnt(0)
	; wave barrier
	s_waitcnt lgkmcnt(0)
	s_and_saveexec_b64 s[2:3], vcc
	s_cbranch_execz .LBB60_1007
; %bb.1000:
	ds_read_b128 v[2:5], v9
	s_and_b64 vcc, exec, s[0:1]
	s_cbranch_vccnz .LBB60_1002
; %bb.1001:
	scratch_load_dwordx4 v[192:195], v8, off
	s_waitcnt vmcnt(0) lgkmcnt(0)
	v_mul_f64 v[10:11], v[2:3], v[194:195]
	v_mul_f64 v[6:7], v[4:5], v[194:195]
	v_fmac_f64_e32 v[10:11], v[4:5], v[192:193]
	v_fma_f64 v[2:3], v[2:3], v[192:193], -v[6:7]
	v_mov_b64_e32 v[4:5], v[10:11]
.LBB60_1002:
	v_cmp_ne_u32_e32 vcc, 20, v0
	s_and_saveexec_b64 s[4:5], vcc
	s_cbranch_execz .LBB60_1006
; %bb.1003:
	v_mov_b32_e32 v7, 0
	v_add_u32_e32 v6, 0x3e0, v72
	v_add3_u32 v7, v72, v7, 24
	s_mov_b64 s[6:7], 0
	v_mov_b32_e32 v192, v0
.LBB60_1004:                            ; =>This Inner Loop Header: Depth=1
	v_add_u32_e32 v10, -8, v7
	scratch_load_dwordx4 v[194:197], v10, off
	ds_read_b128 v[198:201], v6
	v_add_u32_e32 v192, 1, v192
	v_cmp_lt_u32_e32 vcc, 19, v192
	v_add_u32_e32 v6, 16, v6
	v_add_u32_e32 v7, 16, v7
	s_or_b64 s[6:7], vcc, s[6:7]
	s_waitcnt vmcnt(0) lgkmcnt(0)
	v_mul_f64 v[10:11], v[200:201], v[196:197]
	v_mul_f64 v[52:53], v[198:199], v[196:197]
	v_fma_f64 v[10:11], v[198:199], v[194:195], -v[10:11]
	v_fmac_f64_e32 v[52:53], v[200:201], v[194:195]
	v_add_f64 v[2:3], v[2:3], v[10:11]
	v_add_f64 v[4:5], v[4:5], v[52:53]
	s_andn2_b64 exec, exec, s[6:7]
	s_cbranch_execnz .LBB60_1004
; %bb.1005:
	s_or_b64 exec, exec, s[6:7]
.LBB60_1006:
	s_or_b64 exec, exec, s[4:5]
	v_mov_b32_e32 v6, 0
	ds_read_b128 v[192:195], v6 offset:336
	s_waitcnt lgkmcnt(0)
	v_mul_f64 v[6:7], v[4:5], v[194:195]
	v_mul_f64 v[196:197], v[2:3], v[194:195]
	v_fma_f64 v[194:195], v[2:3], v[192:193], -v[6:7]
	v_fmac_f64_e32 v[196:197], v[4:5], v[192:193]
	scratch_store_dwordx4 off, v[194:197], off offset:336
.LBB60_1007:
	s_or_b64 exec, exec, s[2:3]
	scratch_load_dwordx4 v[2:5], v170, off
	v_cmp_gt_u32_e32 vcc, 22, v0
	s_waitcnt vmcnt(0)
	ds_write_b128 v9, v[2:5]
	s_waitcnt lgkmcnt(0)
	; wave barrier
	s_waitcnt lgkmcnt(0)
	s_and_saveexec_b64 s[2:3], vcc
	s_cbranch_execz .LBB60_1015
; %bb.1008:
	ds_read_b128 v[2:5], v9
	s_and_b64 vcc, exec, s[0:1]
	s_cbranch_vccnz .LBB60_1010
; %bb.1009:
	scratch_load_dwordx4 v[192:195], v8, off
	s_waitcnt vmcnt(0) lgkmcnt(0)
	v_mul_f64 v[10:11], v[2:3], v[194:195]
	v_mul_f64 v[6:7], v[4:5], v[194:195]
	v_fmac_f64_e32 v[10:11], v[4:5], v[192:193]
	v_fma_f64 v[2:3], v[2:3], v[192:193], -v[6:7]
	v_mov_b64_e32 v[4:5], v[10:11]
.LBB60_1010:
	v_cmp_ne_u32_e32 vcc, 21, v0
	s_and_saveexec_b64 s[4:5], vcc
	s_cbranch_execz .LBB60_1014
; %bb.1011:
	v_mov_b32_e32 v7, 0
	v_add_u32_e32 v6, 0x3e0, v72
	v_add3_u32 v7, v72, v7, 24
	s_mov_b64 s[6:7], 0
	v_mov_b32_e32 v192, v0
.LBB60_1012:                            ; =>This Inner Loop Header: Depth=1
	v_add_u32_e32 v10, -8, v7
	scratch_load_dwordx4 v[194:197], v10, off
	ds_read_b128 v[198:201], v6
	v_add_u32_e32 v192, 1, v192
	v_cmp_lt_u32_e32 vcc, 20, v192
	v_add_u32_e32 v6, 16, v6
	v_add_u32_e32 v7, 16, v7
	s_or_b64 s[6:7], vcc, s[6:7]
	s_waitcnt vmcnt(0) lgkmcnt(0)
	v_mul_f64 v[10:11], v[200:201], v[196:197]
	v_mul_f64 v[52:53], v[198:199], v[196:197]
	v_fma_f64 v[10:11], v[198:199], v[194:195], -v[10:11]
	v_fmac_f64_e32 v[52:53], v[200:201], v[194:195]
	v_add_f64 v[2:3], v[2:3], v[10:11]
	v_add_f64 v[4:5], v[4:5], v[52:53]
	s_andn2_b64 exec, exec, s[6:7]
	s_cbranch_execnz .LBB60_1012
; %bb.1013:
	s_or_b64 exec, exec, s[6:7]
.LBB60_1014:
	s_or_b64 exec, exec, s[4:5]
	v_mov_b32_e32 v6, 0
	ds_read_b128 v[192:195], v6 offset:352
	s_waitcnt lgkmcnt(0)
	v_mul_f64 v[6:7], v[4:5], v[194:195]
	v_mul_f64 v[196:197], v[2:3], v[194:195]
	v_fma_f64 v[194:195], v[2:3], v[192:193], -v[6:7]
	v_fmac_f64_e32 v[196:197], v[4:5], v[192:193]
	scratch_store_dwordx4 off, v[194:197], off offset:352
.LBB60_1015:
	;; [unrolled: 63-line block ×38, first 2 shown]
	s_or_b64 exec, exec, s[2:3]
	scratch_load_dwordx4 v[2:5], v214, off
	v_cmp_gt_u32_e64 s[2:3], 59, v0
	s_waitcnt vmcnt(0)
	ds_write_b128 v9, v[2:5]
	s_waitcnt lgkmcnt(0)
	; wave barrier
	s_waitcnt lgkmcnt(0)
	s_and_saveexec_b64 s[4:5], s[2:3]
	s_cbranch_execz .LBB60_1311
; %bb.1304:
	ds_read_b128 v[2:5], v9
	s_and_b64 vcc, exec, s[0:1]
	s_cbranch_vccnz .LBB60_1306
; %bb.1305:
	scratch_load_dwordx4 v[192:195], v8, off
	s_waitcnt vmcnt(0) lgkmcnt(0)
	v_mul_f64 v[10:11], v[2:3], v[194:195]
	v_mul_f64 v[6:7], v[4:5], v[194:195]
	v_fmac_f64_e32 v[10:11], v[4:5], v[192:193]
	v_fma_f64 v[2:3], v[2:3], v[192:193], -v[6:7]
	v_mov_b64_e32 v[4:5], v[10:11]
.LBB60_1306:
	v_cmp_ne_u32_e32 vcc, 58, v0
	s_and_saveexec_b64 s[6:7], vcc
	s_cbranch_execz .LBB60_1310
; %bb.1307:
	v_mov_b32_e32 v7, 0
	v_add_u32_e32 v6, 0x3e0, v72
	v_add3_u32 v7, v72, v7, 24
	s_mov_b64 s[8:9], 0
	v_mov_b32_e32 v192, v0
.LBB60_1308:                            ; =>This Inner Loop Header: Depth=1
	v_add_u32_e32 v10, -8, v7
	scratch_load_dwordx4 v[194:197], v10, off
	ds_read_b128 v[198:201], v6
	v_add_u32_e32 v192, 1, v192
	v_cmp_lt_u32_e32 vcc, 57, v192
	v_add_u32_e32 v6, 16, v6
	v_add_u32_e32 v7, 16, v7
	s_or_b64 s[8:9], vcc, s[8:9]
	s_waitcnt vmcnt(0) lgkmcnt(0)
	v_mul_f64 v[10:11], v[200:201], v[196:197]
	v_mul_f64 v[52:53], v[198:199], v[196:197]
	v_fma_f64 v[10:11], v[198:199], v[194:195], -v[10:11]
	v_fmac_f64_e32 v[52:53], v[200:201], v[194:195]
	v_add_f64 v[2:3], v[2:3], v[10:11]
	v_add_f64 v[4:5], v[4:5], v[52:53]
	s_andn2_b64 exec, exec, s[8:9]
	s_cbranch_execnz .LBB60_1308
; %bb.1309:
	s_or_b64 exec, exec, s[8:9]
.LBB60_1310:
	s_or_b64 exec, exec, s[6:7]
	v_mov_b32_e32 v6, 0
	ds_read_b128 v[192:195], v6 offset:944
	s_waitcnt lgkmcnt(0)
	v_mul_f64 v[6:7], v[4:5], v[194:195]
	v_mul_f64 v[196:197], v[2:3], v[194:195]
	v_fma_f64 v[194:195], v[2:3], v[192:193], -v[6:7]
	v_fmac_f64_e32 v[196:197], v[4:5], v[192:193]
	scratch_store_dwordx4 off, v[194:197], off offset:944
.LBB60_1311:
	s_or_b64 exec, exec, s[4:5]
	scratch_load_dwordx4 v[2:5], v1, off
	v_cmp_ne_u32_e32 vcc, 60, v0
                                        ; implicit-def: $vgpr6_vgpr7
                                        ; implicit-def: $vgpr192
	s_waitcnt vmcnt(0)
	ds_write_b128 v9, v[2:5]
	s_waitcnt lgkmcnt(0)
	; wave barrier
	s_waitcnt lgkmcnt(0)
	s_and_saveexec_b64 s[4:5], vcc
	s_cbranch_execz .LBB60_1319
; %bb.1312:
	ds_read_b128 v[2:5], v9
	s_and_b64 vcc, exec, s[0:1]
	s_cbranch_vccnz .LBB60_1314
; %bb.1313:
	scratch_load_dwordx4 v[6:9], v8, off
	s_waitcnt vmcnt(0) lgkmcnt(0)
	v_mul_f64 v[10:11], v[4:5], v[8:9]
	v_mul_f64 v[8:9], v[2:3], v[8:9]
	v_fmac_f64_e32 v[8:9], v[4:5], v[6:7]
	v_fma_f64 v[2:3], v[2:3], v[6:7], -v[10:11]
	v_mov_b64_e32 v[4:5], v[8:9]
.LBB60_1314:
	s_and_saveexec_b64 s[0:1], s[2:3]
	s_cbranch_execz .LBB60_1318
; %bb.1315:
	v_mov_b32_e32 v7, 0
	v_add_u32_e32 v6, 0x3e0, v72
	v_add3_u32 v7, v72, v7, 24
	s_mov_b64 s[2:3], 0
.LBB60_1316:                            ; =>This Inner Loop Header: Depth=1
	v_add_u32_e32 v8, -8, v7
	scratch_load_dwordx4 v[192:195], v8, off
	ds_read_b128 v[196:199], v6
	v_add_u32_e32 v0, 1, v0
	v_cmp_lt_u32_e32 vcc, 58, v0
	v_add_u32_e32 v6, 16, v6
	v_add_u32_e32 v7, 16, v7
	s_or_b64 s[2:3], vcc, s[2:3]
	s_waitcnt vmcnt(0) lgkmcnt(0)
	v_mul_f64 v[8:9], v[198:199], v[194:195]
	v_mul_f64 v[10:11], v[196:197], v[194:195]
	v_fma_f64 v[8:9], v[196:197], v[192:193], -v[8:9]
	v_fmac_f64_e32 v[10:11], v[198:199], v[192:193]
	v_add_f64 v[2:3], v[2:3], v[8:9]
	v_add_f64 v[4:5], v[4:5], v[10:11]
	s_andn2_b64 exec, exec, s[2:3]
	s_cbranch_execnz .LBB60_1316
; %bb.1317:
	s_or_b64 exec, exec, s[2:3]
.LBB60_1318:
	s_or_b64 exec, exec, s[0:1]
	v_mov_b32_e32 v0, 0
	ds_read_b128 v[194:197], v0 offset:960
	v_mov_b32_e32 v0, 0
	v_add_u32_e32 v192, 0x3c8, v0
	s_or_b64 s[10:11], s[10:11], exec
	s_waitcnt lgkmcnt(0)
	v_mul_f64 v[8:9], v[4:5], v[196:197]
	v_mul_f64 v[6:7], v[2:3], v[196:197]
	v_fma_f64 v[2:3], v[2:3], v[194:195], -v[8:9]
	v_fmac_f64_e32 v[6:7], v[4:5], v[194:195]
	scratch_store_dwordx2 off, v[2:3], off offset:960
.LBB60_1319:
	s_or_b64 exec, exec, s[4:5]
.LBB60_1320:
	v_mov_b32_e32 v0, v214
	s_and_saveexec_b64 s[0:1], s[10:11]
	s_cbranch_execz .LBB60_1322
; %bb.1321:
	scratch_store_dwordx2 v192, v[6:7], off
.LBB60_1322:
	s_or_b64 exec, exec, s[0:1]
	scratch_load_dwordx4 v[2:5], off, off
	scratch_load_dwordx4 v[6:9], v191, off
	s_nop 0
	scratch_load_dwordx4 v[190:193], v190, off
	s_nop 0
	scratch_load_dwordx4 v[194:197], v189, off
	scratch_load_dwordx4 v[198:201], v188, off
	scratch_load_dwordx4 v[202:205], v187, off
	s_nop 0
	scratch_load_dwordx4 v[186:189], v186, off
	s_nop 0
	scratch_load_dwordx4 v[206:209], v185, off
	scratch_load_dwordx4 v[210:213], v184, off
	;; [unrolled: 6-line block ×5, first 2 shown]
	scratch_load_dwordx4 v[250:253], v171, off
	s_nop 0
	scratch_load_dwordx4 v[170:173], v170, off
	s_waitcnt vmcnt(22)
	global_store_dwordx4 v[12:13], v[2:5], off
	scratch_load_dwordx4 v[2:5], v169, off
	s_nop 0
	scratch_load_dwordx4 v[10:13], v168, off
	s_waitcnt vmcnt(24)
	global_store_dwordx4 v[14:15], v[6:9], off
	;; [unrolled: 5-line block ×19, first 2 shown]
	scratch_load_dwordx4 v[174:177], v0, off
	s_nop 0
	scratch_load_dwordx4 v[50:53], v1, off
	v_accvgpr_read_b32 v0, a0
	v_accvgpr_read_b32 v1, a1
	s_waitcnt vmcnt(60)
	global_store_dwordx4 v[254:255], v[242:245], off
	s_waitcnt vmcnt(60)
	global_store_dwordx4 v[0:1], v[246:249], off
	;; [unrolled: 2-line block ×42, first 2 shown]
.LBB60_1323:
	s_endpgm
	.section	.rodata,"a",@progbits
	.p2align	6, 0x0
	.amdhsa_kernel _ZN9rocsolver6v33100L18trti2_kernel_smallILi61E19rocblas_complex_numIdEPS3_EEv13rocblas_fill_17rocblas_diagonal_T1_iil
		.amdhsa_group_segment_fixed_size 1952
		.amdhsa_private_segment_fixed_size 992
		.amdhsa_kernarg_size 32
		.amdhsa_user_sgpr_count 2
		.amdhsa_user_sgpr_dispatch_ptr 0
		.amdhsa_user_sgpr_queue_ptr 0
		.amdhsa_user_sgpr_kernarg_segment_ptr 1
		.amdhsa_user_sgpr_dispatch_id 0
		.amdhsa_user_sgpr_kernarg_preload_length 0
		.amdhsa_user_sgpr_kernarg_preload_offset 0
		.amdhsa_user_sgpr_private_segment_size 0
		.amdhsa_uses_dynamic_stack 0
		.amdhsa_enable_private_segment 1
		.amdhsa_system_sgpr_workgroup_id_x 1
		.amdhsa_system_sgpr_workgroup_id_y 0
		.amdhsa_system_sgpr_workgroup_id_z 0
		.amdhsa_system_sgpr_workgroup_info 0
		.amdhsa_system_vgpr_workitem_id 0
		.amdhsa_next_free_vgpr 258
		.amdhsa_next_free_sgpr 24
		.amdhsa_accum_offset 256
		.amdhsa_reserve_vcc 1
		.amdhsa_float_round_mode_32 0
		.amdhsa_float_round_mode_16_64 0
		.amdhsa_float_denorm_mode_32 3
		.amdhsa_float_denorm_mode_16_64 3
		.amdhsa_dx10_clamp 1
		.amdhsa_ieee_mode 1
		.amdhsa_fp16_overflow 0
		.amdhsa_tg_split 0
		.amdhsa_exception_fp_ieee_invalid_op 0
		.amdhsa_exception_fp_denorm_src 0
		.amdhsa_exception_fp_ieee_div_zero 0
		.amdhsa_exception_fp_ieee_overflow 0
		.amdhsa_exception_fp_ieee_underflow 0
		.amdhsa_exception_fp_ieee_inexact 0
		.amdhsa_exception_int_div_zero 0
	.end_amdhsa_kernel
	.section	.text._ZN9rocsolver6v33100L18trti2_kernel_smallILi61E19rocblas_complex_numIdEPS3_EEv13rocblas_fill_17rocblas_diagonal_T1_iil,"axG",@progbits,_ZN9rocsolver6v33100L18trti2_kernel_smallILi61E19rocblas_complex_numIdEPS3_EEv13rocblas_fill_17rocblas_diagonal_T1_iil,comdat
.Lfunc_end60:
	.size	_ZN9rocsolver6v33100L18trti2_kernel_smallILi61E19rocblas_complex_numIdEPS3_EEv13rocblas_fill_17rocblas_diagonal_T1_iil, .Lfunc_end60-_ZN9rocsolver6v33100L18trti2_kernel_smallILi61E19rocblas_complex_numIdEPS3_EEv13rocblas_fill_17rocblas_diagonal_T1_iil
                                        ; -- End function
	.section	.AMDGPU.csdata,"",@progbits
; Kernel info:
; codeLenInByte = 80180
; NumSgprs: 30
; NumVgprs: 256
; NumAgprs: 2
; TotalNumVgprs: 258
; ScratchSize: 992
; MemoryBound: 0
; FloatMode: 240
; IeeeMode: 1
; LDSByteSize: 1952 bytes/workgroup (compile time only)
; SGPRBlocks: 3
; VGPRBlocks: 32
; NumSGPRsForWavesPerEU: 30
; NumVGPRsForWavesPerEU: 258
; AccumOffset: 256
; Occupancy: 1
; WaveLimiterHint : 0
; COMPUTE_PGM_RSRC2:SCRATCH_EN: 1
; COMPUTE_PGM_RSRC2:USER_SGPR: 2
; COMPUTE_PGM_RSRC2:TRAP_HANDLER: 0
; COMPUTE_PGM_RSRC2:TGID_X_EN: 1
; COMPUTE_PGM_RSRC2:TGID_Y_EN: 0
; COMPUTE_PGM_RSRC2:TGID_Z_EN: 0
; COMPUTE_PGM_RSRC2:TIDIG_COMP_CNT: 0
; COMPUTE_PGM_RSRC3_GFX90A:ACCUM_OFFSET: 63
; COMPUTE_PGM_RSRC3_GFX90A:TG_SPLIT: 0
	.section	.text._ZN9rocsolver6v33100L18trti2_kernel_smallILi62E19rocblas_complex_numIdEPS3_EEv13rocblas_fill_17rocblas_diagonal_T1_iil,"axG",@progbits,_ZN9rocsolver6v33100L18trti2_kernel_smallILi62E19rocblas_complex_numIdEPS3_EEv13rocblas_fill_17rocblas_diagonal_T1_iil,comdat
	.globl	_ZN9rocsolver6v33100L18trti2_kernel_smallILi62E19rocblas_complex_numIdEPS3_EEv13rocblas_fill_17rocblas_diagonal_T1_iil ; -- Begin function _ZN9rocsolver6v33100L18trti2_kernel_smallILi62E19rocblas_complex_numIdEPS3_EEv13rocblas_fill_17rocblas_diagonal_T1_iil
	.p2align	8
	.type	_ZN9rocsolver6v33100L18trti2_kernel_smallILi62E19rocblas_complex_numIdEPS3_EEv13rocblas_fill_17rocblas_diagonal_T1_iil,@function
_ZN9rocsolver6v33100L18trti2_kernel_smallILi62E19rocblas_complex_numIdEPS3_EEv13rocblas_fill_17rocblas_diagonal_T1_iil: ; @_ZN9rocsolver6v33100L18trti2_kernel_smallILi62E19rocblas_complex_numIdEPS3_EEv13rocblas_fill_17rocblas_diagonal_T1_iil
; %bb.0:
	v_cmp_gt_u32_e32 vcc, 62, v0
	s_and_saveexec_b64 s[4:5], vcc
	s_cbranch_execz .LBB61_1345
; %bb.1:
	s_load_dwordx8 s[4:11], s[0:1], 0x0
	s_ashr_i32 s3, s2, 31
	v_lshlrev_b32_e32 v116, 4, v0
	v_mov_b32_e32 v117, 0
	v_mov_b32_e32 v1, 0
	s_waitcnt lgkmcnt(0)
	s_ashr_i32 s1, s8, 31
	s_mov_b32 s0, s8
	s_mul_i32 s8, s2, s11
	s_mul_hi_u32 s11, s2, s10
	s_add_i32 s8, s11, s8
	s_mul_i32 s3, s3, s10
	s_add_i32 s3, s8, s3
	s_mul_i32 s2, s2, s10
	s_lshl_b64 s[2:3], s[2:3], 4
	s_add_u32 s2, s6, s2
	s_addc_u32 s3, s7, s3
	s_lshl_b64 s[0:1], s[0:1], 4
	s_add_u32 s0, s2, s0
	s_addc_u32 s1, s3, s1
	global_load_dwordx4 v[22:25], v116, s[0:1]
	s_add_i32 s6, s9, s9
	v_add_u32_e32 v2, s6, v0
	v_add_u32_e32 v4, s9, v2
	;; [unrolled: 1-line block ×58, first 2 shown]
	v_ashrrev_i32_e32 v3, 31, v2
	v_add_u32_e32 v6, s9, v8
	v_lshl_add_u64 v[14:15], v[2:3], 4, s[0:1]
	v_add_u32_e32 v2, s9, v6
	s_mov_b32 s2, s9
	s_ashr_i32 s3, s9, 31
	v_lshl_add_u64 v[20:21], s[0:1], 0, v[116:117]
	v_ashrrev_i32_e32 v3, 31, v2
	v_ashrrev_i32_e32 v11, 31, v10
	;; [unrolled: 1-line block ×3, first 2 shown]
	v_lshl_add_u64 v[16:17], s[2:3], 4, v[20:21]
	v_ashrrev_i32_e32 v5, 31, v4
	v_lshl_add_u64 v[2:3], v[2:3], 4, s[0:1]
	v_lshl_add_u64 v[60:61], v[10:11], 4, s[0:1]
	v_ashrrev_i32_e32 v13, 31, v12
	v_ashrrev_i32_e32 v29, 31, v28
	;; [unrolled: 1-line block ×9, first 2 shown]
	v_lshl_add_u64 v[10:11], v[68:69], 4, s[0:1]
	global_load_dwordx4 v[76:79], v[16:17], off
	global_load_dwordx4 v[80:83], v[14:15], off
	v_lshl_add_u64 v[18:19], v[4:5], 4, s[0:1]
	v_accvgpr_write_b32 a0, v2
	s_waitcnt vmcnt(2)
	scratch_store_dwordx4 off, v[22:25], off
	v_lshl_add_u64 v[62:63], v[12:13], 4, s[0:1]
	v_ashrrev_i32_e32 v27, 31, v26
	v_lshl_add_u64 v[58:59], v[28:29], 4, s[0:1]
	v_lshl_add_u64 v[50:51], v[30:31], 4, s[0:1]
	;; [unrolled: 1-line block ×3, first 2 shown]
	v_ashrrev_i32_e32 v35, 31, v34
	v_lshl_add_u64 v[46:47], v[36:37], 4, s[0:1]
	v_lshl_add_u64 v[40:41], v[38:39], 4, s[0:1]
	;; [unrolled: 1-line block ×3, first 2 shown]
	v_ashrrev_i32_e32 v49, 31, v48
	v_lshl_add_u64 v[38:39], v[52:53], 4, s[0:1]
	v_ashrrev_i32_e32 v65, 31, v64
	v_lshl_add_u64 v[30:31], v[66:67], 4, s[0:1]
	v_accvgpr_write_b32 a4, v10
	v_ashrrev_i32_e32 v71, 31, v70
	v_ashrrev_i32_e32 v73, 31, v72
	;; [unrolled: 1-line block ×7, first 2 shown]
	v_accvgpr_write_b32 a1, v3
	global_load_dwordx4 v[2:5], v[2:3], off
	s_nop 0
	global_load_dwordx4 v[84:87], v[18:19], off
	global_load_dwordx4 v[88:91], v[60:61], off
	v_lshl_add_u64 v[56:57], v[26:27], 4, s[0:1]
	global_load_dwordx4 v[92:95], v[62:63], off
	global_load_dwordx4 v[96:99], v[56:57], off
	global_load_dwordx4 v[100:103], v[58:59], off
	global_load_dwordx4 v[104:107], v[50:51], off
	v_lshl_add_u64 v[44:45], v[34:35], 4, s[0:1]
	global_load_dwordx4 v[108:111], v[54:55], off
	global_load_dwordx4 v[112:115], v[44:45], off
	;; [unrolled: 5-line block ×3, first 2 shown]
	v_lshl_add_u64 v[28:29], v[64:65], 4, s[0:1]
	global_load_dwordx4 v[134:137], v[38:39], off
	global_load_dwordx4 v[138:141], v[28:29], off
	;; [unrolled: 1-line block ×4, first 2 shown]
	v_accvgpr_write_b32 a5, v11
	v_lshl_add_u64 v[36:37], v[70:71], 4, s[0:1]
	v_lshl_add_u64 v[10:11], v[72:73], 4, s[0:1]
	v_lshl_add_u64 v[254:255], v[74:75], 4, s[0:1]
	v_ashrrev_i32_e32 v159, 31, v158
	v_lshl_add_u64 v[48:49], v[166:167], 4, s[0:1]
	v_ashrrev_i32_e32 v169, 31, v168
	v_lshl_add_u64 v[64:65], v[174:175], 4, s[0:1]
	;; [unrolled: 2-line block ×4, first 2 shown]
	v_ashrrev_i32_e32 v193, 31, v192
	global_load_dwordx4 v[150:153], v[36:37], off
	global_load_dwordx4 v[154:157], v[10:11], off
	v_lshl_add_u64 v[26:27], v[158:159], 4, s[0:1]
	global_load_dwordx4 v[158:161], v[254:255], off
	global_load_dwordx4 v[162:165], v[26:27], off
	v_lshl_add_u64 v[52:53], v[168:169], 4, s[0:1]
	;; [unrolled: 3-line block ×5, first 2 shown]
	global_load_dwordx4 v[190:193], v[72:73], off
	global_load_dwordx4 v[194:197], v[74:75], off
	v_ashrrev_i32_e32 v199, 31, v198
	v_ashrrev_i32_e32 v203, 31, v202
	;; [unrolled: 1-line block ×15, first 2 shown]
	s_waitcnt vmcnt(31)
	scratch_store_dwordx4 off, v[76:79], off offset:16
	s_waitcnt vmcnt(31)
	scratch_store_dwordx4 off, v[80:83], off offset:32
	;; [unrolled: 2-line block ×30, first 2 shown]
	v_lshl_add_u64 v[76:77], v[198:199], 4, s[0:1]
	v_ashrrev_i32_e32 v201, 31, v200
	v_lshl_add_u64 v[80:81], v[202:203], 4, s[0:1]
	v_ashrrev_i32_e32 v205, 31, v204
	;; [unrolled: 2-line block ×15, first 2 shown]
	v_lshl_add_u64 v[78:79], v[200:201], 4, s[0:1]
	global_load_dwordx4 v[138:141], v[76:77], off
	global_load_dwordx4 v[142:145], v[78:79], off
	v_lshl_add_u64 v[82:83], v[204:205], 4, s[0:1]
	global_load_dwordx4 v[146:149], v[80:81], off
	global_load_dwordx4 v[150:153], v[82:83], off
	;; [unrolled: 3-line block ×15, first 2 shown]
	v_accvgpr_write_b32 a2, v10
	s_cmpk_lg_i32 s5, 0x84
	v_accvgpr_write_b32 a3, v11
	s_cselect_b64 s[6:7], -1, 0
	s_cmpk_eq_i32 s5, 0x84
	s_waitcnt vmcnt(29)
	scratch_store_dwordx4 off, v[138:141], off offset:496
	s_waitcnt vmcnt(29)
	scratch_store_dwordx4 off, v[142:145], off offset:512
	;; [unrolled: 2-line block ×30, first 2 shown]
	scratch_store_dwordx4 off, v[2:5], off offset:976
	s_cbranch_scc1 .LBB61_7
; %bb.2:
	scratch_load_dwordx4 v[8:11], v116, off
                                        ; implicit-def: $vgpr6_vgpr7
	s_waitcnt vmcnt(0)
	v_xor_b32_e32 v3, 0x80000000, v9
	v_cmp_gt_f64_e32 vcc, 0, v[8:9]
	v_xor_b32_e32 v4, 0x80000000, v11
	v_mov_b32_e32 v2, v8
	v_cndmask_b32_e32 v3, v9, v3, vcc
	v_cmp_gt_f64_e32 vcc, 0, v[10:11]
	s_nop 1
	v_cndmask_b32_e32 v5, v11, v4, vcc
	v_mov_b32_e32 v4, v10
	v_cmp_ngt_f64_e32 vcc, v[2:3], v[4:5]
                                        ; implicit-def: $vgpr2_vgpr3
	s_and_saveexec_b64 s[0:1], vcc
	s_xor_b64 s[0:1], exec, s[0:1]
	s_cbranch_execz .LBB61_4
; %bb.3:
	v_div_scale_f64 v[2:3], s[2:3], v[10:11], v[10:11], v[8:9]
	v_rcp_f64_e32 v[4:5], v[2:3]
	v_div_scale_f64 v[6:7], vcc, v[8:9], v[10:11], v[8:9]
	v_fma_f64 v[12:13], -v[2:3], v[4:5], 1.0
	v_fmac_f64_e32 v[4:5], v[4:5], v[12:13]
	v_fma_f64 v[12:13], -v[2:3], v[4:5], 1.0
	v_fmac_f64_e32 v[4:5], v[4:5], v[12:13]
	v_mul_f64 v[12:13], v[6:7], v[4:5]
	v_fma_f64 v[2:3], -v[2:3], v[12:13], v[6:7]
	v_div_fmas_f64 v[2:3], v[2:3], v[4:5], v[12:13]
	v_div_fixup_f64 v[2:3], v[2:3], v[10:11], v[8:9]
	v_fmac_f64_e32 v[10:11], v[8:9], v[2:3]
	v_div_scale_f64 v[4:5], s[2:3], v[10:11], v[10:11], 1.0
	v_rcp_f64_e32 v[6:7], v[4:5]
	s_nop 0
	v_fma_f64 v[8:9], -v[4:5], v[6:7], 1.0
	v_fmac_f64_e32 v[6:7], v[6:7], v[8:9]
	v_fma_f64 v[8:9], -v[4:5], v[6:7], 1.0
	v_fmac_f64_e32 v[6:7], v[6:7], v[8:9]
	v_div_scale_f64 v[8:9], vcc, 1.0, v[10:11], 1.0
	v_mul_f64 v[12:13], v[8:9], v[6:7]
	v_fma_f64 v[4:5], -v[4:5], v[12:13], v[8:9]
                                        ; implicit-def: $vgpr8_vgpr9
	s_nop 1
	v_div_fmas_f64 v[4:5], v[4:5], v[6:7], v[12:13]
	v_div_fixup_f64 v[4:5], v[4:5], v[10:11], 1.0
	v_mul_f64 v[2:3], v[2:3], v[4:5]
	v_xor_b32_e32 v5, 0x80000000, v5
	v_xor_b32_e32 v7, 0x80000000, v3
	v_mov_b32_e32 v6, v2
.LBB61_4:
	s_or_saveexec_b64 s[0:1], s[0:1]
	v_add_u32_e32 v117, 0, v116
	s_xor_b64 exec, exec, s[0:1]
	s_cbranch_execz .LBB61_6
; %bb.5:
	v_div_scale_f64 v[2:3], s[2:3], v[8:9], v[8:9], v[10:11]
	v_rcp_f64_e32 v[4:5], v[2:3]
	v_div_scale_f64 v[6:7], vcc, v[10:11], v[8:9], v[10:11]
	v_fma_f64 v[12:13], -v[2:3], v[4:5], 1.0
	v_fmac_f64_e32 v[4:5], v[4:5], v[12:13]
	v_fma_f64 v[12:13], -v[2:3], v[4:5], 1.0
	v_fmac_f64_e32 v[4:5], v[4:5], v[12:13]
	v_mul_f64 v[12:13], v[6:7], v[4:5]
	v_fma_f64 v[2:3], -v[2:3], v[12:13], v[6:7]
	v_div_fmas_f64 v[2:3], v[2:3], v[4:5], v[12:13]
	v_div_fixup_f64 v[4:5], v[2:3], v[8:9], v[10:11]
	v_fmac_f64_e32 v[8:9], v[10:11], v[4:5]
	v_div_scale_f64 v[2:3], s[2:3], v[8:9], v[8:9], 1.0
	v_rcp_f64_e32 v[6:7], v[2:3]
	s_nop 0
	v_fma_f64 v[10:11], -v[2:3], v[6:7], 1.0
	v_fmac_f64_e32 v[6:7], v[6:7], v[10:11]
	v_fma_f64 v[10:11], -v[2:3], v[6:7], 1.0
	v_fmac_f64_e32 v[6:7], v[6:7], v[10:11]
	v_div_scale_f64 v[10:11], vcc, 1.0, v[8:9], 1.0
	v_mul_f64 v[12:13], v[10:11], v[6:7]
	v_fma_f64 v[2:3], -v[2:3], v[12:13], v[10:11]
	s_nop 1
	v_div_fmas_f64 v[2:3], v[2:3], v[6:7], v[12:13]
	v_div_fixup_f64 v[2:3], v[2:3], v[8:9], 1.0
	v_xor_b32_e32 v7, 0x80000000, v3
	v_mov_b32_e32 v6, v2
	v_mul_f64 v[4:5], v[4:5], -v[2:3]
.LBB61_6:
	s_or_b64 exec, exec, s[0:1]
	scratch_store_dwordx4 v117, v[2:5], off
	s_nop 1
	v_xor_b32_e32 v5, 0x80000000, v5
	s_branch .LBB61_8
.LBB61_7:
	s_nop 0
	v_mov_b64_e32 v[4:5], 0
	v_mov_b64_e32 v[6:7], -1.0
.LBB61_8:
	v_mov_b32_e32 v8, v4
	v_mov_b32_e32 v9, v5
	v_add_u32_e32 v194, 16, v1
	v_add_u32_e32 v193, 32, v1
	;; [unrolled: 1-line block ×61, first 2 shown]
	ds_write_b128 v116, v[6:9]
	s_cmpk_eq_i32 s4, 0x79
	v_add_u32_e32 v9, 0x3e0, v116
	v_add_u32_e32 v8, 0, v116
	s_cbranch_scc1 .LBB61_846
; %bb.9:
	scratch_load_dwordx4 v[2:5], v140, off
	v_cmp_eq_u32_e64 s[0:1], 61, v0
	s_waitcnt vmcnt(0)
	ds_write_b128 v9, v[2:5]
	s_waitcnt lgkmcnt(0)
	; wave barrier
	s_waitcnt lgkmcnt(0)
	s_and_saveexec_b64 s[2:3], s[0:1]
	s_cbranch_execz .LBB61_13
; %bb.10:
	ds_read_b128 v[2:5], v9
	s_andn2_b64 vcc, exec, s[6:7]
	s_cbranch_vccnz .LBB61_12
; %bb.11:
	scratch_load_dwordx4 v[196:199], v8, off
	s_waitcnt vmcnt(0) lgkmcnt(0)
	v_mul_f64 v[22:23], v[2:3], v[198:199]
	v_mul_f64 v[6:7], v[4:5], v[198:199]
	v_fmac_f64_e32 v[22:23], v[4:5], v[196:197]
	v_fma_f64 v[2:3], v[2:3], v[196:197], -v[6:7]
	v_mov_b64_e32 v[4:5], v[22:23]
.LBB61_12:
	v_mov_b32_e32 v6, 0
	ds_read_b128 v[196:199], v6 offset:960
	s_waitcnt lgkmcnt(0)
	v_mul_f64 v[6:7], v[4:5], v[198:199]
	v_mul_f64 v[200:201], v[2:3], v[198:199]
	v_fma_f64 v[198:199], v[2:3], v[196:197], -v[6:7]
	v_fmac_f64_e32 v[200:201], v[4:5], v[196:197]
	scratch_store_dwordx4 off, v[198:201], off offset:960
.LBB61_13:
	s_or_b64 exec, exec, s[2:3]
	scratch_load_dwordx4 v[2:5], v141, off
	v_cmp_lt_u32_e64 s[2:3], 59, v0
	s_waitcnt vmcnt(0)
	ds_write_b128 v9, v[2:5]
	s_waitcnt lgkmcnt(0)
	; wave barrier
	s_waitcnt lgkmcnt(0)
	s_and_saveexec_b64 s[4:5], s[2:3]
	s_cbranch_execz .LBB61_19
; %bb.14:
	ds_read_b128 v[2:5], v9
	s_andn2_b64 vcc, exec, s[6:7]
	s_cbranch_vccnz .LBB61_16
; %bb.15:
	scratch_load_dwordx4 v[196:199], v8, off
	s_waitcnt vmcnt(0) lgkmcnt(0)
	v_mul_f64 v[22:23], v[2:3], v[198:199]
	v_mul_f64 v[6:7], v[4:5], v[198:199]
	v_fmac_f64_e32 v[22:23], v[4:5], v[196:197]
	v_fma_f64 v[2:3], v[2:3], v[196:197], -v[6:7]
	v_mov_b64_e32 v[4:5], v[22:23]
.LBB61_16:
	s_and_saveexec_b64 s[8:9], s[0:1]
	s_cbranch_execz .LBB61_18
; %bb.17:
	scratch_load_dwordx4 v[196:199], off, off offset:960
	v_mov_b32_e32 v6, 0
	ds_read_b128 v[200:203], v6 offset:1952
	s_waitcnt vmcnt(0) lgkmcnt(0)
	v_mul_f64 v[6:7], v[200:201], v[198:199]
	v_mul_f64 v[22:23], v[202:203], v[198:199]
	v_fmac_f64_e32 v[6:7], v[202:203], v[196:197]
	v_fma_f64 v[22:23], v[200:201], v[196:197], -v[22:23]
	v_add_f64 v[4:5], v[4:5], v[6:7]
	v_add_f64 v[2:3], v[2:3], v[22:23]
.LBB61_18:
	s_or_b64 exec, exec, s[8:9]
	v_mov_b32_e32 v6, 0
	ds_read_b128 v[196:199], v6 offset:944
	s_waitcnt lgkmcnt(0)
	v_mul_f64 v[6:7], v[4:5], v[198:199]
	v_mul_f64 v[200:201], v[2:3], v[198:199]
	v_fma_f64 v[198:199], v[2:3], v[196:197], -v[6:7]
	v_fmac_f64_e32 v[200:201], v[4:5], v[196:197]
	scratch_store_dwordx4 off, v[198:201], off offset:944
.LBB61_19:
	s_or_b64 exec, exec, s[4:5]
	scratch_load_dwordx4 v[2:5], v142, off
	v_cmp_lt_u32_e64 s[0:1], 58, v0
	s_waitcnt vmcnt(0)
	ds_write_b128 v9, v[2:5]
	s_waitcnt lgkmcnt(0)
	; wave barrier
	s_waitcnt lgkmcnt(0)
	s_and_saveexec_b64 s[4:5], s[0:1]
	s_cbranch_execz .LBB61_33
; %bb.20:
	ds_read_b128 v[2:5], v9
	s_andn2_b64 vcc, exec, s[6:7]
	s_cbranch_vccnz .LBB61_22
; %bb.21:
	scratch_load_dwordx4 v[196:199], v8, off
	s_waitcnt vmcnt(0) lgkmcnt(0)
	v_mul_f64 v[22:23], v[2:3], v[198:199]
	v_mul_f64 v[6:7], v[4:5], v[198:199]
	v_fmac_f64_e32 v[22:23], v[4:5], v[196:197]
	v_fma_f64 v[2:3], v[2:3], v[196:197], -v[6:7]
	v_mov_b64_e32 v[4:5], v[22:23]
.LBB61_22:
	s_and_saveexec_b64 s[8:9], s[2:3]
	s_cbranch_execz .LBB61_32
; %bb.23:
	v_subrev_u32_e32 v7, 60, v0
	v_subrev_u32_e32 v6, 59, v0
	v_cmp_lt_u32_e32 vcc, 6, v7
	v_mov_b32_e32 v196, 59
	s_and_saveexec_b64 s[2:3], vcc
	s_cbranch_execz .LBB61_27
; %bb.24:
	v_and_b32_e32 v7, -8, v6
	s_mov_b32 s12, 0
	s_mov_b64 s[10:11], 0
	v_mov_b32_e32 v195, 0
	s_mov_b32 s13, 0
.LBB61_25:                              ; =>This Inner Loop Header: Depth=1
	v_readfirstlane_b32 s14, v195
	s_add_i32 s14, s14, s12
	s_add_i32 s15, s14, 0x3b0
	v_mov_b32_e32 v13, s12
	ds_read_b128 v[196:199], v13 offset:1936
	ds_read_b128 v[200:203], v13 offset:1952
	ds_read_b128 v[204:207], v13 offset:1968
	ds_read_b128 v[208:211], v13 offset:1984
	scratch_load_dwordx4 v[212:215], off, s15
	s_add_i32 s15, s14, 0x3c0
	s_addk_i32 s12, 0x80
	s_waitcnt vmcnt(0) lgkmcnt(3)
	v_mul_f64 v[22:23], v[198:199], v[214:215]
	v_mul_f64 v[24:25], v[196:197], v[214:215]
	v_fma_f64 v[22:23], v[196:197], v[212:213], -v[22:23]
	v_fmac_f64_e32 v[24:25], v[198:199], v[212:213]
	v_add_f64 v[22:23], v[2:3], v[22:23]
	v_add_f64 v[24:25], v[4:5], v[24:25]
	scratch_load_dwordx4 v[2:5], off, s15
	s_add_i32 s15, s14, 0x3d0
	s_waitcnt vmcnt(0) lgkmcnt(2)
	v_mul_f64 v[32:33], v[202:203], v[4:5]
	v_mul_f64 v[4:5], v[200:201], v[4:5]
	v_fmac_f64_e32 v[4:5], v[202:203], v[2:3]
	v_fma_f64 v[32:33], v[200:201], v[2:3], -v[32:33]
	v_add_f64 v[24:25], v[24:25], v[4:5]
	scratch_load_dwordx4 v[2:5], off, s15
	v_add_f64 v[22:23], v[22:23], v[32:33]
	s_add_i32 s15, s14, 0x3e0
	s_waitcnt vmcnt(0) lgkmcnt(1)
	v_mul_f64 v[32:33], v[206:207], v[4:5]
	v_mul_f64 v[4:5], v[204:205], v[4:5]
	v_fmac_f64_e32 v[4:5], v[206:207], v[2:3]
	v_fma_f64 v[32:33], v[204:205], v[2:3], -v[32:33]
	v_add_f64 v[24:25], v[24:25], v[4:5]
	scratch_load_dwordx4 v[2:5], off, s15
	s_add_i32 s15, s14, 0x3f0
	scratch_load_dwordx4 v[196:199], off, s15
	v_add_f64 v[22:23], v[22:23], v[32:33]
	s_add_i32 s15, s14, 0x400
	s_waitcnt vmcnt(1) lgkmcnt(0)
	v_mul_f64 v[32:33], v[210:211], v[4:5]
	v_mul_f64 v[4:5], v[208:209], v[4:5]
	v_fmac_f64_e32 v[4:5], v[210:211], v[2:3]
	v_fma_f64 v[32:33], v[208:209], v[2:3], -v[32:33]
	v_add_f64 v[24:25], v[24:25], v[4:5]
	ds_read_b128 v[2:5], v13 offset:2000
	v_add_f64 v[22:23], v[22:23], v[32:33]
	s_waitcnt vmcnt(0) lgkmcnt(0)
	v_mul_f64 v[32:33], v[4:5], v[198:199]
	v_fma_f64 v[32:33], v[2:3], v[196:197], -v[32:33]
	v_mul_f64 v[2:3], v[2:3], v[198:199]
	v_fmac_f64_e32 v[2:3], v[4:5], v[196:197]
	scratch_load_dwordx4 v[196:199], off, s15
	v_add_f64 v[24:25], v[24:25], v[2:3]
	ds_read_b128 v[2:5], v13 offset:2016
	v_add_f64 v[22:23], v[22:23], v[32:33]
	s_add_i32 s15, s14, 0x410
	s_addk_i32 s14, 0x420
	s_waitcnt vmcnt(0) lgkmcnt(0)
	v_mul_f64 v[32:33], v[4:5], v[198:199]
	v_fma_f64 v[32:33], v[2:3], v[196:197], -v[32:33]
	v_mul_f64 v[2:3], v[2:3], v[198:199]
	v_fmac_f64_e32 v[2:3], v[4:5], v[196:197]
	scratch_load_dwordx4 v[196:199], off, s15
	v_add_f64 v[24:25], v[24:25], v[2:3]
	ds_read_b128 v[2:5], v13 offset:2032
	v_add_f64 v[22:23], v[22:23], v[32:33]
	s_waitcnt vmcnt(0) lgkmcnt(0)
	v_mul_f64 v[32:33], v[4:5], v[198:199]
	v_fma_f64 v[32:33], v[2:3], v[196:197], -v[32:33]
	v_mul_f64 v[2:3], v[2:3], v[198:199]
	v_fmac_f64_e32 v[2:3], v[4:5], v[196:197]
	scratch_load_dwordx4 v[196:199], off, s14
	v_add_f64 v[24:25], v[24:25], v[2:3]
	ds_read_b128 v[2:5], v13 offset:2048
	v_add_f64 v[22:23], v[22:23], v[32:33]
	s_add_i32 s14, s13, 8
	v_cmp_eq_u32_e32 vcc, s14, v7
	s_addk_i32 s13, 0x43
	s_or_b64 s[10:11], vcc, s[10:11]
	s_waitcnt vmcnt(0) lgkmcnt(0)
	v_mul_f64 v[32:33], v[4:5], v[198:199]
	v_mul_f64 v[138:139], v[2:3], v[198:199]
	v_fma_f64 v[32:33], v[2:3], v[196:197], -v[32:33]
	v_fmac_f64_e32 v[138:139], v[4:5], v[196:197]
	v_add_f64 v[2:3], v[22:23], v[32:33]
	v_add_f64 v[4:5], v[24:25], v[138:139]
	v_mov_b32_e32 v196, s13
	s_mov_b32 s13, s14
	s_andn2_b64 exec, exec, s[10:11]
	s_cbranch_execnz .LBB61_25
; %bb.26:
	s_or_b64 exec, exec, s[10:11]
.LBB61_27:
	s_or_b64 exec, exec, s[2:3]
	v_and_b32_e32 v6, 7, v6
	v_cmp_ne_u32_e32 vcc, 0, v6
	s_and_saveexec_b64 s[2:3], vcc
	s_cbranch_execz .LBB61_31
; %bb.28:
	v_lshlrev_b32_e32 v13, 4, v196
	v_add_u32_e32 v7, 0x3e0, v13
	v_add_u32_e32 v195, 0, v13
	s_mov_b64 s[10:11], 0
.LBB61_29:                              ; =>This Inner Loop Header: Depth=1
	scratch_load_dwordx4 v[196:199], v195, off
	ds_read_b128 v[200:203], v7
	v_add_u32_e32 v6, -1, v6
	v_cmp_eq_u32_e32 vcc, 0, v6
	v_add_u32_e32 v7, 16, v7
	v_add_u32_e32 v195, 16, v195
	s_or_b64 s[10:11], vcc, s[10:11]
	s_waitcnt vmcnt(0) lgkmcnt(0)
	v_mul_f64 v[22:23], v[202:203], v[198:199]
	v_mul_f64 v[24:25], v[200:201], v[198:199]
	v_fma_f64 v[22:23], v[200:201], v[196:197], -v[22:23]
	v_fmac_f64_e32 v[24:25], v[202:203], v[196:197]
	v_add_f64 v[2:3], v[2:3], v[22:23]
	v_add_f64 v[4:5], v[4:5], v[24:25]
	s_andn2_b64 exec, exec, s[10:11]
	s_cbranch_execnz .LBB61_29
; %bb.30:
	s_or_b64 exec, exec, s[10:11]
.LBB61_31:
	s_or_b64 exec, exec, s[2:3]
.LBB61_32:
	s_or_b64 exec, exec, s[8:9]
	v_mov_b32_e32 v6, 0
	ds_read_b128 v[196:199], v6 offset:928
	s_waitcnt lgkmcnt(0)
	v_mul_f64 v[6:7], v[4:5], v[198:199]
	v_mul_f64 v[200:201], v[2:3], v[198:199]
	v_fma_f64 v[198:199], v[2:3], v[196:197], -v[6:7]
	v_fmac_f64_e32 v[200:201], v[4:5], v[196:197]
	scratch_store_dwordx4 off, v[198:201], off offset:928
.LBB61_33:
	s_or_b64 exec, exec, s[4:5]
	scratch_load_dwordx4 v[2:5], v143, off
	v_cmp_lt_u32_e64 s[2:3], 57, v0
	s_waitcnt vmcnt(0)
	ds_write_b128 v9, v[2:5]
	s_waitcnt lgkmcnt(0)
	; wave barrier
	s_waitcnt lgkmcnt(0)
	s_and_saveexec_b64 s[4:5], s[2:3]
	s_cbranch_execz .LBB61_47
; %bb.34:
	ds_read_b128 v[2:5], v9
	s_andn2_b64 vcc, exec, s[6:7]
	s_cbranch_vccnz .LBB61_36
; %bb.35:
	scratch_load_dwordx4 v[196:199], v8, off
	s_waitcnt vmcnt(0) lgkmcnt(0)
	v_mul_f64 v[22:23], v[2:3], v[198:199]
	v_mul_f64 v[6:7], v[4:5], v[198:199]
	v_fmac_f64_e32 v[22:23], v[4:5], v[196:197]
	v_fma_f64 v[2:3], v[2:3], v[196:197], -v[6:7]
	v_mov_b64_e32 v[4:5], v[22:23]
.LBB61_36:
	s_and_saveexec_b64 s[8:9], s[0:1]
	s_cbranch_execz .LBB61_46
; %bb.37:
	v_subrev_u32_e32 v7, 59, v0
	v_subrev_u32_e32 v6, 58, v0
	v_cmp_lt_u32_e32 vcc, 6, v7
	v_mov_b32_e32 v196, 58
	s_and_saveexec_b64 s[0:1], vcc
	s_cbranch_execz .LBB61_41
; %bb.38:
	v_and_b32_e32 v7, -8, v6
	s_mov_b32 s12, 0
	s_mov_b64 s[10:11], 0
	v_mov_b32_e32 v195, 0
	s_mov_b32 s13, 0
.LBB61_39:                              ; =>This Inner Loop Header: Depth=1
	v_readfirstlane_b32 s14, v195
	s_add_i32 s14, s14, s12
	s_add_i32 s15, s14, 0x3a0
	v_mov_b32_e32 v13, s12
	ds_read_b128 v[196:199], v13 offset:1920
	ds_read_b128 v[200:203], v13 offset:1936
	;; [unrolled: 1-line block ×4, first 2 shown]
	scratch_load_dwordx4 v[212:215], off, s15
	s_add_i32 s15, s14, 0x3b0
	s_addk_i32 s12, 0x80
	s_waitcnt vmcnt(0) lgkmcnt(3)
	v_mul_f64 v[22:23], v[198:199], v[214:215]
	v_mul_f64 v[24:25], v[196:197], v[214:215]
	v_fma_f64 v[22:23], v[196:197], v[212:213], -v[22:23]
	v_fmac_f64_e32 v[24:25], v[198:199], v[212:213]
	v_add_f64 v[22:23], v[2:3], v[22:23]
	v_add_f64 v[24:25], v[4:5], v[24:25]
	scratch_load_dwordx4 v[2:5], off, s15
	s_add_i32 s15, s14, 0x3c0
	s_waitcnt vmcnt(0) lgkmcnt(2)
	v_mul_f64 v[32:33], v[202:203], v[4:5]
	v_mul_f64 v[4:5], v[200:201], v[4:5]
	v_fmac_f64_e32 v[4:5], v[202:203], v[2:3]
	v_fma_f64 v[32:33], v[200:201], v[2:3], -v[32:33]
	v_add_f64 v[24:25], v[24:25], v[4:5]
	scratch_load_dwordx4 v[2:5], off, s15
	v_add_f64 v[22:23], v[22:23], v[32:33]
	s_add_i32 s15, s14, 0x3d0
	s_waitcnt vmcnt(0) lgkmcnt(1)
	v_mul_f64 v[32:33], v[206:207], v[4:5]
	v_mul_f64 v[4:5], v[204:205], v[4:5]
	v_fmac_f64_e32 v[4:5], v[206:207], v[2:3]
	v_fma_f64 v[32:33], v[204:205], v[2:3], -v[32:33]
	v_add_f64 v[24:25], v[24:25], v[4:5]
	scratch_load_dwordx4 v[2:5], off, s15
	s_add_i32 s15, s14, 0x3e0
	scratch_load_dwordx4 v[196:199], off, s15
	v_add_f64 v[22:23], v[22:23], v[32:33]
	s_add_i32 s15, s14, 0x3f0
	s_waitcnt vmcnt(1) lgkmcnt(0)
	v_mul_f64 v[32:33], v[210:211], v[4:5]
	v_mul_f64 v[4:5], v[208:209], v[4:5]
	v_fmac_f64_e32 v[4:5], v[210:211], v[2:3]
	v_fma_f64 v[32:33], v[208:209], v[2:3], -v[32:33]
	v_add_f64 v[24:25], v[24:25], v[4:5]
	ds_read_b128 v[2:5], v13 offset:1984
	v_add_f64 v[22:23], v[22:23], v[32:33]
	s_waitcnt vmcnt(0) lgkmcnt(0)
	v_mul_f64 v[32:33], v[4:5], v[198:199]
	v_fma_f64 v[32:33], v[2:3], v[196:197], -v[32:33]
	v_mul_f64 v[2:3], v[2:3], v[198:199]
	v_fmac_f64_e32 v[2:3], v[4:5], v[196:197]
	scratch_load_dwordx4 v[196:199], off, s15
	v_add_f64 v[24:25], v[24:25], v[2:3]
	ds_read_b128 v[2:5], v13 offset:2000
	v_add_f64 v[22:23], v[22:23], v[32:33]
	s_add_i32 s15, s14, 0x400
	s_addk_i32 s14, 0x410
	s_waitcnt vmcnt(0) lgkmcnt(0)
	v_mul_f64 v[32:33], v[4:5], v[198:199]
	v_fma_f64 v[32:33], v[2:3], v[196:197], -v[32:33]
	v_mul_f64 v[2:3], v[2:3], v[198:199]
	v_fmac_f64_e32 v[2:3], v[4:5], v[196:197]
	scratch_load_dwordx4 v[196:199], off, s15
	v_add_f64 v[24:25], v[24:25], v[2:3]
	ds_read_b128 v[2:5], v13 offset:2016
	v_add_f64 v[22:23], v[22:23], v[32:33]
	s_waitcnt vmcnt(0) lgkmcnt(0)
	v_mul_f64 v[32:33], v[4:5], v[198:199]
	v_fma_f64 v[32:33], v[2:3], v[196:197], -v[32:33]
	v_mul_f64 v[2:3], v[2:3], v[198:199]
	v_fmac_f64_e32 v[2:3], v[4:5], v[196:197]
	scratch_load_dwordx4 v[196:199], off, s14
	v_add_f64 v[24:25], v[24:25], v[2:3]
	ds_read_b128 v[2:5], v13 offset:2032
	v_add_f64 v[22:23], v[22:23], v[32:33]
	s_add_i32 s14, s13, 8
	v_cmp_eq_u32_e32 vcc, s14, v7
	s_addk_i32 s13, 0x42
	s_or_b64 s[10:11], vcc, s[10:11]
	s_waitcnt vmcnt(0) lgkmcnt(0)
	v_mul_f64 v[32:33], v[4:5], v[198:199]
	v_mul_f64 v[138:139], v[2:3], v[198:199]
	v_fma_f64 v[32:33], v[2:3], v[196:197], -v[32:33]
	v_fmac_f64_e32 v[138:139], v[4:5], v[196:197]
	v_add_f64 v[2:3], v[22:23], v[32:33]
	v_add_f64 v[4:5], v[24:25], v[138:139]
	v_mov_b32_e32 v196, s13
	s_mov_b32 s13, s14
	s_andn2_b64 exec, exec, s[10:11]
	s_cbranch_execnz .LBB61_39
; %bb.40:
	s_or_b64 exec, exec, s[10:11]
.LBB61_41:
	s_or_b64 exec, exec, s[0:1]
	v_and_b32_e32 v6, 7, v6
	v_cmp_ne_u32_e32 vcc, 0, v6
	s_and_saveexec_b64 s[0:1], vcc
	s_cbranch_execz .LBB61_45
; %bb.42:
	v_lshlrev_b32_e32 v13, 4, v196
	v_add_u32_e32 v7, 0x3e0, v13
	v_add_u32_e32 v195, 0, v13
	s_mov_b64 s[10:11], 0
.LBB61_43:                              ; =>This Inner Loop Header: Depth=1
	scratch_load_dwordx4 v[196:199], v195, off
	ds_read_b128 v[200:203], v7
	v_add_u32_e32 v6, -1, v6
	v_cmp_eq_u32_e32 vcc, 0, v6
	v_add_u32_e32 v7, 16, v7
	v_add_u32_e32 v195, 16, v195
	s_or_b64 s[10:11], vcc, s[10:11]
	s_waitcnt vmcnt(0) lgkmcnt(0)
	v_mul_f64 v[22:23], v[202:203], v[198:199]
	v_mul_f64 v[24:25], v[200:201], v[198:199]
	v_fma_f64 v[22:23], v[200:201], v[196:197], -v[22:23]
	v_fmac_f64_e32 v[24:25], v[202:203], v[196:197]
	v_add_f64 v[2:3], v[2:3], v[22:23]
	v_add_f64 v[4:5], v[4:5], v[24:25]
	s_andn2_b64 exec, exec, s[10:11]
	s_cbranch_execnz .LBB61_43
; %bb.44:
	s_or_b64 exec, exec, s[10:11]
.LBB61_45:
	s_or_b64 exec, exec, s[0:1]
.LBB61_46:
	s_or_b64 exec, exec, s[8:9]
	v_mov_b32_e32 v6, 0
	ds_read_b128 v[196:199], v6 offset:912
	s_waitcnt lgkmcnt(0)
	v_mul_f64 v[6:7], v[4:5], v[198:199]
	v_mul_f64 v[200:201], v[2:3], v[198:199]
	v_fma_f64 v[198:199], v[2:3], v[196:197], -v[6:7]
	v_fmac_f64_e32 v[200:201], v[4:5], v[196:197]
	scratch_store_dwordx4 off, v[198:201], off offset:912
.LBB61_47:
	s_or_b64 exec, exec, s[4:5]
	scratch_load_dwordx4 v[2:5], v144, off
	v_cmp_lt_u32_e64 s[0:1], 56, v0
	s_waitcnt vmcnt(0)
	ds_write_b128 v9, v[2:5]
	s_waitcnt lgkmcnt(0)
	; wave barrier
	s_waitcnt lgkmcnt(0)
	s_and_saveexec_b64 s[4:5], s[0:1]
	s_cbranch_execz .LBB61_61
; %bb.48:
	ds_read_b128 v[2:5], v9
	s_andn2_b64 vcc, exec, s[6:7]
	s_cbranch_vccnz .LBB61_50
; %bb.49:
	scratch_load_dwordx4 v[196:199], v8, off
	s_waitcnt vmcnt(0) lgkmcnt(0)
	v_mul_f64 v[22:23], v[2:3], v[198:199]
	v_mul_f64 v[6:7], v[4:5], v[198:199]
	v_fmac_f64_e32 v[22:23], v[4:5], v[196:197]
	v_fma_f64 v[2:3], v[2:3], v[196:197], -v[6:7]
	v_mov_b64_e32 v[4:5], v[22:23]
.LBB61_50:
	s_and_saveexec_b64 s[8:9], s[2:3]
	s_cbranch_execz .LBB61_60
; %bb.51:
	v_subrev_u32_e32 v7, 58, v0
	v_subrev_u32_e32 v6, 57, v0
	v_cmp_lt_u32_e32 vcc, 6, v7
	v_mov_b32_e32 v196, 57
	s_and_saveexec_b64 s[2:3], vcc
	s_cbranch_execz .LBB61_55
; %bb.52:
	v_and_b32_e32 v7, -8, v6
	s_mov_b32 s12, 0
	s_mov_b64 s[10:11], 0
	v_mov_b32_e32 v195, 0
	s_mov_b32 s13, 0
.LBB61_53:                              ; =>This Inner Loop Header: Depth=1
	v_readfirstlane_b32 s14, v195
	s_add_i32 s14, s14, s12
	s_add_i32 s15, s14, 0x390
	v_mov_b32_e32 v13, s12
	ds_read_b128 v[196:199], v13 offset:1904
	ds_read_b128 v[200:203], v13 offset:1920
	;; [unrolled: 1-line block ×4, first 2 shown]
	scratch_load_dwordx4 v[212:215], off, s15
	s_add_i32 s15, s14, 0x3a0
	s_addk_i32 s12, 0x80
	s_waitcnt vmcnt(0) lgkmcnt(3)
	v_mul_f64 v[22:23], v[198:199], v[214:215]
	v_mul_f64 v[24:25], v[196:197], v[214:215]
	v_fma_f64 v[22:23], v[196:197], v[212:213], -v[22:23]
	v_fmac_f64_e32 v[24:25], v[198:199], v[212:213]
	v_add_f64 v[22:23], v[2:3], v[22:23]
	v_add_f64 v[24:25], v[4:5], v[24:25]
	scratch_load_dwordx4 v[2:5], off, s15
	s_add_i32 s15, s14, 0x3b0
	s_waitcnt vmcnt(0) lgkmcnt(2)
	v_mul_f64 v[32:33], v[202:203], v[4:5]
	v_mul_f64 v[4:5], v[200:201], v[4:5]
	v_fmac_f64_e32 v[4:5], v[202:203], v[2:3]
	v_fma_f64 v[32:33], v[200:201], v[2:3], -v[32:33]
	v_add_f64 v[24:25], v[24:25], v[4:5]
	scratch_load_dwordx4 v[2:5], off, s15
	v_add_f64 v[22:23], v[22:23], v[32:33]
	s_add_i32 s15, s14, 0x3c0
	s_waitcnt vmcnt(0) lgkmcnt(1)
	v_mul_f64 v[32:33], v[206:207], v[4:5]
	v_mul_f64 v[4:5], v[204:205], v[4:5]
	v_fmac_f64_e32 v[4:5], v[206:207], v[2:3]
	v_fma_f64 v[32:33], v[204:205], v[2:3], -v[32:33]
	v_add_f64 v[24:25], v[24:25], v[4:5]
	scratch_load_dwordx4 v[2:5], off, s15
	s_add_i32 s15, s14, 0x3d0
	scratch_load_dwordx4 v[196:199], off, s15
	v_add_f64 v[22:23], v[22:23], v[32:33]
	s_add_i32 s15, s14, 0x3e0
	s_waitcnt vmcnt(1) lgkmcnt(0)
	v_mul_f64 v[32:33], v[210:211], v[4:5]
	v_mul_f64 v[4:5], v[208:209], v[4:5]
	v_fmac_f64_e32 v[4:5], v[210:211], v[2:3]
	v_fma_f64 v[32:33], v[208:209], v[2:3], -v[32:33]
	v_add_f64 v[24:25], v[24:25], v[4:5]
	ds_read_b128 v[2:5], v13 offset:1968
	v_add_f64 v[22:23], v[22:23], v[32:33]
	s_waitcnt vmcnt(0) lgkmcnt(0)
	v_mul_f64 v[32:33], v[4:5], v[198:199]
	v_fma_f64 v[32:33], v[2:3], v[196:197], -v[32:33]
	v_mul_f64 v[2:3], v[2:3], v[198:199]
	v_fmac_f64_e32 v[2:3], v[4:5], v[196:197]
	scratch_load_dwordx4 v[196:199], off, s15
	v_add_f64 v[24:25], v[24:25], v[2:3]
	ds_read_b128 v[2:5], v13 offset:1984
	v_add_f64 v[22:23], v[22:23], v[32:33]
	s_add_i32 s15, s14, 0x3f0
	s_addk_i32 s14, 0x400
	s_waitcnt vmcnt(0) lgkmcnt(0)
	v_mul_f64 v[32:33], v[4:5], v[198:199]
	v_fma_f64 v[32:33], v[2:3], v[196:197], -v[32:33]
	v_mul_f64 v[2:3], v[2:3], v[198:199]
	v_fmac_f64_e32 v[2:3], v[4:5], v[196:197]
	scratch_load_dwordx4 v[196:199], off, s15
	v_add_f64 v[24:25], v[24:25], v[2:3]
	ds_read_b128 v[2:5], v13 offset:2000
	v_add_f64 v[22:23], v[22:23], v[32:33]
	s_waitcnt vmcnt(0) lgkmcnt(0)
	v_mul_f64 v[32:33], v[4:5], v[198:199]
	v_fma_f64 v[32:33], v[2:3], v[196:197], -v[32:33]
	v_mul_f64 v[2:3], v[2:3], v[198:199]
	v_fmac_f64_e32 v[2:3], v[4:5], v[196:197]
	scratch_load_dwordx4 v[196:199], off, s14
	v_add_f64 v[24:25], v[24:25], v[2:3]
	ds_read_b128 v[2:5], v13 offset:2016
	v_add_f64 v[22:23], v[22:23], v[32:33]
	s_add_i32 s14, s13, 8
	v_cmp_eq_u32_e32 vcc, s14, v7
	s_addk_i32 s13, 0x41
	s_or_b64 s[10:11], vcc, s[10:11]
	s_waitcnt vmcnt(0) lgkmcnt(0)
	v_mul_f64 v[32:33], v[4:5], v[198:199]
	v_mul_f64 v[138:139], v[2:3], v[198:199]
	v_fma_f64 v[32:33], v[2:3], v[196:197], -v[32:33]
	v_fmac_f64_e32 v[138:139], v[4:5], v[196:197]
	v_add_f64 v[2:3], v[22:23], v[32:33]
	v_add_f64 v[4:5], v[24:25], v[138:139]
	v_mov_b32_e32 v196, s13
	s_mov_b32 s13, s14
	s_andn2_b64 exec, exec, s[10:11]
	s_cbranch_execnz .LBB61_53
; %bb.54:
	s_or_b64 exec, exec, s[10:11]
.LBB61_55:
	s_or_b64 exec, exec, s[2:3]
	v_and_b32_e32 v6, 7, v6
	v_cmp_ne_u32_e32 vcc, 0, v6
	s_and_saveexec_b64 s[2:3], vcc
	s_cbranch_execz .LBB61_59
; %bb.56:
	v_lshlrev_b32_e32 v13, 4, v196
	v_add_u32_e32 v7, 0x3e0, v13
	v_add_u32_e32 v195, 0, v13
	s_mov_b64 s[10:11], 0
.LBB61_57:                              ; =>This Inner Loop Header: Depth=1
	scratch_load_dwordx4 v[196:199], v195, off
	ds_read_b128 v[200:203], v7
	v_add_u32_e32 v6, -1, v6
	v_cmp_eq_u32_e32 vcc, 0, v6
	v_add_u32_e32 v7, 16, v7
	v_add_u32_e32 v195, 16, v195
	s_or_b64 s[10:11], vcc, s[10:11]
	s_waitcnt vmcnt(0) lgkmcnt(0)
	v_mul_f64 v[22:23], v[202:203], v[198:199]
	v_mul_f64 v[24:25], v[200:201], v[198:199]
	v_fma_f64 v[22:23], v[200:201], v[196:197], -v[22:23]
	v_fmac_f64_e32 v[24:25], v[202:203], v[196:197]
	v_add_f64 v[2:3], v[2:3], v[22:23]
	v_add_f64 v[4:5], v[4:5], v[24:25]
	s_andn2_b64 exec, exec, s[10:11]
	s_cbranch_execnz .LBB61_57
; %bb.58:
	s_or_b64 exec, exec, s[10:11]
.LBB61_59:
	s_or_b64 exec, exec, s[2:3]
.LBB61_60:
	s_or_b64 exec, exec, s[8:9]
	v_mov_b32_e32 v6, 0
	ds_read_b128 v[196:199], v6 offset:896
	s_waitcnt lgkmcnt(0)
	v_mul_f64 v[6:7], v[4:5], v[198:199]
	v_mul_f64 v[200:201], v[2:3], v[198:199]
	v_fma_f64 v[198:199], v[2:3], v[196:197], -v[6:7]
	v_fmac_f64_e32 v[200:201], v[4:5], v[196:197]
	scratch_store_dwordx4 off, v[198:201], off offset:896
.LBB61_61:
	s_or_b64 exec, exec, s[4:5]
	scratch_load_dwordx4 v[2:5], v145, off
	v_cmp_lt_u32_e64 s[2:3], 55, v0
	s_waitcnt vmcnt(0)
	ds_write_b128 v9, v[2:5]
	s_waitcnt lgkmcnt(0)
	; wave barrier
	s_waitcnt lgkmcnt(0)
	s_and_saveexec_b64 s[4:5], s[2:3]
	s_cbranch_execz .LBB61_75
; %bb.62:
	ds_read_b128 v[2:5], v9
	s_andn2_b64 vcc, exec, s[6:7]
	s_cbranch_vccnz .LBB61_64
; %bb.63:
	scratch_load_dwordx4 v[196:199], v8, off
	s_waitcnt vmcnt(0) lgkmcnt(0)
	v_mul_f64 v[22:23], v[2:3], v[198:199]
	v_mul_f64 v[6:7], v[4:5], v[198:199]
	v_fmac_f64_e32 v[22:23], v[4:5], v[196:197]
	v_fma_f64 v[2:3], v[2:3], v[196:197], -v[6:7]
	v_mov_b64_e32 v[4:5], v[22:23]
.LBB61_64:
	s_and_saveexec_b64 s[8:9], s[0:1]
	s_cbranch_execz .LBB61_74
; %bb.65:
	v_subrev_u32_e32 v6, 57, v0
	v_cmp_lt_u32_e32 vcc, 6, v6
	v_mov_b32_e32 v6, 56
	s_and_saveexec_b64 s[0:1], vcc
	s_cbranch_execz .LBB61_69
; %bb.66:
	s_mov_b32 s12, 56
	v_and_b32_e32 v6, 56, v0
	s_mov_b32 s13, 0
	s_mov_b64 s[10:11], 0
	v_mov_b32_e32 v7, 0
.LBB61_67:                              ; =>This Inner Loop Header: Depth=1
	s_nop 0
	v_readfirstlane_b32 s14, v7
	s_add_i32 s14, s14, s13
	s_add_i32 s15, s14, 0x380
	v_mov_b32_e32 v13, s13
	ds_read_b128 v[196:199], v13 offset:1888
	ds_read_b128 v[200:203], v13 offset:1904
	;; [unrolled: 1-line block ×4, first 2 shown]
	scratch_load_dwordx4 v[212:215], off, s15
	s_add_i32 s15, s14, 0x390
	s_add_i32 s12, s12, 8
	s_addk_i32 s13, 0x80
	v_cmp_eq_u32_e32 vcc, s12, v6
	s_waitcnt vmcnt(0) lgkmcnt(3)
	v_mul_f64 v[22:23], v[198:199], v[214:215]
	v_mul_f64 v[24:25], v[196:197], v[214:215]
	v_fma_f64 v[22:23], v[196:197], v[212:213], -v[22:23]
	v_fmac_f64_e32 v[24:25], v[198:199], v[212:213]
	v_add_f64 v[22:23], v[2:3], v[22:23]
	v_add_f64 v[24:25], v[4:5], v[24:25]
	scratch_load_dwordx4 v[2:5], off, s15
	s_add_i32 s15, s14, 0x3a0
	s_waitcnt vmcnt(0) lgkmcnt(2)
	v_mul_f64 v[32:33], v[202:203], v[4:5]
	v_mul_f64 v[4:5], v[200:201], v[4:5]
	v_fmac_f64_e32 v[4:5], v[202:203], v[2:3]
	v_fma_f64 v[32:33], v[200:201], v[2:3], -v[32:33]
	v_add_f64 v[24:25], v[24:25], v[4:5]
	scratch_load_dwordx4 v[2:5], off, s15
	v_add_f64 v[22:23], v[22:23], v[32:33]
	s_add_i32 s15, s14, 0x3b0
	s_waitcnt vmcnt(0) lgkmcnt(1)
	v_mul_f64 v[32:33], v[206:207], v[4:5]
	v_mul_f64 v[4:5], v[204:205], v[4:5]
	v_fmac_f64_e32 v[4:5], v[206:207], v[2:3]
	v_fma_f64 v[32:33], v[204:205], v[2:3], -v[32:33]
	v_add_f64 v[24:25], v[24:25], v[4:5]
	scratch_load_dwordx4 v[2:5], off, s15
	s_add_i32 s15, s14, 0x3c0
	scratch_load_dwordx4 v[196:199], off, s15
	v_add_f64 v[22:23], v[22:23], v[32:33]
	s_add_i32 s15, s14, 0x3d0
	s_waitcnt vmcnt(1) lgkmcnt(0)
	v_mul_f64 v[32:33], v[210:211], v[4:5]
	v_mul_f64 v[4:5], v[208:209], v[4:5]
	v_fmac_f64_e32 v[4:5], v[210:211], v[2:3]
	v_fma_f64 v[32:33], v[208:209], v[2:3], -v[32:33]
	v_add_f64 v[24:25], v[24:25], v[4:5]
	ds_read_b128 v[2:5], v13 offset:1952
	v_add_f64 v[22:23], v[22:23], v[32:33]
	s_waitcnt vmcnt(0) lgkmcnt(0)
	v_mul_f64 v[32:33], v[4:5], v[198:199]
	v_fma_f64 v[32:33], v[2:3], v[196:197], -v[32:33]
	v_mul_f64 v[2:3], v[2:3], v[198:199]
	v_fmac_f64_e32 v[2:3], v[4:5], v[196:197]
	scratch_load_dwordx4 v[196:199], off, s15
	v_add_f64 v[24:25], v[24:25], v[2:3]
	ds_read_b128 v[2:5], v13 offset:1968
	v_add_f64 v[22:23], v[22:23], v[32:33]
	s_add_i32 s15, s14, 0x3e0
	s_addk_i32 s14, 0x3f0
	s_or_b64 s[10:11], vcc, s[10:11]
	s_waitcnt vmcnt(0) lgkmcnt(0)
	v_mul_f64 v[32:33], v[4:5], v[198:199]
	v_fma_f64 v[32:33], v[2:3], v[196:197], -v[32:33]
	v_mul_f64 v[2:3], v[2:3], v[198:199]
	v_fmac_f64_e32 v[2:3], v[4:5], v[196:197]
	scratch_load_dwordx4 v[196:199], off, s15
	v_add_f64 v[24:25], v[24:25], v[2:3]
	ds_read_b128 v[2:5], v13 offset:1984
	v_add_f64 v[22:23], v[22:23], v[32:33]
	s_waitcnt vmcnt(0) lgkmcnt(0)
	v_mul_f64 v[32:33], v[4:5], v[198:199]
	v_fma_f64 v[32:33], v[2:3], v[196:197], -v[32:33]
	v_mul_f64 v[2:3], v[2:3], v[198:199]
	v_fmac_f64_e32 v[2:3], v[4:5], v[196:197]
	scratch_load_dwordx4 v[196:199], off, s14
	v_add_f64 v[24:25], v[24:25], v[2:3]
	ds_read_b128 v[2:5], v13 offset:2000
	v_add_f64 v[22:23], v[22:23], v[32:33]
	s_waitcnt vmcnt(0) lgkmcnt(0)
	v_mul_f64 v[32:33], v[4:5], v[198:199]
	v_mul_f64 v[138:139], v[2:3], v[198:199]
	v_fma_f64 v[32:33], v[2:3], v[196:197], -v[32:33]
	v_fmac_f64_e32 v[138:139], v[4:5], v[196:197]
	v_add_f64 v[2:3], v[22:23], v[32:33]
	v_add_f64 v[4:5], v[24:25], v[138:139]
	s_andn2_b64 exec, exec, s[10:11]
	s_cbranch_execnz .LBB61_67
; %bb.68:
	s_or_b64 exec, exec, s[10:11]
.LBB61_69:
	s_or_b64 exec, exec, s[0:1]
	v_and_b32_e32 v7, 7, v0
	v_cmp_ne_u32_e32 vcc, 0, v7
	s_and_saveexec_b64 s[0:1], vcc
	s_cbranch_execz .LBB61_73
; %bb.70:
	v_lshlrev_b32_e32 v13, 4, v6
	v_add_u32_e32 v6, 0x3e0, v13
	v_add_u32_e32 v195, 0, v13
	s_mov_b64 s[10:11], 0
.LBB61_71:                              ; =>This Inner Loop Header: Depth=1
	scratch_load_dwordx4 v[196:199], v195, off
	ds_read_b128 v[200:203], v6
	v_add_u32_e32 v7, -1, v7
	v_cmp_eq_u32_e32 vcc, 0, v7
	v_add_u32_e32 v6, 16, v6
	v_add_u32_e32 v195, 16, v195
	s_or_b64 s[10:11], vcc, s[10:11]
	s_waitcnt vmcnt(0) lgkmcnt(0)
	v_mul_f64 v[22:23], v[202:203], v[198:199]
	v_mul_f64 v[24:25], v[200:201], v[198:199]
	v_fma_f64 v[22:23], v[200:201], v[196:197], -v[22:23]
	v_fmac_f64_e32 v[24:25], v[202:203], v[196:197]
	v_add_f64 v[2:3], v[2:3], v[22:23]
	v_add_f64 v[4:5], v[4:5], v[24:25]
	s_andn2_b64 exec, exec, s[10:11]
	s_cbranch_execnz .LBB61_71
; %bb.72:
	s_or_b64 exec, exec, s[10:11]
.LBB61_73:
	s_or_b64 exec, exec, s[0:1]
.LBB61_74:
	s_or_b64 exec, exec, s[8:9]
	v_mov_b32_e32 v6, 0
	ds_read_b128 v[196:199], v6 offset:880
	s_waitcnt lgkmcnt(0)
	v_mul_f64 v[6:7], v[4:5], v[198:199]
	v_mul_f64 v[200:201], v[2:3], v[198:199]
	v_fma_f64 v[198:199], v[2:3], v[196:197], -v[6:7]
	v_fmac_f64_e32 v[200:201], v[4:5], v[196:197]
	scratch_store_dwordx4 off, v[198:201], off offset:880
.LBB61_75:
	s_or_b64 exec, exec, s[4:5]
	scratch_load_dwordx4 v[2:5], v216, off
	v_cmp_lt_u32_e64 s[0:1], 54, v0
	s_waitcnt vmcnt(0)
	ds_write_b128 v9, v[2:5]
	s_waitcnt lgkmcnt(0)
	; wave barrier
	s_waitcnt lgkmcnt(0)
	s_and_saveexec_b64 s[4:5], s[0:1]
	s_cbranch_execz .LBB61_89
; %bb.76:
	ds_read_b128 v[2:5], v9
	s_andn2_b64 vcc, exec, s[6:7]
	s_cbranch_vccnz .LBB61_78
; %bb.77:
	scratch_load_dwordx4 v[196:199], v8, off
	s_waitcnt vmcnt(0) lgkmcnt(0)
	v_mul_f64 v[22:23], v[2:3], v[198:199]
	v_mul_f64 v[6:7], v[4:5], v[198:199]
	v_fmac_f64_e32 v[22:23], v[4:5], v[196:197]
	v_fma_f64 v[2:3], v[2:3], v[196:197], -v[6:7]
	v_mov_b64_e32 v[4:5], v[22:23]
.LBB61_78:
	s_and_saveexec_b64 s[8:9], s[2:3]
	s_cbranch_execz .LBB61_88
; %bb.79:
	v_subrev_u32_e32 v7, 56, v0
	v_subrev_u32_e32 v6, 55, v0
	v_cmp_lt_u32_e32 vcc, 6, v7
	v_mov_b32_e32 v196, 55
	s_and_saveexec_b64 s[2:3], vcc
	s_cbranch_execz .LBB61_83
; %bb.80:
	v_and_b32_e32 v7, -8, v6
	s_mov_b32 s12, 0
	s_mov_b64 s[10:11], 0
	v_mov_b32_e32 v195, 0
	s_mov_b32 s13, 0
.LBB61_81:                              ; =>This Inner Loop Header: Depth=1
	v_readfirstlane_b32 s14, v195
	s_add_i32 s14, s14, s12
	s_add_i32 s15, s14, 0x370
	v_mov_b32_e32 v13, s12
	ds_read_b128 v[196:199], v13 offset:1872
	ds_read_b128 v[200:203], v13 offset:1888
	;; [unrolled: 1-line block ×4, first 2 shown]
	scratch_load_dwordx4 v[212:215], off, s15
	s_add_i32 s15, s14, 0x380
	s_addk_i32 s12, 0x80
	s_waitcnt vmcnt(0) lgkmcnt(3)
	v_mul_f64 v[22:23], v[198:199], v[214:215]
	v_mul_f64 v[24:25], v[196:197], v[214:215]
	v_fma_f64 v[22:23], v[196:197], v[212:213], -v[22:23]
	v_fmac_f64_e32 v[24:25], v[198:199], v[212:213]
	v_add_f64 v[22:23], v[2:3], v[22:23]
	v_add_f64 v[24:25], v[4:5], v[24:25]
	scratch_load_dwordx4 v[2:5], off, s15
	s_add_i32 s15, s14, 0x390
	s_waitcnt vmcnt(0) lgkmcnt(2)
	v_mul_f64 v[32:33], v[202:203], v[4:5]
	v_mul_f64 v[4:5], v[200:201], v[4:5]
	v_fmac_f64_e32 v[4:5], v[202:203], v[2:3]
	v_fma_f64 v[32:33], v[200:201], v[2:3], -v[32:33]
	v_add_f64 v[24:25], v[24:25], v[4:5]
	scratch_load_dwordx4 v[2:5], off, s15
	v_add_f64 v[22:23], v[22:23], v[32:33]
	s_add_i32 s15, s14, 0x3a0
	s_waitcnt vmcnt(0) lgkmcnt(1)
	v_mul_f64 v[32:33], v[206:207], v[4:5]
	v_mul_f64 v[4:5], v[204:205], v[4:5]
	v_fmac_f64_e32 v[4:5], v[206:207], v[2:3]
	v_fma_f64 v[32:33], v[204:205], v[2:3], -v[32:33]
	v_add_f64 v[24:25], v[24:25], v[4:5]
	scratch_load_dwordx4 v[2:5], off, s15
	s_add_i32 s15, s14, 0x3b0
	scratch_load_dwordx4 v[196:199], off, s15
	v_add_f64 v[22:23], v[22:23], v[32:33]
	s_add_i32 s15, s14, 0x3c0
	s_waitcnt vmcnt(1) lgkmcnt(0)
	v_mul_f64 v[32:33], v[210:211], v[4:5]
	v_mul_f64 v[4:5], v[208:209], v[4:5]
	v_fmac_f64_e32 v[4:5], v[210:211], v[2:3]
	v_fma_f64 v[32:33], v[208:209], v[2:3], -v[32:33]
	v_add_f64 v[24:25], v[24:25], v[4:5]
	ds_read_b128 v[2:5], v13 offset:1936
	v_add_f64 v[22:23], v[22:23], v[32:33]
	s_waitcnt vmcnt(0) lgkmcnt(0)
	v_mul_f64 v[32:33], v[4:5], v[198:199]
	v_fma_f64 v[32:33], v[2:3], v[196:197], -v[32:33]
	v_mul_f64 v[2:3], v[2:3], v[198:199]
	v_fmac_f64_e32 v[2:3], v[4:5], v[196:197]
	scratch_load_dwordx4 v[196:199], off, s15
	v_add_f64 v[24:25], v[24:25], v[2:3]
	ds_read_b128 v[2:5], v13 offset:1952
	v_add_f64 v[22:23], v[22:23], v[32:33]
	s_add_i32 s15, s14, 0x3d0
	s_addk_i32 s14, 0x3e0
	s_waitcnt vmcnt(0) lgkmcnt(0)
	v_mul_f64 v[32:33], v[4:5], v[198:199]
	v_fma_f64 v[32:33], v[2:3], v[196:197], -v[32:33]
	v_mul_f64 v[2:3], v[2:3], v[198:199]
	v_fmac_f64_e32 v[2:3], v[4:5], v[196:197]
	scratch_load_dwordx4 v[196:199], off, s15
	v_add_f64 v[24:25], v[24:25], v[2:3]
	ds_read_b128 v[2:5], v13 offset:1968
	v_add_f64 v[22:23], v[22:23], v[32:33]
	s_waitcnt vmcnt(0) lgkmcnt(0)
	v_mul_f64 v[32:33], v[4:5], v[198:199]
	v_fma_f64 v[32:33], v[2:3], v[196:197], -v[32:33]
	v_mul_f64 v[2:3], v[2:3], v[198:199]
	v_fmac_f64_e32 v[2:3], v[4:5], v[196:197]
	scratch_load_dwordx4 v[196:199], off, s14
	v_add_f64 v[24:25], v[24:25], v[2:3]
	ds_read_b128 v[2:5], v13 offset:1984
	v_add_f64 v[22:23], v[22:23], v[32:33]
	s_add_i32 s14, s13, 8
	v_cmp_eq_u32_e32 vcc, s14, v7
	s_add_i32 s13, s13, 63
	s_or_b64 s[10:11], vcc, s[10:11]
	s_waitcnt vmcnt(0) lgkmcnt(0)
	v_mul_f64 v[32:33], v[4:5], v[198:199]
	v_mul_f64 v[138:139], v[2:3], v[198:199]
	v_fma_f64 v[32:33], v[2:3], v[196:197], -v[32:33]
	v_fmac_f64_e32 v[138:139], v[4:5], v[196:197]
	v_add_f64 v[2:3], v[22:23], v[32:33]
	v_add_f64 v[4:5], v[24:25], v[138:139]
	v_mov_b32_e32 v196, s13
	s_mov_b32 s13, s14
	s_andn2_b64 exec, exec, s[10:11]
	s_cbranch_execnz .LBB61_81
; %bb.82:
	s_or_b64 exec, exec, s[10:11]
.LBB61_83:
	s_or_b64 exec, exec, s[2:3]
	v_and_b32_e32 v6, 7, v6
	v_cmp_ne_u32_e32 vcc, 0, v6
	s_and_saveexec_b64 s[2:3], vcc
	s_cbranch_execz .LBB61_87
; %bb.84:
	v_lshlrev_b32_e32 v13, 4, v196
	v_add_u32_e32 v7, 0x3e0, v13
	v_add_u32_e32 v195, 0, v13
	s_mov_b64 s[10:11], 0
.LBB61_85:                              ; =>This Inner Loop Header: Depth=1
	scratch_load_dwordx4 v[196:199], v195, off
	ds_read_b128 v[200:203], v7
	v_add_u32_e32 v6, -1, v6
	v_cmp_eq_u32_e32 vcc, 0, v6
	v_add_u32_e32 v7, 16, v7
	v_add_u32_e32 v195, 16, v195
	s_or_b64 s[10:11], vcc, s[10:11]
	s_waitcnt vmcnt(0) lgkmcnt(0)
	v_mul_f64 v[22:23], v[202:203], v[198:199]
	v_mul_f64 v[24:25], v[200:201], v[198:199]
	v_fma_f64 v[22:23], v[200:201], v[196:197], -v[22:23]
	v_fmac_f64_e32 v[24:25], v[202:203], v[196:197]
	v_add_f64 v[2:3], v[2:3], v[22:23]
	v_add_f64 v[4:5], v[4:5], v[24:25]
	s_andn2_b64 exec, exec, s[10:11]
	s_cbranch_execnz .LBB61_85
; %bb.86:
	s_or_b64 exec, exec, s[10:11]
.LBB61_87:
	s_or_b64 exec, exec, s[2:3]
.LBB61_88:
	s_or_b64 exec, exec, s[8:9]
	v_mov_b32_e32 v6, 0
	ds_read_b128 v[196:199], v6 offset:864
	s_waitcnt lgkmcnt(0)
	v_mul_f64 v[6:7], v[4:5], v[198:199]
	v_mul_f64 v[200:201], v[2:3], v[198:199]
	v_fma_f64 v[198:199], v[2:3], v[196:197], -v[6:7]
	v_fmac_f64_e32 v[200:201], v[4:5], v[196:197]
	scratch_store_dwordx4 off, v[198:201], off offset:864
.LBB61_89:
	s_or_b64 exec, exec, s[4:5]
	scratch_load_dwordx4 v[2:5], v117, off
	v_cmp_lt_u32_e64 s[2:3], 53, v0
	s_waitcnt vmcnt(0)
	ds_write_b128 v9, v[2:5]
	s_waitcnt lgkmcnt(0)
	; wave barrier
	s_waitcnt lgkmcnt(0)
	s_and_saveexec_b64 s[4:5], s[2:3]
	s_cbranch_execz .LBB61_103
; %bb.90:
	ds_read_b128 v[2:5], v9
	s_andn2_b64 vcc, exec, s[6:7]
	s_cbranch_vccnz .LBB61_92
; %bb.91:
	scratch_load_dwordx4 v[196:199], v8, off
	s_waitcnt vmcnt(0) lgkmcnt(0)
	v_mul_f64 v[22:23], v[2:3], v[198:199]
	v_mul_f64 v[6:7], v[4:5], v[198:199]
	v_fmac_f64_e32 v[22:23], v[4:5], v[196:197]
	v_fma_f64 v[2:3], v[2:3], v[196:197], -v[6:7]
	v_mov_b64_e32 v[4:5], v[22:23]
.LBB61_92:
	s_and_saveexec_b64 s[8:9], s[0:1]
	s_cbranch_execz .LBB61_102
; %bb.93:
	v_subrev_u32_e32 v7, 55, v0
	v_subrev_u32_e32 v6, 54, v0
	v_cmp_lt_u32_e32 vcc, 6, v7
	v_mov_b32_e32 v196, 54
	s_and_saveexec_b64 s[0:1], vcc
	s_cbranch_execz .LBB61_97
; %bb.94:
	v_and_b32_e32 v7, -8, v6
	s_mov_b32 s12, 0
	s_mov_b64 s[10:11], 0
	v_mov_b32_e32 v195, 0
	s_mov_b32 s13, 0
.LBB61_95:                              ; =>This Inner Loop Header: Depth=1
	v_readfirstlane_b32 s14, v195
	s_add_i32 s14, s14, s12
	s_add_i32 s15, s14, 0x360
	v_mov_b32_e32 v13, s12
	ds_read_b128 v[196:199], v13 offset:1856
	ds_read_b128 v[200:203], v13 offset:1872
	;; [unrolled: 1-line block ×4, first 2 shown]
	scratch_load_dwordx4 v[212:215], off, s15
	s_add_i32 s15, s14, 0x370
	s_addk_i32 s12, 0x80
	s_waitcnt vmcnt(0) lgkmcnt(3)
	v_mul_f64 v[22:23], v[198:199], v[214:215]
	v_mul_f64 v[24:25], v[196:197], v[214:215]
	v_fma_f64 v[22:23], v[196:197], v[212:213], -v[22:23]
	v_fmac_f64_e32 v[24:25], v[198:199], v[212:213]
	v_add_f64 v[22:23], v[2:3], v[22:23]
	v_add_f64 v[24:25], v[4:5], v[24:25]
	scratch_load_dwordx4 v[2:5], off, s15
	s_add_i32 s15, s14, 0x380
	s_waitcnt vmcnt(0) lgkmcnt(2)
	v_mul_f64 v[32:33], v[202:203], v[4:5]
	v_mul_f64 v[4:5], v[200:201], v[4:5]
	v_fmac_f64_e32 v[4:5], v[202:203], v[2:3]
	v_fma_f64 v[32:33], v[200:201], v[2:3], -v[32:33]
	v_add_f64 v[24:25], v[24:25], v[4:5]
	scratch_load_dwordx4 v[2:5], off, s15
	v_add_f64 v[22:23], v[22:23], v[32:33]
	s_add_i32 s15, s14, 0x390
	s_waitcnt vmcnt(0) lgkmcnt(1)
	v_mul_f64 v[32:33], v[206:207], v[4:5]
	v_mul_f64 v[4:5], v[204:205], v[4:5]
	v_fmac_f64_e32 v[4:5], v[206:207], v[2:3]
	v_fma_f64 v[32:33], v[204:205], v[2:3], -v[32:33]
	v_add_f64 v[24:25], v[24:25], v[4:5]
	scratch_load_dwordx4 v[2:5], off, s15
	s_add_i32 s15, s14, 0x3a0
	scratch_load_dwordx4 v[196:199], off, s15
	v_add_f64 v[22:23], v[22:23], v[32:33]
	s_add_i32 s15, s14, 0x3b0
	s_waitcnt vmcnt(1) lgkmcnt(0)
	v_mul_f64 v[32:33], v[210:211], v[4:5]
	v_mul_f64 v[4:5], v[208:209], v[4:5]
	v_fmac_f64_e32 v[4:5], v[210:211], v[2:3]
	v_fma_f64 v[32:33], v[208:209], v[2:3], -v[32:33]
	v_add_f64 v[24:25], v[24:25], v[4:5]
	ds_read_b128 v[2:5], v13 offset:1920
	v_add_f64 v[22:23], v[22:23], v[32:33]
	s_waitcnt vmcnt(0) lgkmcnt(0)
	v_mul_f64 v[32:33], v[4:5], v[198:199]
	v_fma_f64 v[32:33], v[2:3], v[196:197], -v[32:33]
	v_mul_f64 v[2:3], v[2:3], v[198:199]
	v_fmac_f64_e32 v[2:3], v[4:5], v[196:197]
	scratch_load_dwordx4 v[196:199], off, s15
	v_add_f64 v[24:25], v[24:25], v[2:3]
	ds_read_b128 v[2:5], v13 offset:1936
	v_add_f64 v[22:23], v[22:23], v[32:33]
	s_add_i32 s15, s14, 0x3c0
	s_addk_i32 s14, 0x3d0
	s_waitcnt vmcnt(0) lgkmcnt(0)
	v_mul_f64 v[32:33], v[4:5], v[198:199]
	v_fma_f64 v[32:33], v[2:3], v[196:197], -v[32:33]
	v_mul_f64 v[2:3], v[2:3], v[198:199]
	v_fmac_f64_e32 v[2:3], v[4:5], v[196:197]
	scratch_load_dwordx4 v[196:199], off, s15
	v_add_f64 v[24:25], v[24:25], v[2:3]
	ds_read_b128 v[2:5], v13 offset:1952
	v_add_f64 v[22:23], v[22:23], v[32:33]
	s_waitcnt vmcnt(0) lgkmcnt(0)
	v_mul_f64 v[32:33], v[4:5], v[198:199]
	v_fma_f64 v[32:33], v[2:3], v[196:197], -v[32:33]
	v_mul_f64 v[2:3], v[2:3], v[198:199]
	v_fmac_f64_e32 v[2:3], v[4:5], v[196:197]
	scratch_load_dwordx4 v[196:199], off, s14
	v_add_f64 v[24:25], v[24:25], v[2:3]
	ds_read_b128 v[2:5], v13 offset:1968
	v_add_f64 v[22:23], v[22:23], v[32:33]
	s_add_i32 s14, s13, 8
	v_cmp_eq_u32_e32 vcc, s14, v7
	s_add_i32 s13, s13, 62
	s_or_b64 s[10:11], vcc, s[10:11]
	s_waitcnt vmcnt(0) lgkmcnt(0)
	v_mul_f64 v[32:33], v[4:5], v[198:199]
	v_mul_f64 v[138:139], v[2:3], v[198:199]
	v_fma_f64 v[32:33], v[2:3], v[196:197], -v[32:33]
	v_fmac_f64_e32 v[138:139], v[4:5], v[196:197]
	v_add_f64 v[2:3], v[22:23], v[32:33]
	v_add_f64 v[4:5], v[24:25], v[138:139]
	v_mov_b32_e32 v196, s13
	s_mov_b32 s13, s14
	s_andn2_b64 exec, exec, s[10:11]
	s_cbranch_execnz .LBB61_95
; %bb.96:
	s_or_b64 exec, exec, s[10:11]
.LBB61_97:
	s_or_b64 exec, exec, s[0:1]
	v_and_b32_e32 v6, 7, v6
	v_cmp_ne_u32_e32 vcc, 0, v6
	s_and_saveexec_b64 s[0:1], vcc
	s_cbranch_execz .LBB61_101
; %bb.98:
	v_lshlrev_b32_e32 v13, 4, v196
	v_add_u32_e32 v7, 0x3e0, v13
	v_add_u32_e32 v195, 0, v13
	s_mov_b64 s[10:11], 0
.LBB61_99:                              ; =>This Inner Loop Header: Depth=1
	scratch_load_dwordx4 v[196:199], v195, off
	ds_read_b128 v[200:203], v7
	v_add_u32_e32 v6, -1, v6
	v_cmp_eq_u32_e32 vcc, 0, v6
	v_add_u32_e32 v7, 16, v7
	v_add_u32_e32 v195, 16, v195
	s_or_b64 s[10:11], vcc, s[10:11]
	s_waitcnt vmcnt(0) lgkmcnt(0)
	v_mul_f64 v[22:23], v[202:203], v[198:199]
	v_mul_f64 v[24:25], v[200:201], v[198:199]
	v_fma_f64 v[22:23], v[200:201], v[196:197], -v[22:23]
	v_fmac_f64_e32 v[24:25], v[202:203], v[196:197]
	v_add_f64 v[2:3], v[2:3], v[22:23]
	v_add_f64 v[4:5], v[4:5], v[24:25]
	s_andn2_b64 exec, exec, s[10:11]
	s_cbranch_execnz .LBB61_99
; %bb.100:
	s_or_b64 exec, exec, s[10:11]
.LBB61_101:
	s_or_b64 exec, exec, s[0:1]
.LBB61_102:
	s_or_b64 exec, exec, s[8:9]
	v_mov_b32_e32 v6, 0
	ds_read_b128 v[196:199], v6 offset:848
	s_waitcnt lgkmcnt(0)
	v_mul_f64 v[6:7], v[4:5], v[198:199]
	v_mul_f64 v[200:201], v[2:3], v[198:199]
	v_fma_f64 v[198:199], v[2:3], v[196:197], -v[6:7]
	v_fmac_f64_e32 v[200:201], v[4:5], v[196:197]
	scratch_store_dwordx4 off, v[198:201], off offset:848
.LBB61_103:
	s_or_b64 exec, exec, s[4:5]
	scratch_load_dwordx4 v[2:5], v11, off
	v_cmp_lt_u32_e64 s[0:1], 52, v0
	s_waitcnt vmcnt(0)
	ds_write_b128 v9, v[2:5]
	s_waitcnt lgkmcnt(0)
	; wave barrier
	s_waitcnt lgkmcnt(0)
	s_and_saveexec_b64 s[4:5], s[0:1]
	s_cbranch_execz .LBB61_117
; %bb.104:
	ds_read_b128 v[2:5], v9
	s_andn2_b64 vcc, exec, s[6:7]
	s_cbranch_vccnz .LBB61_106
; %bb.105:
	scratch_load_dwordx4 v[196:199], v8, off
	s_waitcnt vmcnt(0) lgkmcnt(0)
	v_mul_f64 v[22:23], v[2:3], v[198:199]
	v_mul_f64 v[6:7], v[4:5], v[198:199]
	v_fmac_f64_e32 v[22:23], v[4:5], v[196:197]
	v_fma_f64 v[2:3], v[2:3], v[196:197], -v[6:7]
	v_mov_b64_e32 v[4:5], v[22:23]
.LBB61_106:
	s_and_saveexec_b64 s[8:9], s[2:3]
	s_cbranch_execz .LBB61_116
; %bb.107:
	v_subrev_u32_e32 v7, 54, v0
	v_subrev_u32_e32 v6, 53, v0
	v_cmp_lt_u32_e32 vcc, 6, v7
	v_mov_b32_e32 v196, 53
	s_and_saveexec_b64 s[2:3], vcc
	s_cbranch_execz .LBB61_111
; %bb.108:
	v_and_b32_e32 v7, -8, v6
	s_mov_b32 s12, 0
	s_mov_b64 s[10:11], 0
	v_mov_b32_e32 v195, 0
	s_mov_b32 s13, 0
.LBB61_109:                             ; =>This Inner Loop Header: Depth=1
	v_readfirstlane_b32 s14, v195
	s_add_i32 s14, s14, s12
	s_add_i32 s15, s14, 0x350
	v_mov_b32_e32 v13, s12
	ds_read_b128 v[196:199], v13 offset:1840
	ds_read_b128 v[200:203], v13 offset:1856
	;; [unrolled: 1-line block ×4, first 2 shown]
	scratch_load_dwordx4 v[212:215], off, s15
	s_add_i32 s15, s14, 0x360
	s_addk_i32 s12, 0x80
	s_waitcnt vmcnt(0) lgkmcnt(3)
	v_mul_f64 v[22:23], v[198:199], v[214:215]
	v_mul_f64 v[24:25], v[196:197], v[214:215]
	v_fma_f64 v[22:23], v[196:197], v[212:213], -v[22:23]
	v_fmac_f64_e32 v[24:25], v[198:199], v[212:213]
	v_add_f64 v[22:23], v[2:3], v[22:23]
	v_add_f64 v[24:25], v[4:5], v[24:25]
	scratch_load_dwordx4 v[2:5], off, s15
	s_add_i32 s15, s14, 0x370
	s_waitcnt vmcnt(0) lgkmcnt(2)
	v_mul_f64 v[32:33], v[202:203], v[4:5]
	v_mul_f64 v[4:5], v[200:201], v[4:5]
	v_fmac_f64_e32 v[4:5], v[202:203], v[2:3]
	v_fma_f64 v[32:33], v[200:201], v[2:3], -v[32:33]
	v_add_f64 v[24:25], v[24:25], v[4:5]
	scratch_load_dwordx4 v[2:5], off, s15
	v_add_f64 v[22:23], v[22:23], v[32:33]
	s_add_i32 s15, s14, 0x380
	s_waitcnt vmcnt(0) lgkmcnt(1)
	v_mul_f64 v[32:33], v[206:207], v[4:5]
	v_mul_f64 v[4:5], v[204:205], v[4:5]
	v_fmac_f64_e32 v[4:5], v[206:207], v[2:3]
	v_fma_f64 v[32:33], v[204:205], v[2:3], -v[32:33]
	v_add_f64 v[24:25], v[24:25], v[4:5]
	scratch_load_dwordx4 v[2:5], off, s15
	s_add_i32 s15, s14, 0x390
	scratch_load_dwordx4 v[196:199], off, s15
	v_add_f64 v[22:23], v[22:23], v[32:33]
	s_add_i32 s15, s14, 0x3a0
	s_waitcnt vmcnt(1) lgkmcnt(0)
	v_mul_f64 v[32:33], v[210:211], v[4:5]
	v_mul_f64 v[4:5], v[208:209], v[4:5]
	v_fmac_f64_e32 v[4:5], v[210:211], v[2:3]
	v_fma_f64 v[32:33], v[208:209], v[2:3], -v[32:33]
	v_add_f64 v[24:25], v[24:25], v[4:5]
	ds_read_b128 v[2:5], v13 offset:1904
	v_add_f64 v[22:23], v[22:23], v[32:33]
	s_waitcnt vmcnt(0) lgkmcnt(0)
	v_mul_f64 v[32:33], v[4:5], v[198:199]
	v_fma_f64 v[32:33], v[2:3], v[196:197], -v[32:33]
	v_mul_f64 v[2:3], v[2:3], v[198:199]
	v_fmac_f64_e32 v[2:3], v[4:5], v[196:197]
	scratch_load_dwordx4 v[196:199], off, s15
	v_add_f64 v[24:25], v[24:25], v[2:3]
	ds_read_b128 v[2:5], v13 offset:1920
	v_add_f64 v[22:23], v[22:23], v[32:33]
	s_add_i32 s15, s14, 0x3b0
	s_addk_i32 s14, 0x3c0
	s_waitcnt vmcnt(0) lgkmcnt(0)
	v_mul_f64 v[32:33], v[4:5], v[198:199]
	v_fma_f64 v[32:33], v[2:3], v[196:197], -v[32:33]
	v_mul_f64 v[2:3], v[2:3], v[198:199]
	v_fmac_f64_e32 v[2:3], v[4:5], v[196:197]
	scratch_load_dwordx4 v[196:199], off, s15
	v_add_f64 v[24:25], v[24:25], v[2:3]
	ds_read_b128 v[2:5], v13 offset:1936
	v_add_f64 v[22:23], v[22:23], v[32:33]
	s_waitcnt vmcnt(0) lgkmcnt(0)
	v_mul_f64 v[32:33], v[4:5], v[198:199]
	v_fma_f64 v[32:33], v[2:3], v[196:197], -v[32:33]
	v_mul_f64 v[2:3], v[2:3], v[198:199]
	v_fmac_f64_e32 v[2:3], v[4:5], v[196:197]
	scratch_load_dwordx4 v[196:199], off, s14
	v_add_f64 v[24:25], v[24:25], v[2:3]
	ds_read_b128 v[2:5], v13 offset:1952
	v_add_f64 v[22:23], v[22:23], v[32:33]
	s_add_i32 s14, s13, 8
	v_cmp_eq_u32_e32 vcc, s14, v7
	s_add_i32 s13, s13, 61
	s_or_b64 s[10:11], vcc, s[10:11]
	s_waitcnt vmcnt(0) lgkmcnt(0)
	v_mul_f64 v[32:33], v[4:5], v[198:199]
	v_mul_f64 v[138:139], v[2:3], v[198:199]
	v_fma_f64 v[32:33], v[2:3], v[196:197], -v[32:33]
	v_fmac_f64_e32 v[138:139], v[4:5], v[196:197]
	v_add_f64 v[2:3], v[22:23], v[32:33]
	v_add_f64 v[4:5], v[24:25], v[138:139]
	v_mov_b32_e32 v196, s13
	s_mov_b32 s13, s14
	s_andn2_b64 exec, exec, s[10:11]
	s_cbranch_execnz .LBB61_109
; %bb.110:
	s_or_b64 exec, exec, s[10:11]
.LBB61_111:
	s_or_b64 exec, exec, s[2:3]
	v_and_b32_e32 v6, 7, v6
	v_cmp_ne_u32_e32 vcc, 0, v6
	s_and_saveexec_b64 s[2:3], vcc
	s_cbranch_execz .LBB61_115
; %bb.112:
	v_lshlrev_b32_e32 v13, 4, v196
	v_add_u32_e32 v7, 0x3e0, v13
	v_add_u32_e32 v195, 0, v13
	s_mov_b64 s[10:11], 0
.LBB61_113:                             ; =>This Inner Loop Header: Depth=1
	scratch_load_dwordx4 v[196:199], v195, off
	ds_read_b128 v[200:203], v7
	v_add_u32_e32 v6, -1, v6
	v_cmp_eq_u32_e32 vcc, 0, v6
	v_add_u32_e32 v7, 16, v7
	v_add_u32_e32 v195, 16, v195
	s_or_b64 s[10:11], vcc, s[10:11]
	s_waitcnt vmcnt(0) lgkmcnt(0)
	v_mul_f64 v[22:23], v[202:203], v[198:199]
	v_mul_f64 v[24:25], v[200:201], v[198:199]
	v_fma_f64 v[22:23], v[200:201], v[196:197], -v[22:23]
	v_fmac_f64_e32 v[24:25], v[202:203], v[196:197]
	v_add_f64 v[2:3], v[2:3], v[22:23]
	v_add_f64 v[4:5], v[4:5], v[24:25]
	s_andn2_b64 exec, exec, s[10:11]
	s_cbranch_execnz .LBB61_113
; %bb.114:
	s_or_b64 exec, exec, s[10:11]
.LBB61_115:
	s_or_b64 exec, exec, s[2:3]
.LBB61_116:
	s_or_b64 exec, exec, s[8:9]
	v_mov_b32_e32 v6, 0
	ds_read_b128 v[196:199], v6 offset:832
	s_waitcnt lgkmcnt(0)
	v_mul_f64 v[6:7], v[4:5], v[198:199]
	v_mul_f64 v[200:201], v[2:3], v[198:199]
	v_fma_f64 v[198:199], v[2:3], v[196:197], -v[6:7]
	v_fmac_f64_e32 v[200:201], v[4:5], v[196:197]
	scratch_store_dwordx4 off, v[198:201], off offset:832
.LBB61_117:
	s_or_b64 exec, exec, s[4:5]
	scratch_load_dwordx4 v[2:5], v12, off
	v_cmp_lt_u32_e64 s[2:3], 51, v0
	s_waitcnt vmcnt(0)
	ds_write_b128 v9, v[2:5]
	s_waitcnt lgkmcnt(0)
	; wave barrier
	s_waitcnt lgkmcnt(0)
	s_and_saveexec_b64 s[4:5], s[2:3]
	s_cbranch_execz .LBB61_131
; %bb.118:
	ds_read_b128 v[2:5], v9
	s_andn2_b64 vcc, exec, s[6:7]
	s_cbranch_vccnz .LBB61_120
; %bb.119:
	scratch_load_dwordx4 v[196:199], v8, off
	s_waitcnt vmcnt(0) lgkmcnt(0)
	v_mul_f64 v[22:23], v[2:3], v[198:199]
	v_mul_f64 v[6:7], v[4:5], v[198:199]
	v_fmac_f64_e32 v[22:23], v[4:5], v[196:197]
	v_fma_f64 v[2:3], v[2:3], v[196:197], -v[6:7]
	v_mov_b64_e32 v[4:5], v[22:23]
.LBB61_120:
	s_and_saveexec_b64 s[8:9], s[0:1]
	s_cbranch_execz .LBB61_130
; %bb.121:
	v_subrev_u32_e32 v7, 53, v0
	v_subrev_u32_e32 v6, 52, v0
	v_cmp_lt_u32_e32 vcc, 6, v7
	v_mov_b32_e32 v196, 52
	s_and_saveexec_b64 s[0:1], vcc
	s_cbranch_execz .LBB61_125
; %bb.122:
	v_and_b32_e32 v7, -8, v6
	s_mov_b32 s12, 0
	s_mov_b64 s[10:11], 0
	v_mov_b32_e32 v195, 0
	s_mov_b32 s13, 0
.LBB61_123:                             ; =>This Inner Loop Header: Depth=1
	v_readfirstlane_b32 s14, v195
	s_add_i32 s14, s14, s12
	s_add_i32 s15, s14, 0x340
	v_mov_b32_e32 v13, s12
	ds_read_b128 v[196:199], v13 offset:1824
	ds_read_b128 v[200:203], v13 offset:1840
	ds_read_b128 v[204:207], v13 offset:1856
	ds_read_b128 v[208:211], v13 offset:1872
	scratch_load_dwordx4 v[212:215], off, s15
	s_add_i32 s15, s14, 0x350
	s_addk_i32 s12, 0x80
	s_waitcnt vmcnt(0) lgkmcnt(3)
	v_mul_f64 v[22:23], v[198:199], v[214:215]
	v_mul_f64 v[24:25], v[196:197], v[214:215]
	v_fma_f64 v[22:23], v[196:197], v[212:213], -v[22:23]
	v_fmac_f64_e32 v[24:25], v[198:199], v[212:213]
	v_add_f64 v[22:23], v[2:3], v[22:23]
	v_add_f64 v[24:25], v[4:5], v[24:25]
	scratch_load_dwordx4 v[2:5], off, s15
	s_add_i32 s15, s14, 0x360
	s_waitcnt vmcnt(0) lgkmcnt(2)
	v_mul_f64 v[32:33], v[202:203], v[4:5]
	v_mul_f64 v[4:5], v[200:201], v[4:5]
	v_fmac_f64_e32 v[4:5], v[202:203], v[2:3]
	v_fma_f64 v[32:33], v[200:201], v[2:3], -v[32:33]
	v_add_f64 v[24:25], v[24:25], v[4:5]
	scratch_load_dwordx4 v[2:5], off, s15
	v_add_f64 v[22:23], v[22:23], v[32:33]
	s_add_i32 s15, s14, 0x370
	s_waitcnt vmcnt(0) lgkmcnt(1)
	v_mul_f64 v[32:33], v[206:207], v[4:5]
	v_mul_f64 v[4:5], v[204:205], v[4:5]
	v_fmac_f64_e32 v[4:5], v[206:207], v[2:3]
	v_fma_f64 v[32:33], v[204:205], v[2:3], -v[32:33]
	v_add_f64 v[24:25], v[24:25], v[4:5]
	scratch_load_dwordx4 v[2:5], off, s15
	s_add_i32 s15, s14, 0x380
	scratch_load_dwordx4 v[196:199], off, s15
	v_add_f64 v[22:23], v[22:23], v[32:33]
	s_add_i32 s15, s14, 0x390
	s_waitcnt vmcnt(1) lgkmcnt(0)
	v_mul_f64 v[32:33], v[210:211], v[4:5]
	v_mul_f64 v[4:5], v[208:209], v[4:5]
	v_fmac_f64_e32 v[4:5], v[210:211], v[2:3]
	v_fma_f64 v[32:33], v[208:209], v[2:3], -v[32:33]
	v_add_f64 v[24:25], v[24:25], v[4:5]
	ds_read_b128 v[2:5], v13 offset:1888
	v_add_f64 v[22:23], v[22:23], v[32:33]
	s_waitcnt vmcnt(0) lgkmcnt(0)
	v_mul_f64 v[32:33], v[4:5], v[198:199]
	v_fma_f64 v[32:33], v[2:3], v[196:197], -v[32:33]
	v_mul_f64 v[2:3], v[2:3], v[198:199]
	v_fmac_f64_e32 v[2:3], v[4:5], v[196:197]
	scratch_load_dwordx4 v[196:199], off, s15
	v_add_f64 v[24:25], v[24:25], v[2:3]
	ds_read_b128 v[2:5], v13 offset:1904
	v_add_f64 v[22:23], v[22:23], v[32:33]
	s_add_i32 s15, s14, 0x3a0
	s_addk_i32 s14, 0x3b0
	s_waitcnt vmcnt(0) lgkmcnt(0)
	v_mul_f64 v[32:33], v[4:5], v[198:199]
	v_fma_f64 v[32:33], v[2:3], v[196:197], -v[32:33]
	v_mul_f64 v[2:3], v[2:3], v[198:199]
	v_fmac_f64_e32 v[2:3], v[4:5], v[196:197]
	scratch_load_dwordx4 v[196:199], off, s15
	v_add_f64 v[24:25], v[24:25], v[2:3]
	ds_read_b128 v[2:5], v13 offset:1920
	v_add_f64 v[22:23], v[22:23], v[32:33]
	s_waitcnt vmcnt(0) lgkmcnt(0)
	v_mul_f64 v[32:33], v[4:5], v[198:199]
	v_fma_f64 v[32:33], v[2:3], v[196:197], -v[32:33]
	v_mul_f64 v[2:3], v[2:3], v[198:199]
	v_fmac_f64_e32 v[2:3], v[4:5], v[196:197]
	scratch_load_dwordx4 v[196:199], off, s14
	v_add_f64 v[24:25], v[24:25], v[2:3]
	ds_read_b128 v[2:5], v13 offset:1936
	v_add_f64 v[22:23], v[22:23], v[32:33]
	s_add_i32 s14, s13, 8
	v_cmp_eq_u32_e32 vcc, s14, v7
	s_add_i32 s13, s13, 60
	s_or_b64 s[10:11], vcc, s[10:11]
	s_waitcnt vmcnt(0) lgkmcnt(0)
	v_mul_f64 v[32:33], v[4:5], v[198:199]
	v_mul_f64 v[138:139], v[2:3], v[198:199]
	v_fma_f64 v[32:33], v[2:3], v[196:197], -v[32:33]
	v_fmac_f64_e32 v[138:139], v[4:5], v[196:197]
	v_add_f64 v[2:3], v[22:23], v[32:33]
	v_add_f64 v[4:5], v[24:25], v[138:139]
	v_mov_b32_e32 v196, s13
	s_mov_b32 s13, s14
	s_andn2_b64 exec, exec, s[10:11]
	s_cbranch_execnz .LBB61_123
; %bb.124:
	s_or_b64 exec, exec, s[10:11]
.LBB61_125:
	s_or_b64 exec, exec, s[0:1]
	v_and_b32_e32 v6, 7, v6
	v_cmp_ne_u32_e32 vcc, 0, v6
	s_and_saveexec_b64 s[0:1], vcc
	s_cbranch_execz .LBB61_129
; %bb.126:
	v_lshlrev_b32_e32 v13, 4, v196
	v_add_u32_e32 v7, 0x3e0, v13
	v_add_u32_e32 v195, 0, v13
	s_mov_b64 s[10:11], 0
.LBB61_127:                             ; =>This Inner Loop Header: Depth=1
	scratch_load_dwordx4 v[196:199], v195, off
	ds_read_b128 v[200:203], v7
	v_add_u32_e32 v6, -1, v6
	v_cmp_eq_u32_e32 vcc, 0, v6
	v_add_u32_e32 v7, 16, v7
	v_add_u32_e32 v195, 16, v195
	s_or_b64 s[10:11], vcc, s[10:11]
	s_waitcnt vmcnt(0) lgkmcnt(0)
	v_mul_f64 v[22:23], v[202:203], v[198:199]
	v_mul_f64 v[24:25], v[200:201], v[198:199]
	v_fma_f64 v[22:23], v[200:201], v[196:197], -v[22:23]
	v_fmac_f64_e32 v[24:25], v[202:203], v[196:197]
	v_add_f64 v[2:3], v[2:3], v[22:23]
	v_add_f64 v[4:5], v[4:5], v[24:25]
	s_andn2_b64 exec, exec, s[10:11]
	s_cbranch_execnz .LBB61_127
; %bb.128:
	s_or_b64 exec, exec, s[10:11]
.LBB61_129:
	s_or_b64 exec, exec, s[0:1]
.LBB61_130:
	s_or_b64 exec, exec, s[8:9]
	v_mov_b32_e32 v6, 0
	ds_read_b128 v[196:199], v6 offset:816
	s_waitcnt lgkmcnt(0)
	v_mul_f64 v[6:7], v[4:5], v[198:199]
	v_mul_f64 v[200:201], v[2:3], v[198:199]
	v_fma_f64 v[198:199], v[2:3], v[196:197], -v[6:7]
	v_fmac_f64_e32 v[200:201], v[4:5], v[196:197]
	scratch_store_dwordx4 off, v[198:201], off offset:816
.LBB61_131:
	s_or_b64 exec, exec, s[4:5]
	scratch_load_dwordx4 v[2:5], v10, off
	v_cmp_lt_u32_e64 s[0:1], 50, v0
	s_waitcnt vmcnt(0)
	ds_write_b128 v9, v[2:5]
	s_waitcnt lgkmcnt(0)
	; wave barrier
	s_waitcnt lgkmcnt(0)
	s_and_saveexec_b64 s[4:5], s[0:1]
	s_cbranch_execz .LBB61_145
; %bb.132:
	ds_read_b128 v[2:5], v9
	s_andn2_b64 vcc, exec, s[6:7]
	s_cbranch_vccnz .LBB61_134
; %bb.133:
	scratch_load_dwordx4 v[196:199], v8, off
	s_waitcnt vmcnt(0) lgkmcnt(0)
	v_mul_f64 v[22:23], v[2:3], v[198:199]
	v_mul_f64 v[6:7], v[4:5], v[198:199]
	v_fmac_f64_e32 v[22:23], v[4:5], v[196:197]
	v_fma_f64 v[2:3], v[2:3], v[196:197], -v[6:7]
	v_mov_b64_e32 v[4:5], v[22:23]
.LBB61_134:
	s_and_saveexec_b64 s[8:9], s[2:3]
	s_cbranch_execz .LBB61_144
; %bb.135:
	v_subrev_u32_e32 v7, 52, v0
	v_subrev_u32_e32 v6, 51, v0
	v_cmp_lt_u32_e32 vcc, 6, v7
	v_mov_b32_e32 v196, 51
	s_and_saveexec_b64 s[2:3], vcc
	s_cbranch_execz .LBB61_139
; %bb.136:
	v_and_b32_e32 v7, -8, v6
	s_mov_b32 s12, 0
	s_mov_b64 s[10:11], 0
	v_mov_b32_e32 v195, 0
	s_mov_b32 s13, 0
.LBB61_137:                             ; =>This Inner Loop Header: Depth=1
	v_readfirstlane_b32 s14, v195
	s_add_i32 s14, s14, s12
	s_add_i32 s15, s14, 0x330
	v_mov_b32_e32 v13, s12
	ds_read_b128 v[196:199], v13 offset:1808
	ds_read_b128 v[200:203], v13 offset:1824
	;; [unrolled: 1-line block ×4, first 2 shown]
	scratch_load_dwordx4 v[212:215], off, s15
	s_add_i32 s15, s14, 0x340
	s_addk_i32 s12, 0x80
	s_waitcnt vmcnt(0) lgkmcnt(3)
	v_mul_f64 v[22:23], v[198:199], v[214:215]
	v_mul_f64 v[24:25], v[196:197], v[214:215]
	v_fma_f64 v[22:23], v[196:197], v[212:213], -v[22:23]
	v_fmac_f64_e32 v[24:25], v[198:199], v[212:213]
	v_add_f64 v[22:23], v[2:3], v[22:23]
	v_add_f64 v[24:25], v[4:5], v[24:25]
	scratch_load_dwordx4 v[2:5], off, s15
	s_add_i32 s15, s14, 0x350
	s_waitcnt vmcnt(0) lgkmcnt(2)
	v_mul_f64 v[32:33], v[202:203], v[4:5]
	v_mul_f64 v[4:5], v[200:201], v[4:5]
	v_fmac_f64_e32 v[4:5], v[202:203], v[2:3]
	v_fma_f64 v[32:33], v[200:201], v[2:3], -v[32:33]
	v_add_f64 v[24:25], v[24:25], v[4:5]
	scratch_load_dwordx4 v[2:5], off, s15
	v_add_f64 v[22:23], v[22:23], v[32:33]
	s_add_i32 s15, s14, 0x360
	s_waitcnt vmcnt(0) lgkmcnt(1)
	v_mul_f64 v[32:33], v[206:207], v[4:5]
	v_mul_f64 v[4:5], v[204:205], v[4:5]
	v_fmac_f64_e32 v[4:5], v[206:207], v[2:3]
	v_fma_f64 v[32:33], v[204:205], v[2:3], -v[32:33]
	v_add_f64 v[24:25], v[24:25], v[4:5]
	scratch_load_dwordx4 v[2:5], off, s15
	s_add_i32 s15, s14, 0x370
	scratch_load_dwordx4 v[196:199], off, s15
	v_add_f64 v[22:23], v[22:23], v[32:33]
	s_add_i32 s15, s14, 0x380
	s_waitcnt vmcnt(1) lgkmcnt(0)
	v_mul_f64 v[32:33], v[210:211], v[4:5]
	v_mul_f64 v[4:5], v[208:209], v[4:5]
	v_fmac_f64_e32 v[4:5], v[210:211], v[2:3]
	v_fma_f64 v[32:33], v[208:209], v[2:3], -v[32:33]
	v_add_f64 v[24:25], v[24:25], v[4:5]
	ds_read_b128 v[2:5], v13 offset:1872
	v_add_f64 v[22:23], v[22:23], v[32:33]
	s_waitcnt vmcnt(0) lgkmcnt(0)
	v_mul_f64 v[32:33], v[4:5], v[198:199]
	v_fma_f64 v[32:33], v[2:3], v[196:197], -v[32:33]
	v_mul_f64 v[2:3], v[2:3], v[198:199]
	v_fmac_f64_e32 v[2:3], v[4:5], v[196:197]
	scratch_load_dwordx4 v[196:199], off, s15
	v_add_f64 v[24:25], v[24:25], v[2:3]
	ds_read_b128 v[2:5], v13 offset:1888
	v_add_f64 v[22:23], v[22:23], v[32:33]
	s_add_i32 s15, s14, 0x390
	s_addk_i32 s14, 0x3a0
	s_waitcnt vmcnt(0) lgkmcnt(0)
	v_mul_f64 v[32:33], v[4:5], v[198:199]
	v_fma_f64 v[32:33], v[2:3], v[196:197], -v[32:33]
	v_mul_f64 v[2:3], v[2:3], v[198:199]
	v_fmac_f64_e32 v[2:3], v[4:5], v[196:197]
	scratch_load_dwordx4 v[196:199], off, s15
	v_add_f64 v[24:25], v[24:25], v[2:3]
	ds_read_b128 v[2:5], v13 offset:1904
	v_add_f64 v[22:23], v[22:23], v[32:33]
	s_waitcnt vmcnt(0) lgkmcnt(0)
	v_mul_f64 v[32:33], v[4:5], v[198:199]
	v_fma_f64 v[32:33], v[2:3], v[196:197], -v[32:33]
	v_mul_f64 v[2:3], v[2:3], v[198:199]
	v_fmac_f64_e32 v[2:3], v[4:5], v[196:197]
	scratch_load_dwordx4 v[196:199], off, s14
	v_add_f64 v[24:25], v[24:25], v[2:3]
	ds_read_b128 v[2:5], v13 offset:1920
	v_add_f64 v[22:23], v[22:23], v[32:33]
	s_add_i32 s14, s13, 8
	v_cmp_eq_u32_e32 vcc, s14, v7
	s_add_i32 s13, s13, 59
	s_or_b64 s[10:11], vcc, s[10:11]
	s_waitcnt vmcnt(0) lgkmcnt(0)
	v_mul_f64 v[32:33], v[4:5], v[198:199]
	v_mul_f64 v[138:139], v[2:3], v[198:199]
	v_fma_f64 v[32:33], v[2:3], v[196:197], -v[32:33]
	v_fmac_f64_e32 v[138:139], v[4:5], v[196:197]
	v_add_f64 v[2:3], v[22:23], v[32:33]
	v_add_f64 v[4:5], v[24:25], v[138:139]
	v_mov_b32_e32 v196, s13
	s_mov_b32 s13, s14
	s_andn2_b64 exec, exec, s[10:11]
	s_cbranch_execnz .LBB61_137
; %bb.138:
	s_or_b64 exec, exec, s[10:11]
.LBB61_139:
	s_or_b64 exec, exec, s[2:3]
	v_and_b32_e32 v6, 7, v6
	v_cmp_ne_u32_e32 vcc, 0, v6
	s_and_saveexec_b64 s[2:3], vcc
	s_cbranch_execz .LBB61_143
; %bb.140:
	v_lshlrev_b32_e32 v13, 4, v196
	v_add_u32_e32 v7, 0x3e0, v13
	v_add_u32_e32 v195, 0, v13
	s_mov_b64 s[10:11], 0
.LBB61_141:                             ; =>This Inner Loop Header: Depth=1
	scratch_load_dwordx4 v[196:199], v195, off
	ds_read_b128 v[200:203], v7
	v_add_u32_e32 v6, -1, v6
	v_cmp_eq_u32_e32 vcc, 0, v6
	v_add_u32_e32 v7, 16, v7
	v_add_u32_e32 v195, 16, v195
	s_or_b64 s[10:11], vcc, s[10:11]
	s_waitcnt vmcnt(0) lgkmcnt(0)
	v_mul_f64 v[22:23], v[202:203], v[198:199]
	v_mul_f64 v[24:25], v[200:201], v[198:199]
	v_fma_f64 v[22:23], v[200:201], v[196:197], -v[22:23]
	v_fmac_f64_e32 v[24:25], v[202:203], v[196:197]
	v_add_f64 v[2:3], v[2:3], v[22:23]
	v_add_f64 v[4:5], v[4:5], v[24:25]
	s_andn2_b64 exec, exec, s[10:11]
	s_cbranch_execnz .LBB61_141
; %bb.142:
	s_or_b64 exec, exec, s[10:11]
.LBB61_143:
	s_or_b64 exec, exec, s[2:3]
.LBB61_144:
	s_or_b64 exec, exec, s[8:9]
	v_mov_b32_e32 v6, 0
	ds_read_b128 v[196:199], v6 offset:800
	s_waitcnt lgkmcnt(0)
	v_mul_f64 v[6:7], v[4:5], v[198:199]
	v_mul_f64 v[200:201], v[2:3], v[198:199]
	v_fma_f64 v[198:199], v[2:3], v[196:197], -v[6:7]
	v_fmac_f64_e32 v[200:201], v[4:5], v[196:197]
	scratch_store_dwordx4 off, v[198:201], off offset:800
.LBB61_145:
	s_or_b64 exec, exec, s[4:5]
	scratch_load_dwordx4 v[2:5], v146, off
	v_cmp_lt_u32_e64 s[2:3], 49, v0
	s_waitcnt vmcnt(0)
	ds_write_b128 v9, v[2:5]
	s_waitcnt lgkmcnt(0)
	; wave barrier
	s_waitcnt lgkmcnt(0)
	s_and_saveexec_b64 s[4:5], s[2:3]
	s_cbranch_execz .LBB61_159
; %bb.146:
	ds_read_b128 v[2:5], v9
	s_andn2_b64 vcc, exec, s[6:7]
	s_cbranch_vccnz .LBB61_148
; %bb.147:
	scratch_load_dwordx4 v[196:199], v8, off
	s_waitcnt vmcnt(0) lgkmcnt(0)
	v_mul_f64 v[22:23], v[2:3], v[198:199]
	v_mul_f64 v[6:7], v[4:5], v[198:199]
	v_fmac_f64_e32 v[22:23], v[4:5], v[196:197]
	v_fma_f64 v[2:3], v[2:3], v[196:197], -v[6:7]
	v_mov_b64_e32 v[4:5], v[22:23]
.LBB61_148:
	s_and_saveexec_b64 s[8:9], s[0:1]
	s_cbranch_execz .LBB61_158
; %bb.149:
	v_subrev_u32_e32 v7, 51, v0
	v_subrev_u32_e32 v6, 50, v0
	v_cmp_lt_u32_e32 vcc, 6, v7
	v_mov_b32_e32 v196, 50
	s_and_saveexec_b64 s[0:1], vcc
	s_cbranch_execz .LBB61_153
; %bb.150:
	v_and_b32_e32 v7, -8, v6
	s_mov_b32 s12, 0
	s_mov_b64 s[10:11], 0
	v_mov_b32_e32 v195, 0
	s_mov_b32 s13, 0
.LBB61_151:                             ; =>This Inner Loop Header: Depth=1
	v_readfirstlane_b32 s14, v195
	s_add_i32 s14, s14, s12
	s_add_i32 s15, s14, 0x320
	v_mov_b32_e32 v13, s12
	ds_read_b128 v[196:199], v13 offset:1792
	ds_read_b128 v[200:203], v13 offset:1808
	;; [unrolled: 1-line block ×4, first 2 shown]
	scratch_load_dwordx4 v[212:215], off, s15
	s_add_i32 s15, s14, 0x330
	s_addk_i32 s12, 0x80
	s_waitcnt vmcnt(0) lgkmcnt(3)
	v_mul_f64 v[22:23], v[198:199], v[214:215]
	v_mul_f64 v[24:25], v[196:197], v[214:215]
	v_fma_f64 v[22:23], v[196:197], v[212:213], -v[22:23]
	v_fmac_f64_e32 v[24:25], v[198:199], v[212:213]
	v_add_f64 v[22:23], v[2:3], v[22:23]
	v_add_f64 v[24:25], v[4:5], v[24:25]
	scratch_load_dwordx4 v[2:5], off, s15
	s_add_i32 s15, s14, 0x340
	s_waitcnt vmcnt(0) lgkmcnt(2)
	v_mul_f64 v[32:33], v[202:203], v[4:5]
	v_mul_f64 v[4:5], v[200:201], v[4:5]
	v_fmac_f64_e32 v[4:5], v[202:203], v[2:3]
	v_fma_f64 v[32:33], v[200:201], v[2:3], -v[32:33]
	v_add_f64 v[24:25], v[24:25], v[4:5]
	scratch_load_dwordx4 v[2:5], off, s15
	v_add_f64 v[22:23], v[22:23], v[32:33]
	s_add_i32 s15, s14, 0x350
	s_waitcnt vmcnt(0) lgkmcnt(1)
	v_mul_f64 v[32:33], v[206:207], v[4:5]
	v_mul_f64 v[4:5], v[204:205], v[4:5]
	v_fmac_f64_e32 v[4:5], v[206:207], v[2:3]
	v_fma_f64 v[32:33], v[204:205], v[2:3], -v[32:33]
	v_add_f64 v[24:25], v[24:25], v[4:5]
	scratch_load_dwordx4 v[2:5], off, s15
	s_add_i32 s15, s14, 0x360
	scratch_load_dwordx4 v[196:199], off, s15
	v_add_f64 v[22:23], v[22:23], v[32:33]
	s_add_i32 s15, s14, 0x370
	s_waitcnt vmcnt(1) lgkmcnt(0)
	v_mul_f64 v[32:33], v[210:211], v[4:5]
	v_mul_f64 v[4:5], v[208:209], v[4:5]
	v_fmac_f64_e32 v[4:5], v[210:211], v[2:3]
	v_fma_f64 v[32:33], v[208:209], v[2:3], -v[32:33]
	v_add_f64 v[24:25], v[24:25], v[4:5]
	ds_read_b128 v[2:5], v13 offset:1856
	v_add_f64 v[22:23], v[22:23], v[32:33]
	s_waitcnt vmcnt(0) lgkmcnt(0)
	v_mul_f64 v[32:33], v[4:5], v[198:199]
	v_fma_f64 v[32:33], v[2:3], v[196:197], -v[32:33]
	v_mul_f64 v[2:3], v[2:3], v[198:199]
	v_fmac_f64_e32 v[2:3], v[4:5], v[196:197]
	scratch_load_dwordx4 v[196:199], off, s15
	v_add_f64 v[24:25], v[24:25], v[2:3]
	ds_read_b128 v[2:5], v13 offset:1872
	v_add_f64 v[22:23], v[22:23], v[32:33]
	s_add_i32 s15, s14, 0x380
	s_addk_i32 s14, 0x390
	s_waitcnt vmcnt(0) lgkmcnt(0)
	v_mul_f64 v[32:33], v[4:5], v[198:199]
	v_fma_f64 v[32:33], v[2:3], v[196:197], -v[32:33]
	v_mul_f64 v[2:3], v[2:3], v[198:199]
	v_fmac_f64_e32 v[2:3], v[4:5], v[196:197]
	scratch_load_dwordx4 v[196:199], off, s15
	v_add_f64 v[24:25], v[24:25], v[2:3]
	ds_read_b128 v[2:5], v13 offset:1888
	v_add_f64 v[22:23], v[22:23], v[32:33]
	s_waitcnt vmcnt(0) lgkmcnt(0)
	v_mul_f64 v[32:33], v[4:5], v[198:199]
	v_fma_f64 v[32:33], v[2:3], v[196:197], -v[32:33]
	v_mul_f64 v[2:3], v[2:3], v[198:199]
	v_fmac_f64_e32 v[2:3], v[4:5], v[196:197]
	scratch_load_dwordx4 v[196:199], off, s14
	v_add_f64 v[24:25], v[24:25], v[2:3]
	ds_read_b128 v[2:5], v13 offset:1904
	v_add_f64 v[22:23], v[22:23], v[32:33]
	s_add_i32 s14, s13, 8
	v_cmp_eq_u32_e32 vcc, s14, v7
	s_add_i32 s13, s13, 58
	s_or_b64 s[10:11], vcc, s[10:11]
	s_waitcnt vmcnt(0) lgkmcnt(0)
	v_mul_f64 v[32:33], v[4:5], v[198:199]
	v_mul_f64 v[138:139], v[2:3], v[198:199]
	v_fma_f64 v[32:33], v[2:3], v[196:197], -v[32:33]
	v_fmac_f64_e32 v[138:139], v[4:5], v[196:197]
	v_add_f64 v[2:3], v[22:23], v[32:33]
	v_add_f64 v[4:5], v[24:25], v[138:139]
	v_mov_b32_e32 v196, s13
	s_mov_b32 s13, s14
	s_andn2_b64 exec, exec, s[10:11]
	s_cbranch_execnz .LBB61_151
; %bb.152:
	s_or_b64 exec, exec, s[10:11]
.LBB61_153:
	s_or_b64 exec, exec, s[0:1]
	v_and_b32_e32 v6, 7, v6
	v_cmp_ne_u32_e32 vcc, 0, v6
	s_and_saveexec_b64 s[0:1], vcc
	s_cbranch_execz .LBB61_157
; %bb.154:
	v_lshlrev_b32_e32 v13, 4, v196
	v_add_u32_e32 v7, 0x3e0, v13
	v_add_u32_e32 v195, 0, v13
	s_mov_b64 s[10:11], 0
.LBB61_155:                             ; =>This Inner Loop Header: Depth=1
	scratch_load_dwordx4 v[196:199], v195, off
	ds_read_b128 v[200:203], v7
	v_add_u32_e32 v6, -1, v6
	v_cmp_eq_u32_e32 vcc, 0, v6
	v_add_u32_e32 v7, 16, v7
	v_add_u32_e32 v195, 16, v195
	s_or_b64 s[10:11], vcc, s[10:11]
	s_waitcnt vmcnt(0) lgkmcnt(0)
	v_mul_f64 v[22:23], v[202:203], v[198:199]
	v_mul_f64 v[24:25], v[200:201], v[198:199]
	v_fma_f64 v[22:23], v[200:201], v[196:197], -v[22:23]
	v_fmac_f64_e32 v[24:25], v[202:203], v[196:197]
	v_add_f64 v[2:3], v[2:3], v[22:23]
	v_add_f64 v[4:5], v[4:5], v[24:25]
	s_andn2_b64 exec, exec, s[10:11]
	s_cbranch_execnz .LBB61_155
; %bb.156:
	s_or_b64 exec, exec, s[10:11]
.LBB61_157:
	s_or_b64 exec, exec, s[0:1]
.LBB61_158:
	s_or_b64 exec, exec, s[8:9]
	v_mov_b32_e32 v6, 0
	ds_read_b128 v[196:199], v6 offset:784
	s_waitcnt lgkmcnt(0)
	v_mul_f64 v[6:7], v[4:5], v[198:199]
	v_mul_f64 v[200:201], v[2:3], v[198:199]
	v_fma_f64 v[198:199], v[2:3], v[196:197], -v[6:7]
	v_fmac_f64_e32 v[200:201], v[4:5], v[196:197]
	scratch_store_dwordx4 off, v[198:201], off offset:784
.LBB61_159:
	s_or_b64 exec, exec, s[4:5]
	scratch_load_dwordx4 v[2:5], v147, off
	v_cmp_lt_u32_e64 s[0:1], 48, v0
	s_waitcnt vmcnt(0)
	ds_write_b128 v9, v[2:5]
	s_waitcnt lgkmcnt(0)
	; wave barrier
	s_waitcnt lgkmcnt(0)
	s_and_saveexec_b64 s[4:5], s[0:1]
	s_cbranch_execz .LBB61_173
; %bb.160:
	ds_read_b128 v[2:5], v9
	s_andn2_b64 vcc, exec, s[6:7]
	s_cbranch_vccnz .LBB61_162
; %bb.161:
	scratch_load_dwordx4 v[196:199], v8, off
	s_waitcnt vmcnt(0) lgkmcnt(0)
	v_mul_f64 v[22:23], v[2:3], v[198:199]
	v_mul_f64 v[6:7], v[4:5], v[198:199]
	v_fmac_f64_e32 v[22:23], v[4:5], v[196:197]
	v_fma_f64 v[2:3], v[2:3], v[196:197], -v[6:7]
	v_mov_b64_e32 v[4:5], v[22:23]
.LBB61_162:
	s_and_saveexec_b64 s[8:9], s[2:3]
	s_cbranch_execz .LBB61_172
; %bb.163:
	v_subrev_u32_e32 v7, 50, v0
	v_subrev_u32_e32 v6, 49, v0
	v_cmp_lt_u32_e32 vcc, 6, v7
	v_mov_b32_e32 v196, 49
	s_and_saveexec_b64 s[2:3], vcc
	s_cbranch_execz .LBB61_167
; %bb.164:
	v_and_b32_e32 v7, -8, v6
	s_mov_b32 s12, 0
	s_mov_b64 s[10:11], 0
	v_mov_b32_e32 v195, 0
	s_mov_b32 s13, 0
.LBB61_165:                             ; =>This Inner Loop Header: Depth=1
	v_readfirstlane_b32 s14, v195
	s_add_i32 s14, s14, s12
	s_add_i32 s15, s14, 0x310
	v_mov_b32_e32 v13, s12
	ds_read_b128 v[196:199], v13 offset:1776
	ds_read_b128 v[200:203], v13 offset:1792
	;; [unrolled: 1-line block ×4, first 2 shown]
	scratch_load_dwordx4 v[212:215], off, s15
	s_add_i32 s15, s14, 0x320
	s_addk_i32 s12, 0x80
	s_waitcnt vmcnt(0) lgkmcnt(3)
	v_mul_f64 v[22:23], v[198:199], v[214:215]
	v_mul_f64 v[24:25], v[196:197], v[214:215]
	v_fma_f64 v[22:23], v[196:197], v[212:213], -v[22:23]
	v_fmac_f64_e32 v[24:25], v[198:199], v[212:213]
	v_add_f64 v[22:23], v[2:3], v[22:23]
	v_add_f64 v[24:25], v[4:5], v[24:25]
	scratch_load_dwordx4 v[2:5], off, s15
	s_add_i32 s15, s14, 0x330
	s_waitcnt vmcnt(0) lgkmcnt(2)
	v_mul_f64 v[32:33], v[202:203], v[4:5]
	v_mul_f64 v[4:5], v[200:201], v[4:5]
	v_fmac_f64_e32 v[4:5], v[202:203], v[2:3]
	v_fma_f64 v[32:33], v[200:201], v[2:3], -v[32:33]
	v_add_f64 v[24:25], v[24:25], v[4:5]
	scratch_load_dwordx4 v[2:5], off, s15
	v_add_f64 v[22:23], v[22:23], v[32:33]
	s_add_i32 s15, s14, 0x340
	s_waitcnt vmcnt(0) lgkmcnt(1)
	v_mul_f64 v[32:33], v[206:207], v[4:5]
	v_mul_f64 v[4:5], v[204:205], v[4:5]
	v_fmac_f64_e32 v[4:5], v[206:207], v[2:3]
	v_fma_f64 v[32:33], v[204:205], v[2:3], -v[32:33]
	v_add_f64 v[24:25], v[24:25], v[4:5]
	scratch_load_dwordx4 v[2:5], off, s15
	s_add_i32 s15, s14, 0x350
	scratch_load_dwordx4 v[196:199], off, s15
	v_add_f64 v[22:23], v[22:23], v[32:33]
	s_add_i32 s15, s14, 0x360
	s_waitcnt vmcnt(1) lgkmcnt(0)
	v_mul_f64 v[32:33], v[210:211], v[4:5]
	v_mul_f64 v[4:5], v[208:209], v[4:5]
	v_fmac_f64_e32 v[4:5], v[210:211], v[2:3]
	v_fma_f64 v[32:33], v[208:209], v[2:3], -v[32:33]
	v_add_f64 v[24:25], v[24:25], v[4:5]
	ds_read_b128 v[2:5], v13 offset:1840
	v_add_f64 v[22:23], v[22:23], v[32:33]
	s_waitcnt vmcnt(0) lgkmcnt(0)
	v_mul_f64 v[32:33], v[4:5], v[198:199]
	v_fma_f64 v[32:33], v[2:3], v[196:197], -v[32:33]
	v_mul_f64 v[2:3], v[2:3], v[198:199]
	v_fmac_f64_e32 v[2:3], v[4:5], v[196:197]
	scratch_load_dwordx4 v[196:199], off, s15
	v_add_f64 v[24:25], v[24:25], v[2:3]
	ds_read_b128 v[2:5], v13 offset:1856
	v_add_f64 v[22:23], v[22:23], v[32:33]
	s_add_i32 s15, s14, 0x370
	s_addk_i32 s14, 0x380
	s_waitcnt vmcnt(0) lgkmcnt(0)
	v_mul_f64 v[32:33], v[4:5], v[198:199]
	v_fma_f64 v[32:33], v[2:3], v[196:197], -v[32:33]
	v_mul_f64 v[2:3], v[2:3], v[198:199]
	v_fmac_f64_e32 v[2:3], v[4:5], v[196:197]
	scratch_load_dwordx4 v[196:199], off, s15
	v_add_f64 v[24:25], v[24:25], v[2:3]
	ds_read_b128 v[2:5], v13 offset:1872
	v_add_f64 v[22:23], v[22:23], v[32:33]
	s_waitcnt vmcnt(0) lgkmcnt(0)
	v_mul_f64 v[32:33], v[4:5], v[198:199]
	v_fma_f64 v[32:33], v[2:3], v[196:197], -v[32:33]
	v_mul_f64 v[2:3], v[2:3], v[198:199]
	v_fmac_f64_e32 v[2:3], v[4:5], v[196:197]
	scratch_load_dwordx4 v[196:199], off, s14
	v_add_f64 v[24:25], v[24:25], v[2:3]
	ds_read_b128 v[2:5], v13 offset:1888
	v_add_f64 v[22:23], v[22:23], v[32:33]
	s_add_i32 s14, s13, 8
	v_cmp_eq_u32_e32 vcc, s14, v7
	s_add_i32 s13, s13, 57
	s_or_b64 s[10:11], vcc, s[10:11]
	s_waitcnt vmcnt(0) lgkmcnt(0)
	v_mul_f64 v[32:33], v[4:5], v[198:199]
	v_mul_f64 v[138:139], v[2:3], v[198:199]
	v_fma_f64 v[32:33], v[2:3], v[196:197], -v[32:33]
	v_fmac_f64_e32 v[138:139], v[4:5], v[196:197]
	v_add_f64 v[2:3], v[22:23], v[32:33]
	v_add_f64 v[4:5], v[24:25], v[138:139]
	v_mov_b32_e32 v196, s13
	s_mov_b32 s13, s14
	s_andn2_b64 exec, exec, s[10:11]
	s_cbranch_execnz .LBB61_165
; %bb.166:
	s_or_b64 exec, exec, s[10:11]
.LBB61_167:
	s_or_b64 exec, exec, s[2:3]
	v_and_b32_e32 v6, 7, v6
	v_cmp_ne_u32_e32 vcc, 0, v6
	s_and_saveexec_b64 s[2:3], vcc
	s_cbranch_execz .LBB61_171
; %bb.168:
	v_lshlrev_b32_e32 v13, 4, v196
	v_add_u32_e32 v7, 0x3e0, v13
	v_add_u32_e32 v195, 0, v13
	s_mov_b64 s[10:11], 0
.LBB61_169:                             ; =>This Inner Loop Header: Depth=1
	scratch_load_dwordx4 v[196:199], v195, off
	ds_read_b128 v[200:203], v7
	v_add_u32_e32 v6, -1, v6
	v_cmp_eq_u32_e32 vcc, 0, v6
	v_add_u32_e32 v7, 16, v7
	v_add_u32_e32 v195, 16, v195
	s_or_b64 s[10:11], vcc, s[10:11]
	s_waitcnt vmcnt(0) lgkmcnt(0)
	v_mul_f64 v[22:23], v[202:203], v[198:199]
	v_mul_f64 v[24:25], v[200:201], v[198:199]
	v_fma_f64 v[22:23], v[200:201], v[196:197], -v[22:23]
	v_fmac_f64_e32 v[24:25], v[202:203], v[196:197]
	v_add_f64 v[2:3], v[2:3], v[22:23]
	v_add_f64 v[4:5], v[4:5], v[24:25]
	s_andn2_b64 exec, exec, s[10:11]
	s_cbranch_execnz .LBB61_169
; %bb.170:
	s_or_b64 exec, exec, s[10:11]
.LBB61_171:
	s_or_b64 exec, exec, s[2:3]
.LBB61_172:
	s_or_b64 exec, exec, s[8:9]
	v_mov_b32_e32 v6, 0
	ds_read_b128 v[196:199], v6 offset:768
	s_waitcnt lgkmcnt(0)
	v_mul_f64 v[6:7], v[4:5], v[198:199]
	v_mul_f64 v[200:201], v[2:3], v[198:199]
	v_fma_f64 v[198:199], v[2:3], v[196:197], -v[6:7]
	v_fmac_f64_e32 v[200:201], v[4:5], v[196:197]
	scratch_store_dwordx4 off, v[198:201], off offset:768
.LBB61_173:
	s_or_b64 exec, exec, s[4:5]
	scratch_load_dwordx4 v[2:5], v148, off
	v_cmp_lt_u32_e64 s[2:3], 47, v0
	s_waitcnt vmcnt(0)
	ds_write_b128 v9, v[2:5]
	s_waitcnt lgkmcnt(0)
	; wave barrier
	s_waitcnt lgkmcnt(0)
	s_and_saveexec_b64 s[4:5], s[2:3]
	s_cbranch_execz .LBB61_187
; %bb.174:
	ds_read_b128 v[2:5], v9
	s_andn2_b64 vcc, exec, s[6:7]
	s_cbranch_vccnz .LBB61_176
; %bb.175:
	scratch_load_dwordx4 v[196:199], v8, off
	s_waitcnt vmcnt(0) lgkmcnt(0)
	v_mul_f64 v[22:23], v[2:3], v[198:199]
	v_mul_f64 v[6:7], v[4:5], v[198:199]
	v_fmac_f64_e32 v[22:23], v[4:5], v[196:197]
	v_fma_f64 v[2:3], v[2:3], v[196:197], -v[6:7]
	v_mov_b64_e32 v[4:5], v[22:23]
.LBB61_176:
	s_and_saveexec_b64 s[8:9], s[0:1]
	s_cbranch_execz .LBB61_186
; %bb.177:
	v_subrev_u32_e32 v6, 49, v0
	v_cmp_lt_u32_e32 vcc, 6, v6
	v_mov_b32_e32 v6, 48
	s_and_saveexec_b64 s[0:1], vcc
	s_cbranch_execz .LBB61_181
; %bb.178:
	v_and_b32_e32 v6, 56, v0
	s_mov_b32 s12, 48
	s_mov_b32 s13, 0
	s_mov_b64 s[10:11], 0
	v_mov_b32_e32 v7, 0
.LBB61_179:                             ; =>This Inner Loop Header: Depth=1
	s_nop 0
	v_readfirstlane_b32 s14, v7
	s_add_i32 s14, s14, s13
	s_add_i32 s15, s14, 0x300
	v_mov_b32_e32 v13, s13
	ds_read_b128 v[196:199], v13 offset:1760
	ds_read_b128 v[200:203], v13 offset:1776
	;; [unrolled: 1-line block ×4, first 2 shown]
	scratch_load_dwordx4 v[212:215], off, s15
	s_add_i32 s15, s14, 0x310
	s_add_i32 s12, s12, 8
	s_addk_i32 s13, 0x80
	v_cmp_eq_u32_e32 vcc, s12, v6
	s_waitcnt vmcnt(0) lgkmcnt(3)
	v_mul_f64 v[22:23], v[198:199], v[214:215]
	v_mul_f64 v[24:25], v[196:197], v[214:215]
	v_fma_f64 v[22:23], v[196:197], v[212:213], -v[22:23]
	v_fmac_f64_e32 v[24:25], v[198:199], v[212:213]
	v_add_f64 v[22:23], v[2:3], v[22:23]
	v_add_f64 v[24:25], v[4:5], v[24:25]
	scratch_load_dwordx4 v[2:5], off, s15
	s_add_i32 s15, s14, 0x320
	s_waitcnt vmcnt(0) lgkmcnt(2)
	v_mul_f64 v[32:33], v[202:203], v[4:5]
	v_mul_f64 v[4:5], v[200:201], v[4:5]
	v_fmac_f64_e32 v[4:5], v[202:203], v[2:3]
	v_fma_f64 v[32:33], v[200:201], v[2:3], -v[32:33]
	v_add_f64 v[24:25], v[24:25], v[4:5]
	scratch_load_dwordx4 v[2:5], off, s15
	v_add_f64 v[22:23], v[22:23], v[32:33]
	s_add_i32 s15, s14, 0x330
	s_waitcnt vmcnt(0) lgkmcnt(1)
	v_mul_f64 v[32:33], v[206:207], v[4:5]
	v_mul_f64 v[4:5], v[204:205], v[4:5]
	v_fmac_f64_e32 v[4:5], v[206:207], v[2:3]
	v_fma_f64 v[32:33], v[204:205], v[2:3], -v[32:33]
	v_add_f64 v[24:25], v[24:25], v[4:5]
	scratch_load_dwordx4 v[2:5], off, s15
	s_add_i32 s15, s14, 0x340
	scratch_load_dwordx4 v[196:199], off, s15
	v_add_f64 v[22:23], v[22:23], v[32:33]
	s_add_i32 s15, s14, 0x350
	s_waitcnt vmcnt(1) lgkmcnt(0)
	v_mul_f64 v[32:33], v[210:211], v[4:5]
	v_mul_f64 v[4:5], v[208:209], v[4:5]
	v_fmac_f64_e32 v[4:5], v[210:211], v[2:3]
	v_fma_f64 v[32:33], v[208:209], v[2:3], -v[32:33]
	v_add_f64 v[24:25], v[24:25], v[4:5]
	ds_read_b128 v[2:5], v13 offset:1824
	v_add_f64 v[22:23], v[22:23], v[32:33]
	s_waitcnt vmcnt(0) lgkmcnt(0)
	v_mul_f64 v[32:33], v[4:5], v[198:199]
	v_fma_f64 v[32:33], v[2:3], v[196:197], -v[32:33]
	v_mul_f64 v[2:3], v[2:3], v[198:199]
	v_fmac_f64_e32 v[2:3], v[4:5], v[196:197]
	scratch_load_dwordx4 v[196:199], off, s15
	v_add_f64 v[24:25], v[24:25], v[2:3]
	ds_read_b128 v[2:5], v13 offset:1840
	v_add_f64 v[22:23], v[22:23], v[32:33]
	s_add_i32 s15, s14, 0x360
	s_addk_i32 s14, 0x370
	s_or_b64 s[10:11], vcc, s[10:11]
	s_waitcnt vmcnt(0) lgkmcnt(0)
	v_mul_f64 v[32:33], v[4:5], v[198:199]
	v_fma_f64 v[32:33], v[2:3], v[196:197], -v[32:33]
	v_mul_f64 v[2:3], v[2:3], v[198:199]
	v_fmac_f64_e32 v[2:3], v[4:5], v[196:197]
	scratch_load_dwordx4 v[196:199], off, s15
	v_add_f64 v[24:25], v[24:25], v[2:3]
	ds_read_b128 v[2:5], v13 offset:1856
	v_add_f64 v[22:23], v[22:23], v[32:33]
	s_waitcnt vmcnt(0) lgkmcnt(0)
	v_mul_f64 v[32:33], v[4:5], v[198:199]
	v_fma_f64 v[32:33], v[2:3], v[196:197], -v[32:33]
	v_mul_f64 v[2:3], v[2:3], v[198:199]
	v_fmac_f64_e32 v[2:3], v[4:5], v[196:197]
	scratch_load_dwordx4 v[196:199], off, s14
	v_add_f64 v[24:25], v[24:25], v[2:3]
	ds_read_b128 v[2:5], v13 offset:1872
	v_add_f64 v[22:23], v[22:23], v[32:33]
	s_waitcnt vmcnt(0) lgkmcnt(0)
	v_mul_f64 v[32:33], v[4:5], v[198:199]
	v_mul_f64 v[138:139], v[2:3], v[198:199]
	v_fma_f64 v[32:33], v[2:3], v[196:197], -v[32:33]
	v_fmac_f64_e32 v[138:139], v[4:5], v[196:197]
	v_add_f64 v[2:3], v[22:23], v[32:33]
	v_add_f64 v[4:5], v[24:25], v[138:139]
	s_andn2_b64 exec, exec, s[10:11]
	s_cbranch_execnz .LBB61_179
; %bb.180:
	s_or_b64 exec, exec, s[10:11]
.LBB61_181:
	s_or_b64 exec, exec, s[0:1]
	v_and_b32_e32 v7, 7, v0
	v_cmp_ne_u32_e32 vcc, 0, v7
	s_and_saveexec_b64 s[0:1], vcc
	s_cbranch_execz .LBB61_185
; %bb.182:
	v_lshlrev_b32_e32 v13, 4, v6
	v_add_u32_e32 v6, 0x3e0, v13
	v_add_u32_e32 v195, 0, v13
	s_mov_b64 s[10:11], 0
.LBB61_183:                             ; =>This Inner Loop Header: Depth=1
	scratch_load_dwordx4 v[196:199], v195, off
	ds_read_b128 v[200:203], v6
	v_add_u32_e32 v7, -1, v7
	v_cmp_eq_u32_e32 vcc, 0, v7
	v_add_u32_e32 v6, 16, v6
	v_add_u32_e32 v195, 16, v195
	s_or_b64 s[10:11], vcc, s[10:11]
	s_waitcnt vmcnt(0) lgkmcnt(0)
	v_mul_f64 v[22:23], v[202:203], v[198:199]
	v_mul_f64 v[24:25], v[200:201], v[198:199]
	v_fma_f64 v[22:23], v[200:201], v[196:197], -v[22:23]
	v_fmac_f64_e32 v[24:25], v[202:203], v[196:197]
	v_add_f64 v[2:3], v[2:3], v[22:23]
	v_add_f64 v[4:5], v[4:5], v[24:25]
	s_andn2_b64 exec, exec, s[10:11]
	s_cbranch_execnz .LBB61_183
; %bb.184:
	s_or_b64 exec, exec, s[10:11]
.LBB61_185:
	s_or_b64 exec, exec, s[0:1]
.LBB61_186:
	s_or_b64 exec, exec, s[8:9]
	v_mov_b32_e32 v6, 0
	ds_read_b128 v[196:199], v6 offset:752
	s_waitcnt lgkmcnt(0)
	v_mul_f64 v[6:7], v[4:5], v[198:199]
	v_mul_f64 v[200:201], v[2:3], v[198:199]
	v_fma_f64 v[198:199], v[2:3], v[196:197], -v[6:7]
	v_fmac_f64_e32 v[200:201], v[4:5], v[196:197]
	scratch_store_dwordx4 off, v[198:201], off offset:752
.LBB61_187:
	s_or_b64 exec, exec, s[4:5]
	scratch_load_dwordx4 v[2:5], v149, off
	v_cmp_lt_u32_e64 s[0:1], 46, v0
	s_waitcnt vmcnt(0)
	ds_write_b128 v9, v[2:5]
	s_waitcnt lgkmcnt(0)
	; wave barrier
	s_waitcnt lgkmcnt(0)
	s_and_saveexec_b64 s[4:5], s[0:1]
	s_cbranch_execz .LBB61_201
; %bb.188:
	ds_read_b128 v[2:5], v9
	s_andn2_b64 vcc, exec, s[6:7]
	s_cbranch_vccnz .LBB61_190
; %bb.189:
	scratch_load_dwordx4 v[196:199], v8, off
	s_waitcnt vmcnt(0) lgkmcnt(0)
	v_mul_f64 v[22:23], v[2:3], v[198:199]
	v_mul_f64 v[6:7], v[4:5], v[198:199]
	v_fmac_f64_e32 v[22:23], v[4:5], v[196:197]
	v_fma_f64 v[2:3], v[2:3], v[196:197], -v[6:7]
	v_mov_b64_e32 v[4:5], v[22:23]
.LBB61_190:
	s_and_saveexec_b64 s[8:9], s[2:3]
	s_cbranch_execz .LBB61_200
; %bb.191:
	v_subrev_u32_e32 v7, 48, v0
	v_subrev_u32_e32 v6, 47, v0
	v_cmp_lt_u32_e32 vcc, 6, v7
	v_mov_b32_e32 v196, 47
	s_and_saveexec_b64 s[2:3], vcc
	s_cbranch_execz .LBB61_195
; %bb.192:
	v_and_b32_e32 v7, -8, v6
	s_mov_b32 s12, 0
	s_mov_b64 s[10:11], 0
	v_mov_b32_e32 v195, 0
	s_mov_b32 s13, 0
.LBB61_193:                             ; =>This Inner Loop Header: Depth=1
	v_readfirstlane_b32 s14, v195
	s_add_i32 s14, s14, s12
	s_add_i32 s15, s14, 0x2f0
	v_mov_b32_e32 v13, s12
	ds_read_b128 v[196:199], v13 offset:1744
	ds_read_b128 v[200:203], v13 offset:1760
	;; [unrolled: 1-line block ×4, first 2 shown]
	scratch_load_dwordx4 v[212:215], off, s15
	s_add_i32 s15, s14, 0x300
	s_addk_i32 s12, 0x80
	s_waitcnt vmcnt(0) lgkmcnt(3)
	v_mul_f64 v[22:23], v[198:199], v[214:215]
	v_mul_f64 v[24:25], v[196:197], v[214:215]
	v_fma_f64 v[22:23], v[196:197], v[212:213], -v[22:23]
	v_fmac_f64_e32 v[24:25], v[198:199], v[212:213]
	v_add_f64 v[22:23], v[2:3], v[22:23]
	v_add_f64 v[24:25], v[4:5], v[24:25]
	scratch_load_dwordx4 v[2:5], off, s15
	s_add_i32 s15, s14, 0x310
	s_waitcnt vmcnt(0) lgkmcnt(2)
	v_mul_f64 v[32:33], v[202:203], v[4:5]
	v_mul_f64 v[4:5], v[200:201], v[4:5]
	v_fmac_f64_e32 v[4:5], v[202:203], v[2:3]
	v_fma_f64 v[32:33], v[200:201], v[2:3], -v[32:33]
	v_add_f64 v[24:25], v[24:25], v[4:5]
	scratch_load_dwordx4 v[2:5], off, s15
	v_add_f64 v[22:23], v[22:23], v[32:33]
	s_add_i32 s15, s14, 0x320
	s_waitcnt vmcnt(0) lgkmcnt(1)
	v_mul_f64 v[32:33], v[206:207], v[4:5]
	v_mul_f64 v[4:5], v[204:205], v[4:5]
	v_fmac_f64_e32 v[4:5], v[206:207], v[2:3]
	v_fma_f64 v[32:33], v[204:205], v[2:3], -v[32:33]
	v_add_f64 v[24:25], v[24:25], v[4:5]
	scratch_load_dwordx4 v[2:5], off, s15
	s_add_i32 s15, s14, 0x330
	scratch_load_dwordx4 v[196:199], off, s15
	v_add_f64 v[22:23], v[22:23], v[32:33]
	s_add_i32 s15, s14, 0x340
	s_waitcnt vmcnt(1) lgkmcnt(0)
	v_mul_f64 v[32:33], v[210:211], v[4:5]
	v_mul_f64 v[4:5], v[208:209], v[4:5]
	v_fmac_f64_e32 v[4:5], v[210:211], v[2:3]
	v_fma_f64 v[32:33], v[208:209], v[2:3], -v[32:33]
	v_add_f64 v[24:25], v[24:25], v[4:5]
	ds_read_b128 v[2:5], v13 offset:1808
	v_add_f64 v[22:23], v[22:23], v[32:33]
	s_waitcnt vmcnt(0) lgkmcnt(0)
	v_mul_f64 v[32:33], v[4:5], v[198:199]
	v_fma_f64 v[32:33], v[2:3], v[196:197], -v[32:33]
	v_mul_f64 v[2:3], v[2:3], v[198:199]
	v_fmac_f64_e32 v[2:3], v[4:5], v[196:197]
	scratch_load_dwordx4 v[196:199], off, s15
	v_add_f64 v[24:25], v[24:25], v[2:3]
	ds_read_b128 v[2:5], v13 offset:1824
	v_add_f64 v[22:23], v[22:23], v[32:33]
	s_add_i32 s15, s14, 0x350
	s_addk_i32 s14, 0x360
	s_waitcnt vmcnt(0) lgkmcnt(0)
	v_mul_f64 v[32:33], v[4:5], v[198:199]
	v_fma_f64 v[32:33], v[2:3], v[196:197], -v[32:33]
	v_mul_f64 v[2:3], v[2:3], v[198:199]
	v_fmac_f64_e32 v[2:3], v[4:5], v[196:197]
	scratch_load_dwordx4 v[196:199], off, s15
	v_add_f64 v[24:25], v[24:25], v[2:3]
	ds_read_b128 v[2:5], v13 offset:1840
	v_add_f64 v[22:23], v[22:23], v[32:33]
	s_waitcnt vmcnt(0) lgkmcnt(0)
	v_mul_f64 v[32:33], v[4:5], v[198:199]
	v_fma_f64 v[32:33], v[2:3], v[196:197], -v[32:33]
	v_mul_f64 v[2:3], v[2:3], v[198:199]
	v_fmac_f64_e32 v[2:3], v[4:5], v[196:197]
	scratch_load_dwordx4 v[196:199], off, s14
	v_add_f64 v[24:25], v[24:25], v[2:3]
	ds_read_b128 v[2:5], v13 offset:1856
	v_add_f64 v[22:23], v[22:23], v[32:33]
	s_add_i32 s14, s13, 8
	v_cmp_eq_u32_e32 vcc, s14, v7
	s_add_i32 s13, s13, 55
	s_or_b64 s[10:11], vcc, s[10:11]
	s_waitcnt vmcnt(0) lgkmcnt(0)
	v_mul_f64 v[32:33], v[4:5], v[198:199]
	v_mul_f64 v[138:139], v[2:3], v[198:199]
	v_fma_f64 v[32:33], v[2:3], v[196:197], -v[32:33]
	v_fmac_f64_e32 v[138:139], v[4:5], v[196:197]
	v_add_f64 v[2:3], v[22:23], v[32:33]
	v_add_f64 v[4:5], v[24:25], v[138:139]
	v_mov_b32_e32 v196, s13
	s_mov_b32 s13, s14
	s_andn2_b64 exec, exec, s[10:11]
	s_cbranch_execnz .LBB61_193
; %bb.194:
	s_or_b64 exec, exec, s[10:11]
.LBB61_195:
	s_or_b64 exec, exec, s[2:3]
	v_and_b32_e32 v6, 7, v6
	v_cmp_ne_u32_e32 vcc, 0, v6
	s_and_saveexec_b64 s[2:3], vcc
	s_cbranch_execz .LBB61_199
; %bb.196:
	v_lshlrev_b32_e32 v13, 4, v196
	v_add_u32_e32 v7, 0x3e0, v13
	v_add_u32_e32 v195, 0, v13
	s_mov_b64 s[10:11], 0
.LBB61_197:                             ; =>This Inner Loop Header: Depth=1
	scratch_load_dwordx4 v[196:199], v195, off
	ds_read_b128 v[200:203], v7
	v_add_u32_e32 v6, -1, v6
	v_cmp_eq_u32_e32 vcc, 0, v6
	v_add_u32_e32 v7, 16, v7
	v_add_u32_e32 v195, 16, v195
	s_or_b64 s[10:11], vcc, s[10:11]
	s_waitcnt vmcnt(0) lgkmcnt(0)
	v_mul_f64 v[22:23], v[202:203], v[198:199]
	v_mul_f64 v[24:25], v[200:201], v[198:199]
	v_fma_f64 v[22:23], v[200:201], v[196:197], -v[22:23]
	v_fmac_f64_e32 v[24:25], v[202:203], v[196:197]
	v_add_f64 v[2:3], v[2:3], v[22:23]
	v_add_f64 v[4:5], v[4:5], v[24:25]
	s_andn2_b64 exec, exec, s[10:11]
	s_cbranch_execnz .LBB61_197
; %bb.198:
	s_or_b64 exec, exec, s[10:11]
.LBB61_199:
	s_or_b64 exec, exec, s[2:3]
.LBB61_200:
	s_or_b64 exec, exec, s[8:9]
	v_mov_b32_e32 v6, 0
	ds_read_b128 v[196:199], v6 offset:736
	s_waitcnt lgkmcnt(0)
	v_mul_f64 v[6:7], v[4:5], v[198:199]
	v_mul_f64 v[200:201], v[2:3], v[198:199]
	v_fma_f64 v[198:199], v[2:3], v[196:197], -v[6:7]
	v_fmac_f64_e32 v[200:201], v[4:5], v[196:197]
	scratch_store_dwordx4 off, v[198:201], off offset:736
.LBB61_201:
	s_or_b64 exec, exec, s[4:5]
	scratch_load_dwordx4 v[2:5], v150, off
	v_cmp_lt_u32_e64 s[2:3], 45, v0
	s_waitcnt vmcnt(0)
	ds_write_b128 v9, v[2:5]
	s_waitcnt lgkmcnt(0)
	; wave barrier
	s_waitcnt lgkmcnt(0)
	s_and_saveexec_b64 s[4:5], s[2:3]
	s_cbranch_execz .LBB61_215
; %bb.202:
	ds_read_b128 v[2:5], v9
	s_andn2_b64 vcc, exec, s[6:7]
	s_cbranch_vccnz .LBB61_204
; %bb.203:
	scratch_load_dwordx4 v[196:199], v8, off
	s_waitcnt vmcnt(0) lgkmcnt(0)
	v_mul_f64 v[22:23], v[2:3], v[198:199]
	v_mul_f64 v[6:7], v[4:5], v[198:199]
	v_fmac_f64_e32 v[22:23], v[4:5], v[196:197]
	v_fma_f64 v[2:3], v[2:3], v[196:197], -v[6:7]
	v_mov_b64_e32 v[4:5], v[22:23]
.LBB61_204:
	s_and_saveexec_b64 s[8:9], s[0:1]
	s_cbranch_execz .LBB61_214
; %bb.205:
	v_subrev_u32_e32 v7, 47, v0
	v_subrev_u32_e32 v6, 46, v0
	v_cmp_lt_u32_e32 vcc, 6, v7
	v_mov_b32_e32 v196, 46
	s_and_saveexec_b64 s[0:1], vcc
	s_cbranch_execz .LBB61_209
; %bb.206:
	v_and_b32_e32 v7, -8, v6
	s_mov_b32 s12, 0
	s_mov_b64 s[10:11], 0
	v_mov_b32_e32 v195, 0
	s_mov_b32 s13, 0
.LBB61_207:                             ; =>This Inner Loop Header: Depth=1
	v_readfirstlane_b32 s14, v195
	s_add_i32 s14, s14, s12
	s_add_i32 s15, s14, 0x2e0
	v_mov_b32_e32 v13, s12
	ds_read_b128 v[196:199], v13 offset:1728
	ds_read_b128 v[200:203], v13 offset:1744
	;; [unrolled: 1-line block ×4, first 2 shown]
	scratch_load_dwordx4 v[212:215], off, s15
	s_add_i32 s15, s14, 0x2f0
	s_addk_i32 s12, 0x80
	s_waitcnt vmcnt(0) lgkmcnt(3)
	v_mul_f64 v[22:23], v[198:199], v[214:215]
	v_mul_f64 v[24:25], v[196:197], v[214:215]
	v_fma_f64 v[22:23], v[196:197], v[212:213], -v[22:23]
	v_fmac_f64_e32 v[24:25], v[198:199], v[212:213]
	v_add_f64 v[22:23], v[2:3], v[22:23]
	v_add_f64 v[24:25], v[4:5], v[24:25]
	scratch_load_dwordx4 v[2:5], off, s15
	s_add_i32 s15, s14, 0x300
	s_waitcnt vmcnt(0) lgkmcnt(2)
	v_mul_f64 v[32:33], v[202:203], v[4:5]
	v_mul_f64 v[4:5], v[200:201], v[4:5]
	v_fmac_f64_e32 v[4:5], v[202:203], v[2:3]
	v_fma_f64 v[32:33], v[200:201], v[2:3], -v[32:33]
	v_add_f64 v[24:25], v[24:25], v[4:5]
	scratch_load_dwordx4 v[2:5], off, s15
	v_add_f64 v[22:23], v[22:23], v[32:33]
	s_add_i32 s15, s14, 0x310
	s_waitcnt vmcnt(0) lgkmcnt(1)
	v_mul_f64 v[32:33], v[206:207], v[4:5]
	v_mul_f64 v[4:5], v[204:205], v[4:5]
	v_fmac_f64_e32 v[4:5], v[206:207], v[2:3]
	v_fma_f64 v[32:33], v[204:205], v[2:3], -v[32:33]
	v_add_f64 v[24:25], v[24:25], v[4:5]
	scratch_load_dwordx4 v[2:5], off, s15
	s_add_i32 s15, s14, 0x320
	scratch_load_dwordx4 v[196:199], off, s15
	v_add_f64 v[22:23], v[22:23], v[32:33]
	s_add_i32 s15, s14, 0x330
	s_waitcnt vmcnt(1) lgkmcnt(0)
	v_mul_f64 v[32:33], v[210:211], v[4:5]
	v_mul_f64 v[4:5], v[208:209], v[4:5]
	v_fmac_f64_e32 v[4:5], v[210:211], v[2:3]
	v_fma_f64 v[32:33], v[208:209], v[2:3], -v[32:33]
	v_add_f64 v[24:25], v[24:25], v[4:5]
	ds_read_b128 v[2:5], v13 offset:1792
	v_add_f64 v[22:23], v[22:23], v[32:33]
	s_waitcnt vmcnt(0) lgkmcnt(0)
	v_mul_f64 v[32:33], v[4:5], v[198:199]
	v_fma_f64 v[32:33], v[2:3], v[196:197], -v[32:33]
	v_mul_f64 v[2:3], v[2:3], v[198:199]
	v_fmac_f64_e32 v[2:3], v[4:5], v[196:197]
	scratch_load_dwordx4 v[196:199], off, s15
	v_add_f64 v[24:25], v[24:25], v[2:3]
	ds_read_b128 v[2:5], v13 offset:1808
	v_add_f64 v[22:23], v[22:23], v[32:33]
	s_add_i32 s15, s14, 0x340
	s_addk_i32 s14, 0x350
	s_waitcnt vmcnt(0) lgkmcnt(0)
	v_mul_f64 v[32:33], v[4:5], v[198:199]
	v_fma_f64 v[32:33], v[2:3], v[196:197], -v[32:33]
	v_mul_f64 v[2:3], v[2:3], v[198:199]
	v_fmac_f64_e32 v[2:3], v[4:5], v[196:197]
	scratch_load_dwordx4 v[196:199], off, s15
	v_add_f64 v[24:25], v[24:25], v[2:3]
	ds_read_b128 v[2:5], v13 offset:1824
	v_add_f64 v[22:23], v[22:23], v[32:33]
	s_waitcnt vmcnt(0) lgkmcnt(0)
	v_mul_f64 v[32:33], v[4:5], v[198:199]
	v_fma_f64 v[32:33], v[2:3], v[196:197], -v[32:33]
	v_mul_f64 v[2:3], v[2:3], v[198:199]
	v_fmac_f64_e32 v[2:3], v[4:5], v[196:197]
	scratch_load_dwordx4 v[196:199], off, s14
	v_add_f64 v[24:25], v[24:25], v[2:3]
	ds_read_b128 v[2:5], v13 offset:1840
	v_add_f64 v[22:23], v[22:23], v[32:33]
	s_add_i32 s14, s13, 8
	v_cmp_eq_u32_e32 vcc, s14, v7
	s_add_i32 s13, s13, 54
	s_or_b64 s[10:11], vcc, s[10:11]
	s_waitcnt vmcnt(0) lgkmcnt(0)
	v_mul_f64 v[32:33], v[4:5], v[198:199]
	v_mul_f64 v[138:139], v[2:3], v[198:199]
	v_fma_f64 v[32:33], v[2:3], v[196:197], -v[32:33]
	v_fmac_f64_e32 v[138:139], v[4:5], v[196:197]
	v_add_f64 v[2:3], v[22:23], v[32:33]
	v_add_f64 v[4:5], v[24:25], v[138:139]
	v_mov_b32_e32 v196, s13
	s_mov_b32 s13, s14
	s_andn2_b64 exec, exec, s[10:11]
	s_cbranch_execnz .LBB61_207
; %bb.208:
	s_or_b64 exec, exec, s[10:11]
.LBB61_209:
	s_or_b64 exec, exec, s[0:1]
	v_and_b32_e32 v6, 7, v6
	v_cmp_ne_u32_e32 vcc, 0, v6
	s_and_saveexec_b64 s[0:1], vcc
	s_cbranch_execz .LBB61_213
; %bb.210:
	v_lshlrev_b32_e32 v13, 4, v196
	v_add_u32_e32 v7, 0x3e0, v13
	v_add_u32_e32 v195, 0, v13
	s_mov_b64 s[10:11], 0
.LBB61_211:                             ; =>This Inner Loop Header: Depth=1
	scratch_load_dwordx4 v[196:199], v195, off
	ds_read_b128 v[200:203], v7
	v_add_u32_e32 v6, -1, v6
	v_cmp_eq_u32_e32 vcc, 0, v6
	v_add_u32_e32 v7, 16, v7
	v_add_u32_e32 v195, 16, v195
	s_or_b64 s[10:11], vcc, s[10:11]
	s_waitcnt vmcnt(0) lgkmcnt(0)
	v_mul_f64 v[22:23], v[202:203], v[198:199]
	v_mul_f64 v[24:25], v[200:201], v[198:199]
	v_fma_f64 v[22:23], v[200:201], v[196:197], -v[22:23]
	v_fmac_f64_e32 v[24:25], v[202:203], v[196:197]
	v_add_f64 v[2:3], v[2:3], v[22:23]
	v_add_f64 v[4:5], v[4:5], v[24:25]
	s_andn2_b64 exec, exec, s[10:11]
	s_cbranch_execnz .LBB61_211
; %bb.212:
	s_or_b64 exec, exec, s[10:11]
.LBB61_213:
	s_or_b64 exec, exec, s[0:1]
.LBB61_214:
	s_or_b64 exec, exec, s[8:9]
	v_mov_b32_e32 v6, 0
	ds_read_b128 v[196:199], v6 offset:720
	s_waitcnt lgkmcnt(0)
	v_mul_f64 v[6:7], v[4:5], v[198:199]
	v_mul_f64 v[200:201], v[2:3], v[198:199]
	v_fma_f64 v[198:199], v[2:3], v[196:197], -v[6:7]
	v_fmac_f64_e32 v[200:201], v[4:5], v[196:197]
	scratch_store_dwordx4 off, v[198:201], off offset:720
.LBB61_215:
	s_or_b64 exec, exec, s[4:5]
	scratch_load_dwordx4 v[2:5], v151, off
	v_cmp_lt_u32_e64 s[0:1], 44, v0
	s_waitcnt vmcnt(0)
	ds_write_b128 v9, v[2:5]
	s_waitcnt lgkmcnt(0)
	; wave barrier
	s_waitcnt lgkmcnt(0)
	s_and_saveexec_b64 s[4:5], s[0:1]
	s_cbranch_execz .LBB61_229
; %bb.216:
	ds_read_b128 v[2:5], v9
	s_andn2_b64 vcc, exec, s[6:7]
	s_cbranch_vccnz .LBB61_218
; %bb.217:
	scratch_load_dwordx4 v[196:199], v8, off
	s_waitcnt vmcnt(0) lgkmcnt(0)
	v_mul_f64 v[22:23], v[2:3], v[198:199]
	v_mul_f64 v[6:7], v[4:5], v[198:199]
	v_fmac_f64_e32 v[22:23], v[4:5], v[196:197]
	v_fma_f64 v[2:3], v[2:3], v[196:197], -v[6:7]
	v_mov_b64_e32 v[4:5], v[22:23]
.LBB61_218:
	s_and_saveexec_b64 s[8:9], s[2:3]
	s_cbranch_execz .LBB61_228
; %bb.219:
	v_subrev_u32_e32 v7, 46, v0
	v_subrev_u32_e32 v6, 45, v0
	v_cmp_lt_u32_e32 vcc, 6, v7
	v_mov_b32_e32 v196, 45
	s_and_saveexec_b64 s[2:3], vcc
	s_cbranch_execz .LBB61_223
; %bb.220:
	v_and_b32_e32 v7, -8, v6
	s_mov_b32 s12, 0
	s_mov_b64 s[10:11], 0
	v_mov_b32_e32 v195, 0
	s_mov_b32 s13, 0
.LBB61_221:                             ; =>This Inner Loop Header: Depth=1
	v_readfirstlane_b32 s14, v195
	s_add_i32 s14, s14, s12
	s_add_i32 s15, s14, 0x2d0
	v_mov_b32_e32 v13, s12
	ds_read_b128 v[196:199], v13 offset:1712
	ds_read_b128 v[200:203], v13 offset:1728
	;; [unrolled: 1-line block ×4, first 2 shown]
	scratch_load_dwordx4 v[212:215], off, s15
	s_add_i32 s15, s14, 0x2e0
	s_addk_i32 s12, 0x80
	s_waitcnt vmcnt(0) lgkmcnt(3)
	v_mul_f64 v[22:23], v[198:199], v[214:215]
	v_mul_f64 v[24:25], v[196:197], v[214:215]
	v_fma_f64 v[22:23], v[196:197], v[212:213], -v[22:23]
	v_fmac_f64_e32 v[24:25], v[198:199], v[212:213]
	v_add_f64 v[22:23], v[2:3], v[22:23]
	v_add_f64 v[24:25], v[4:5], v[24:25]
	scratch_load_dwordx4 v[2:5], off, s15
	s_add_i32 s15, s14, 0x2f0
	s_waitcnt vmcnt(0) lgkmcnt(2)
	v_mul_f64 v[32:33], v[202:203], v[4:5]
	v_mul_f64 v[4:5], v[200:201], v[4:5]
	v_fmac_f64_e32 v[4:5], v[202:203], v[2:3]
	v_fma_f64 v[32:33], v[200:201], v[2:3], -v[32:33]
	v_add_f64 v[24:25], v[24:25], v[4:5]
	scratch_load_dwordx4 v[2:5], off, s15
	v_add_f64 v[22:23], v[22:23], v[32:33]
	s_add_i32 s15, s14, 0x300
	s_waitcnt vmcnt(0) lgkmcnt(1)
	v_mul_f64 v[32:33], v[206:207], v[4:5]
	v_mul_f64 v[4:5], v[204:205], v[4:5]
	v_fmac_f64_e32 v[4:5], v[206:207], v[2:3]
	v_fma_f64 v[32:33], v[204:205], v[2:3], -v[32:33]
	v_add_f64 v[24:25], v[24:25], v[4:5]
	scratch_load_dwordx4 v[2:5], off, s15
	s_add_i32 s15, s14, 0x310
	scratch_load_dwordx4 v[196:199], off, s15
	v_add_f64 v[22:23], v[22:23], v[32:33]
	s_add_i32 s15, s14, 0x320
	s_waitcnt vmcnt(1) lgkmcnt(0)
	v_mul_f64 v[32:33], v[210:211], v[4:5]
	v_mul_f64 v[4:5], v[208:209], v[4:5]
	v_fmac_f64_e32 v[4:5], v[210:211], v[2:3]
	v_fma_f64 v[32:33], v[208:209], v[2:3], -v[32:33]
	v_add_f64 v[24:25], v[24:25], v[4:5]
	ds_read_b128 v[2:5], v13 offset:1776
	v_add_f64 v[22:23], v[22:23], v[32:33]
	s_waitcnt vmcnt(0) lgkmcnt(0)
	v_mul_f64 v[32:33], v[4:5], v[198:199]
	v_fma_f64 v[32:33], v[2:3], v[196:197], -v[32:33]
	v_mul_f64 v[2:3], v[2:3], v[198:199]
	v_fmac_f64_e32 v[2:3], v[4:5], v[196:197]
	scratch_load_dwordx4 v[196:199], off, s15
	v_add_f64 v[24:25], v[24:25], v[2:3]
	ds_read_b128 v[2:5], v13 offset:1792
	v_add_f64 v[22:23], v[22:23], v[32:33]
	s_add_i32 s15, s14, 0x330
	s_addk_i32 s14, 0x340
	s_waitcnt vmcnt(0) lgkmcnt(0)
	v_mul_f64 v[32:33], v[4:5], v[198:199]
	v_fma_f64 v[32:33], v[2:3], v[196:197], -v[32:33]
	v_mul_f64 v[2:3], v[2:3], v[198:199]
	v_fmac_f64_e32 v[2:3], v[4:5], v[196:197]
	scratch_load_dwordx4 v[196:199], off, s15
	v_add_f64 v[24:25], v[24:25], v[2:3]
	ds_read_b128 v[2:5], v13 offset:1808
	v_add_f64 v[22:23], v[22:23], v[32:33]
	s_waitcnt vmcnt(0) lgkmcnt(0)
	v_mul_f64 v[32:33], v[4:5], v[198:199]
	v_fma_f64 v[32:33], v[2:3], v[196:197], -v[32:33]
	v_mul_f64 v[2:3], v[2:3], v[198:199]
	v_fmac_f64_e32 v[2:3], v[4:5], v[196:197]
	scratch_load_dwordx4 v[196:199], off, s14
	v_add_f64 v[24:25], v[24:25], v[2:3]
	ds_read_b128 v[2:5], v13 offset:1824
	v_add_f64 v[22:23], v[22:23], v[32:33]
	s_add_i32 s14, s13, 8
	v_cmp_eq_u32_e32 vcc, s14, v7
	s_add_i32 s13, s13, 53
	s_or_b64 s[10:11], vcc, s[10:11]
	s_waitcnt vmcnt(0) lgkmcnt(0)
	v_mul_f64 v[32:33], v[4:5], v[198:199]
	v_mul_f64 v[138:139], v[2:3], v[198:199]
	v_fma_f64 v[32:33], v[2:3], v[196:197], -v[32:33]
	v_fmac_f64_e32 v[138:139], v[4:5], v[196:197]
	v_add_f64 v[2:3], v[22:23], v[32:33]
	v_add_f64 v[4:5], v[24:25], v[138:139]
	v_mov_b32_e32 v196, s13
	s_mov_b32 s13, s14
	s_andn2_b64 exec, exec, s[10:11]
	s_cbranch_execnz .LBB61_221
; %bb.222:
	s_or_b64 exec, exec, s[10:11]
.LBB61_223:
	s_or_b64 exec, exec, s[2:3]
	v_and_b32_e32 v6, 7, v6
	v_cmp_ne_u32_e32 vcc, 0, v6
	s_and_saveexec_b64 s[2:3], vcc
	s_cbranch_execz .LBB61_227
; %bb.224:
	v_lshlrev_b32_e32 v13, 4, v196
	v_add_u32_e32 v7, 0x3e0, v13
	v_add_u32_e32 v195, 0, v13
	s_mov_b64 s[10:11], 0
.LBB61_225:                             ; =>This Inner Loop Header: Depth=1
	scratch_load_dwordx4 v[196:199], v195, off
	ds_read_b128 v[200:203], v7
	v_add_u32_e32 v6, -1, v6
	v_cmp_eq_u32_e32 vcc, 0, v6
	v_add_u32_e32 v7, 16, v7
	v_add_u32_e32 v195, 16, v195
	s_or_b64 s[10:11], vcc, s[10:11]
	s_waitcnt vmcnt(0) lgkmcnt(0)
	v_mul_f64 v[22:23], v[202:203], v[198:199]
	v_mul_f64 v[24:25], v[200:201], v[198:199]
	v_fma_f64 v[22:23], v[200:201], v[196:197], -v[22:23]
	v_fmac_f64_e32 v[24:25], v[202:203], v[196:197]
	v_add_f64 v[2:3], v[2:3], v[22:23]
	v_add_f64 v[4:5], v[4:5], v[24:25]
	s_andn2_b64 exec, exec, s[10:11]
	s_cbranch_execnz .LBB61_225
; %bb.226:
	s_or_b64 exec, exec, s[10:11]
.LBB61_227:
	s_or_b64 exec, exec, s[2:3]
.LBB61_228:
	s_or_b64 exec, exec, s[8:9]
	v_mov_b32_e32 v6, 0
	ds_read_b128 v[196:199], v6 offset:704
	s_waitcnt lgkmcnt(0)
	v_mul_f64 v[6:7], v[4:5], v[198:199]
	v_mul_f64 v[200:201], v[2:3], v[198:199]
	v_fma_f64 v[198:199], v[2:3], v[196:197], -v[6:7]
	v_fmac_f64_e32 v[200:201], v[4:5], v[196:197]
	scratch_store_dwordx4 off, v[198:201], off offset:704
.LBB61_229:
	s_or_b64 exec, exec, s[4:5]
	scratch_load_dwordx4 v[2:5], v152, off
	v_cmp_lt_u32_e64 s[2:3], 43, v0
	s_waitcnt vmcnt(0)
	ds_write_b128 v9, v[2:5]
	s_waitcnt lgkmcnt(0)
	; wave barrier
	s_waitcnt lgkmcnt(0)
	s_and_saveexec_b64 s[4:5], s[2:3]
	s_cbranch_execz .LBB61_243
; %bb.230:
	ds_read_b128 v[2:5], v9
	s_andn2_b64 vcc, exec, s[6:7]
	s_cbranch_vccnz .LBB61_232
; %bb.231:
	scratch_load_dwordx4 v[196:199], v8, off
	s_waitcnt vmcnt(0) lgkmcnt(0)
	v_mul_f64 v[22:23], v[2:3], v[198:199]
	v_mul_f64 v[6:7], v[4:5], v[198:199]
	v_fmac_f64_e32 v[22:23], v[4:5], v[196:197]
	v_fma_f64 v[2:3], v[2:3], v[196:197], -v[6:7]
	v_mov_b64_e32 v[4:5], v[22:23]
.LBB61_232:
	s_and_saveexec_b64 s[8:9], s[0:1]
	s_cbranch_execz .LBB61_242
; %bb.233:
	v_subrev_u32_e32 v7, 45, v0
	v_subrev_u32_e32 v6, 44, v0
	v_cmp_lt_u32_e32 vcc, 6, v7
	v_mov_b32_e32 v196, 44
	s_and_saveexec_b64 s[0:1], vcc
	s_cbranch_execz .LBB61_237
; %bb.234:
	v_and_b32_e32 v7, -8, v6
	s_mov_b32 s12, 0
	s_mov_b64 s[10:11], 0
	v_mov_b32_e32 v195, 0
	s_mov_b32 s13, 0
.LBB61_235:                             ; =>This Inner Loop Header: Depth=1
	v_readfirstlane_b32 s14, v195
	s_add_i32 s14, s14, s12
	s_add_i32 s15, s14, 0x2c0
	v_mov_b32_e32 v13, s12
	ds_read_b128 v[196:199], v13 offset:1696
	ds_read_b128 v[200:203], v13 offset:1712
	ds_read_b128 v[204:207], v13 offset:1728
	ds_read_b128 v[208:211], v13 offset:1744
	scratch_load_dwordx4 v[212:215], off, s15
	s_add_i32 s15, s14, 0x2d0
	s_addk_i32 s12, 0x80
	s_waitcnt vmcnt(0) lgkmcnt(3)
	v_mul_f64 v[22:23], v[198:199], v[214:215]
	v_mul_f64 v[24:25], v[196:197], v[214:215]
	v_fma_f64 v[22:23], v[196:197], v[212:213], -v[22:23]
	v_fmac_f64_e32 v[24:25], v[198:199], v[212:213]
	v_add_f64 v[22:23], v[2:3], v[22:23]
	v_add_f64 v[24:25], v[4:5], v[24:25]
	scratch_load_dwordx4 v[2:5], off, s15
	s_add_i32 s15, s14, 0x2e0
	s_waitcnt vmcnt(0) lgkmcnt(2)
	v_mul_f64 v[32:33], v[202:203], v[4:5]
	v_mul_f64 v[4:5], v[200:201], v[4:5]
	v_fmac_f64_e32 v[4:5], v[202:203], v[2:3]
	v_fma_f64 v[32:33], v[200:201], v[2:3], -v[32:33]
	v_add_f64 v[24:25], v[24:25], v[4:5]
	scratch_load_dwordx4 v[2:5], off, s15
	v_add_f64 v[22:23], v[22:23], v[32:33]
	s_add_i32 s15, s14, 0x2f0
	s_waitcnt vmcnt(0) lgkmcnt(1)
	v_mul_f64 v[32:33], v[206:207], v[4:5]
	v_mul_f64 v[4:5], v[204:205], v[4:5]
	v_fmac_f64_e32 v[4:5], v[206:207], v[2:3]
	v_fma_f64 v[32:33], v[204:205], v[2:3], -v[32:33]
	v_add_f64 v[24:25], v[24:25], v[4:5]
	scratch_load_dwordx4 v[2:5], off, s15
	s_add_i32 s15, s14, 0x300
	scratch_load_dwordx4 v[196:199], off, s15
	v_add_f64 v[22:23], v[22:23], v[32:33]
	s_add_i32 s15, s14, 0x310
	s_waitcnt vmcnt(1) lgkmcnt(0)
	v_mul_f64 v[32:33], v[210:211], v[4:5]
	v_mul_f64 v[4:5], v[208:209], v[4:5]
	v_fmac_f64_e32 v[4:5], v[210:211], v[2:3]
	v_fma_f64 v[32:33], v[208:209], v[2:3], -v[32:33]
	v_add_f64 v[24:25], v[24:25], v[4:5]
	ds_read_b128 v[2:5], v13 offset:1760
	v_add_f64 v[22:23], v[22:23], v[32:33]
	s_waitcnt vmcnt(0) lgkmcnt(0)
	v_mul_f64 v[32:33], v[4:5], v[198:199]
	v_fma_f64 v[32:33], v[2:3], v[196:197], -v[32:33]
	v_mul_f64 v[2:3], v[2:3], v[198:199]
	v_fmac_f64_e32 v[2:3], v[4:5], v[196:197]
	scratch_load_dwordx4 v[196:199], off, s15
	v_add_f64 v[24:25], v[24:25], v[2:3]
	ds_read_b128 v[2:5], v13 offset:1776
	v_add_f64 v[22:23], v[22:23], v[32:33]
	s_add_i32 s15, s14, 0x320
	s_addk_i32 s14, 0x330
	s_waitcnt vmcnt(0) lgkmcnt(0)
	v_mul_f64 v[32:33], v[4:5], v[198:199]
	v_fma_f64 v[32:33], v[2:3], v[196:197], -v[32:33]
	v_mul_f64 v[2:3], v[2:3], v[198:199]
	v_fmac_f64_e32 v[2:3], v[4:5], v[196:197]
	scratch_load_dwordx4 v[196:199], off, s15
	v_add_f64 v[24:25], v[24:25], v[2:3]
	ds_read_b128 v[2:5], v13 offset:1792
	v_add_f64 v[22:23], v[22:23], v[32:33]
	s_waitcnt vmcnt(0) lgkmcnt(0)
	v_mul_f64 v[32:33], v[4:5], v[198:199]
	v_fma_f64 v[32:33], v[2:3], v[196:197], -v[32:33]
	v_mul_f64 v[2:3], v[2:3], v[198:199]
	v_fmac_f64_e32 v[2:3], v[4:5], v[196:197]
	scratch_load_dwordx4 v[196:199], off, s14
	v_add_f64 v[24:25], v[24:25], v[2:3]
	ds_read_b128 v[2:5], v13 offset:1808
	v_add_f64 v[22:23], v[22:23], v[32:33]
	s_add_i32 s14, s13, 8
	v_cmp_eq_u32_e32 vcc, s14, v7
	s_add_i32 s13, s13, 52
	s_or_b64 s[10:11], vcc, s[10:11]
	s_waitcnt vmcnt(0) lgkmcnt(0)
	v_mul_f64 v[32:33], v[4:5], v[198:199]
	v_mul_f64 v[138:139], v[2:3], v[198:199]
	v_fma_f64 v[32:33], v[2:3], v[196:197], -v[32:33]
	v_fmac_f64_e32 v[138:139], v[4:5], v[196:197]
	v_add_f64 v[2:3], v[22:23], v[32:33]
	v_add_f64 v[4:5], v[24:25], v[138:139]
	v_mov_b32_e32 v196, s13
	s_mov_b32 s13, s14
	s_andn2_b64 exec, exec, s[10:11]
	s_cbranch_execnz .LBB61_235
; %bb.236:
	s_or_b64 exec, exec, s[10:11]
.LBB61_237:
	s_or_b64 exec, exec, s[0:1]
	v_and_b32_e32 v6, 7, v6
	v_cmp_ne_u32_e32 vcc, 0, v6
	s_and_saveexec_b64 s[0:1], vcc
	s_cbranch_execz .LBB61_241
; %bb.238:
	v_lshlrev_b32_e32 v13, 4, v196
	v_add_u32_e32 v7, 0x3e0, v13
	v_add_u32_e32 v195, 0, v13
	s_mov_b64 s[10:11], 0
.LBB61_239:                             ; =>This Inner Loop Header: Depth=1
	scratch_load_dwordx4 v[196:199], v195, off
	ds_read_b128 v[200:203], v7
	v_add_u32_e32 v6, -1, v6
	v_cmp_eq_u32_e32 vcc, 0, v6
	v_add_u32_e32 v7, 16, v7
	v_add_u32_e32 v195, 16, v195
	s_or_b64 s[10:11], vcc, s[10:11]
	s_waitcnt vmcnt(0) lgkmcnt(0)
	v_mul_f64 v[22:23], v[202:203], v[198:199]
	v_mul_f64 v[24:25], v[200:201], v[198:199]
	v_fma_f64 v[22:23], v[200:201], v[196:197], -v[22:23]
	v_fmac_f64_e32 v[24:25], v[202:203], v[196:197]
	v_add_f64 v[2:3], v[2:3], v[22:23]
	v_add_f64 v[4:5], v[4:5], v[24:25]
	s_andn2_b64 exec, exec, s[10:11]
	s_cbranch_execnz .LBB61_239
; %bb.240:
	s_or_b64 exec, exec, s[10:11]
.LBB61_241:
	s_or_b64 exec, exec, s[0:1]
.LBB61_242:
	s_or_b64 exec, exec, s[8:9]
	v_mov_b32_e32 v6, 0
	ds_read_b128 v[196:199], v6 offset:688
	s_waitcnt lgkmcnt(0)
	v_mul_f64 v[6:7], v[4:5], v[198:199]
	v_mul_f64 v[200:201], v[2:3], v[198:199]
	v_fma_f64 v[198:199], v[2:3], v[196:197], -v[6:7]
	v_fmac_f64_e32 v[200:201], v[4:5], v[196:197]
	scratch_store_dwordx4 off, v[198:201], off offset:688
.LBB61_243:
	s_or_b64 exec, exec, s[4:5]
	scratch_load_dwordx4 v[2:5], v153, off
	v_cmp_lt_u32_e64 s[0:1], 42, v0
	s_waitcnt vmcnt(0)
	ds_write_b128 v9, v[2:5]
	s_waitcnt lgkmcnt(0)
	; wave barrier
	s_waitcnt lgkmcnt(0)
	s_and_saveexec_b64 s[4:5], s[0:1]
	s_cbranch_execz .LBB61_257
; %bb.244:
	ds_read_b128 v[2:5], v9
	s_andn2_b64 vcc, exec, s[6:7]
	s_cbranch_vccnz .LBB61_246
; %bb.245:
	scratch_load_dwordx4 v[196:199], v8, off
	s_waitcnt vmcnt(0) lgkmcnt(0)
	v_mul_f64 v[22:23], v[2:3], v[198:199]
	v_mul_f64 v[6:7], v[4:5], v[198:199]
	v_fmac_f64_e32 v[22:23], v[4:5], v[196:197]
	v_fma_f64 v[2:3], v[2:3], v[196:197], -v[6:7]
	v_mov_b64_e32 v[4:5], v[22:23]
.LBB61_246:
	s_and_saveexec_b64 s[8:9], s[2:3]
	s_cbranch_execz .LBB61_256
; %bb.247:
	v_subrev_u32_e32 v7, 44, v0
	v_subrev_u32_e32 v6, 43, v0
	v_cmp_lt_u32_e32 vcc, 6, v7
	v_mov_b32_e32 v196, 43
	s_and_saveexec_b64 s[2:3], vcc
	s_cbranch_execz .LBB61_251
; %bb.248:
	v_and_b32_e32 v7, -8, v6
	s_mov_b32 s12, 0
	s_mov_b64 s[10:11], 0
	v_mov_b32_e32 v195, 0
	s_mov_b32 s13, 0
.LBB61_249:                             ; =>This Inner Loop Header: Depth=1
	v_readfirstlane_b32 s14, v195
	s_add_i32 s14, s14, s12
	s_add_i32 s15, s14, 0x2b0
	v_mov_b32_e32 v13, s12
	ds_read_b128 v[196:199], v13 offset:1680
	ds_read_b128 v[200:203], v13 offset:1696
	ds_read_b128 v[204:207], v13 offset:1712
	ds_read_b128 v[208:211], v13 offset:1728
	scratch_load_dwordx4 v[212:215], off, s15
	s_add_i32 s15, s14, 0x2c0
	s_addk_i32 s12, 0x80
	s_waitcnt vmcnt(0) lgkmcnt(3)
	v_mul_f64 v[22:23], v[198:199], v[214:215]
	v_mul_f64 v[24:25], v[196:197], v[214:215]
	v_fma_f64 v[22:23], v[196:197], v[212:213], -v[22:23]
	v_fmac_f64_e32 v[24:25], v[198:199], v[212:213]
	v_add_f64 v[22:23], v[2:3], v[22:23]
	v_add_f64 v[24:25], v[4:5], v[24:25]
	scratch_load_dwordx4 v[2:5], off, s15
	s_add_i32 s15, s14, 0x2d0
	s_waitcnt vmcnt(0) lgkmcnt(2)
	v_mul_f64 v[32:33], v[202:203], v[4:5]
	v_mul_f64 v[4:5], v[200:201], v[4:5]
	v_fmac_f64_e32 v[4:5], v[202:203], v[2:3]
	v_fma_f64 v[32:33], v[200:201], v[2:3], -v[32:33]
	v_add_f64 v[24:25], v[24:25], v[4:5]
	scratch_load_dwordx4 v[2:5], off, s15
	v_add_f64 v[22:23], v[22:23], v[32:33]
	s_add_i32 s15, s14, 0x2e0
	s_waitcnt vmcnt(0) lgkmcnt(1)
	v_mul_f64 v[32:33], v[206:207], v[4:5]
	v_mul_f64 v[4:5], v[204:205], v[4:5]
	v_fmac_f64_e32 v[4:5], v[206:207], v[2:3]
	v_fma_f64 v[32:33], v[204:205], v[2:3], -v[32:33]
	v_add_f64 v[24:25], v[24:25], v[4:5]
	scratch_load_dwordx4 v[2:5], off, s15
	s_add_i32 s15, s14, 0x2f0
	scratch_load_dwordx4 v[196:199], off, s15
	v_add_f64 v[22:23], v[22:23], v[32:33]
	s_add_i32 s15, s14, 0x300
	s_waitcnt vmcnt(1) lgkmcnt(0)
	v_mul_f64 v[32:33], v[210:211], v[4:5]
	v_mul_f64 v[4:5], v[208:209], v[4:5]
	v_fmac_f64_e32 v[4:5], v[210:211], v[2:3]
	v_fma_f64 v[32:33], v[208:209], v[2:3], -v[32:33]
	v_add_f64 v[24:25], v[24:25], v[4:5]
	ds_read_b128 v[2:5], v13 offset:1744
	v_add_f64 v[22:23], v[22:23], v[32:33]
	s_waitcnt vmcnt(0) lgkmcnt(0)
	v_mul_f64 v[32:33], v[4:5], v[198:199]
	v_fma_f64 v[32:33], v[2:3], v[196:197], -v[32:33]
	v_mul_f64 v[2:3], v[2:3], v[198:199]
	v_fmac_f64_e32 v[2:3], v[4:5], v[196:197]
	scratch_load_dwordx4 v[196:199], off, s15
	v_add_f64 v[24:25], v[24:25], v[2:3]
	ds_read_b128 v[2:5], v13 offset:1760
	v_add_f64 v[22:23], v[22:23], v[32:33]
	s_add_i32 s15, s14, 0x310
	s_addk_i32 s14, 0x320
	s_waitcnt vmcnt(0) lgkmcnt(0)
	v_mul_f64 v[32:33], v[4:5], v[198:199]
	v_fma_f64 v[32:33], v[2:3], v[196:197], -v[32:33]
	v_mul_f64 v[2:3], v[2:3], v[198:199]
	v_fmac_f64_e32 v[2:3], v[4:5], v[196:197]
	scratch_load_dwordx4 v[196:199], off, s15
	v_add_f64 v[24:25], v[24:25], v[2:3]
	ds_read_b128 v[2:5], v13 offset:1776
	v_add_f64 v[22:23], v[22:23], v[32:33]
	s_waitcnt vmcnt(0) lgkmcnt(0)
	v_mul_f64 v[32:33], v[4:5], v[198:199]
	v_fma_f64 v[32:33], v[2:3], v[196:197], -v[32:33]
	v_mul_f64 v[2:3], v[2:3], v[198:199]
	v_fmac_f64_e32 v[2:3], v[4:5], v[196:197]
	scratch_load_dwordx4 v[196:199], off, s14
	v_add_f64 v[24:25], v[24:25], v[2:3]
	ds_read_b128 v[2:5], v13 offset:1792
	v_add_f64 v[22:23], v[22:23], v[32:33]
	s_add_i32 s14, s13, 8
	v_cmp_eq_u32_e32 vcc, s14, v7
	s_add_i32 s13, s13, 51
	s_or_b64 s[10:11], vcc, s[10:11]
	s_waitcnt vmcnt(0) lgkmcnt(0)
	v_mul_f64 v[32:33], v[4:5], v[198:199]
	v_mul_f64 v[138:139], v[2:3], v[198:199]
	v_fma_f64 v[32:33], v[2:3], v[196:197], -v[32:33]
	v_fmac_f64_e32 v[138:139], v[4:5], v[196:197]
	v_add_f64 v[2:3], v[22:23], v[32:33]
	v_add_f64 v[4:5], v[24:25], v[138:139]
	v_mov_b32_e32 v196, s13
	s_mov_b32 s13, s14
	s_andn2_b64 exec, exec, s[10:11]
	s_cbranch_execnz .LBB61_249
; %bb.250:
	s_or_b64 exec, exec, s[10:11]
.LBB61_251:
	s_or_b64 exec, exec, s[2:3]
	v_and_b32_e32 v6, 7, v6
	v_cmp_ne_u32_e32 vcc, 0, v6
	s_and_saveexec_b64 s[2:3], vcc
	s_cbranch_execz .LBB61_255
; %bb.252:
	v_lshlrev_b32_e32 v13, 4, v196
	v_add_u32_e32 v7, 0x3e0, v13
	v_add_u32_e32 v195, 0, v13
	s_mov_b64 s[10:11], 0
.LBB61_253:                             ; =>This Inner Loop Header: Depth=1
	scratch_load_dwordx4 v[196:199], v195, off
	ds_read_b128 v[200:203], v7
	v_add_u32_e32 v6, -1, v6
	v_cmp_eq_u32_e32 vcc, 0, v6
	v_add_u32_e32 v7, 16, v7
	v_add_u32_e32 v195, 16, v195
	s_or_b64 s[10:11], vcc, s[10:11]
	s_waitcnt vmcnt(0) lgkmcnt(0)
	v_mul_f64 v[22:23], v[202:203], v[198:199]
	v_mul_f64 v[24:25], v[200:201], v[198:199]
	v_fma_f64 v[22:23], v[200:201], v[196:197], -v[22:23]
	v_fmac_f64_e32 v[24:25], v[202:203], v[196:197]
	v_add_f64 v[2:3], v[2:3], v[22:23]
	v_add_f64 v[4:5], v[4:5], v[24:25]
	s_andn2_b64 exec, exec, s[10:11]
	s_cbranch_execnz .LBB61_253
; %bb.254:
	s_or_b64 exec, exec, s[10:11]
.LBB61_255:
	s_or_b64 exec, exec, s[2:3]
.LBB61_256:
	s_or_b64 exec, exec, s[8:9]
	v_mov_b32_e32 v6, 0
	ds_read_b128 v[196:199], v6 offset:672
	s_waitcnt lgkmcnt(0)
	v_mul_f64 v[6:7], v[4:5], v[198:199]
	v_mul_f64 v[200:201], v[2:3], v[198:199]
	v_fma_f64 v[198:199], v[2:3], v[196:197], -v[6:7]
	v_fmac_f64_e32 v[200:201], v[4:5], v[196:197]
	scratch_store_dwordx4 off, v[198:201], off offset:672
.LBB61_257:
	s_or_b64 exec, exec, s[4:5]
	scratch_load_dwordx4 v[2:5], v154, off
	v_cmp_lt_u32_e64 s[2:3], 41, v0
	s_waitcnt vmcnt(0)
	ds_write_b128 v9, v[2:5]
	s_waitcnt lgkmcnt(0)
	; wave barrier
	s_waitcnt lgkmcnt(0)
	s_and_saveexec_b64 s[4:5], s[2:3]
	s_cbranch_execz .LBB61_271
; %bb.258:
	ds_read_b128 v[2:5], v9
	s_andn2_b64 vcc, exec, s[6:7]
	s_cbranch_vccnz .LBB61_260
; %bb.259:
	scratch_load_dwordx4 v[196:199], v8, off
	s_waitcnt vmcnt(0) lgkmcnt(0)
	v_mul_f64 v[22:23], v[2:3], v[198:199]
	v_mul_f64 v[6:7], v[4:5], v[198:199]
	v_fmac_f64_e32 v[22:23], v[4:5], v[196:197]
	v_fma_f64 v[2:3], v[2:3], v[196:197], -v[6:7]
	v_mov_b64_e32 v[4:5], v[22:23]
.LBB61_260:
	s_and_saveexec_b64 s[8:9], s[0:1]
	s_cbranch_execz .LBB61_270
; %bb.261:
	v_subrev_u32_e32 v7, 43, v0
	v_subrev_u32_e32 v6, 42, v0
	v_cmp_lt_u32_e32 vcc, 6, v7
	v_mov_b32_e32 v196, 42
	s_and_saveexec_b64 s[0:1], vcc
	s_cbranch_execz .LBB61_265
; %bb.262:
	v_and_b32_e32 v7, -8, v6
	s_mov_b32 s12, 0
	s_mov_b64 s[10:11], 0
	v_mov_b32_e32 v195, 0
	s_mov_b32 s13, 0
.LBB61_263:                             ; =>This Inner Loop Header: Depth=1
	v_readfirstlane_b32 s14, v195
	s_add_i32 s14, s14, s12
	s_add_i32 s15, s14, 0x2a0
	v_mov_b32_e32 v13, s12
	ds_read_b128 v[196:199], v13 offset:1664
	ds_read_b128 v[200:203], v13 offset:1680
	;; [unrolled: 1-line block ×4, first 2 shown]
	scratch_load_dwordx4 v[212:215], off, s15
	s_add_i32 s15, s14, 0x2b0
	s_addk_i32 s12, 0x80
	s_waitcnt vmcnt(0) lgkmcnt(3)
	v_mul_f64 v[22:23], v[198:199], v[214:215]
	v_mul_f64 v[24:25], v[196:197], v[214:215]
	v_fma_f64 v[22:23], v[196:197], v[212:213], -v[22:23]
	v_fmac_f64_e32 v[24:25], v[198:199], v[212:213]
	v_add_f64 v[22:23], v[2:3], v[22:23]
	v_add_f64 v[24:25], v[4:5], v[24:25]
	scratch_load_dwordx4 v[2:5], off, s15
	s_add_i32 s15, s14, 0x2c0
	s_waitcnt vmcnt(0) lgkmcnt(2)
	v_mul_f64 v[32:33], v[202:203], v[4:5]
	v_mul_f64 v[4:5], v[200:201], v[4:5]
	v_fmac_f64_e32 v[4:5], v[202:203], v[2:3]
	v_fma_f64 v[32:33], v[200:201], v[2:3], -v[32:33]
	v_add_f64 v[24:25], v[24:25], v[4:5]
	scratch_load_dwordx4 v[2:5], off, s15
	v_add_f64 v[22:23], v[22:23], v[32:33]
	s_add_i32 s15, s14, 0x2d0
	s_waitcnt vmcnt(0) lgkmcnt(1)
	v_mul_f64 v[32:33], v[206:207], v[4:5]
	v_mul_f64 v[4:5], v[204:205], v[4:5]
	v_fmac_f64_e32 v[4:5], v[206:207], v[2:3]
	v_fma_f64 v[32:33], v[204:205], v[2:3], -v[32:33]
	v_add_f64 v[24:25], v[24:25], v[4:5]
	scratch_load_dwordx4 v[2:5], off, s15
	s_add_i32 s15, s14, 0x2e0
	scratch_load_dwordx4 v[196:199], off, s15
	v_add_f64 v[22:23], v[22:23], v[32:33]
	s_add_i32 s15, s14, 0x2f0
	s_waitcnt vmcnt(1) lgkmcnt(0)
	v_mul_f64 v[32:33], v[210:211], v[4:5]
	v_mul_f64 v[4:5], v[208:209], v[4:5]
	v_fmac_f64_e32 v[4:5], v[210:211], v[2:3]
	v_fma_f64 v[32:33], v[208:209], v[2:3], -v[32:33]
	v_add_f64 v[24:25], v[24:25], v[4:5]
	ds_read_b128 v[2:5], v13 offset:1728
	v_add_f64 v[22:23], v[22:23], v[32:33]
	s_waitcnt vmcnt(0) lgkmcnt(0)
	v_mul_f64 v[32:33], v[4:5], v[198:199]
	v_fma_f64 v[32:33], v[2:3], v[196:197], -v[32:33]
	v_mul_f64 v[2:3], v[2:3], v[198:199]
	v_fmac_f64_e32 v[2:3], v[4:5], v[196:197]
	scratch_load_dwordx4 v[196:199], off, s15
	v_add_f64 v[24:25], v[24:25], v[2:3]
	ds_read_b128 v[2:5], v13 offset:1744
	v_add_f64 v[22:23], v[22:23], v[32:33]
	s_add_i32 s15, s14, 0x300
	s_addk_i32 s14, 0x310
	s_waitcnt vmcnt(0) lgkmcnt(0)
	v_mul_f64 v[32:33], v[4:5], v[198:199]
	v_fma_f64 v[32:33], v[2:3], v[196:197], -v[32:33]
	v_mul_f64 v[2:3], v[2:3], v[198:199]
	v_fmac_f64_e32 v[2:3], v[4:5], v[196:197]
	scratch_load_dwordx4 v[196:199], off, s15
	v_add_f64 v[24:25], v[24:25], v[2:3]
	ds_read_b128 v[2:5], v13 offset:1760
	v_add_f64 v[22:23], v[22:23], v[32:33]
	s_waitcnt vmcnt(0) lgkmcnt(0)
	v_mul_f64 v[32:33], v[4:5], v[198:199]
	v_fma_f64 v[32:33], v[2:3], v[196:197], -v[32:33]
	v_mul_f64 v[2:3], v[2:3], v[198:199]
	v_fmac_f64_e32 v[2:3], v[4:5], v[196:197]
	scratch_load_dwordx4 v[196:199], off, s14
	v_add_f64 v[24:25], v[24:25], v[2:3]
	ds_read_b128 v[2:5], v13 offset:1776
	v_add_f64 v[22:23], v[22:23], v[32:33]
	s_add_i32 s14, s13, 8
	v_cmp_eq_u32_e32 vcc, s14, v7
	s_add_i32 s13, s13, 50
	s_or_b64 s[10:11], vcc, s[10:11]
	s_waitcnt vmcnt(0) lgkmcnt(0)
	v_mul_f64 v[32:33], v[4:5], v[198:199]
	v_mul_f64 v[138:139], v[2:3], v[198:199]
	v_fma_f64 v[32:33], v[2:3], v[196:197], -v[32:33]
	v_fmac_f64_e32 v[138:139], v[4:5], v[196:197]
	v_add_f64 v[2:3], v[22:23], v[32:33]
	v_add_f64 v[4:5], v[24:25], v[138:139]
	v_mov_b32_e32 v196, s13
	s_mov_b32 s13, s14
	s_andn2_b64 exec, exec, s[10:11]
	s_cbranch_execnz .LBB61_263
; %bb.264:
	s_or_b64 exec, exec, s[10:11]
.LBB61_265:
	s_or_b64 exec, exec, s[0:1]
	v_and_b32_e32 v6, 7, v6
	v_cmp_ne_u32_e32 vcc, 0, v6
	s_and_saveexec_b64 s[0:1], vcc
	s_cbranch_execz .LBB61_269
; %bb.266:
	v_lshlrev_b32_e32 v13, 4, v196
	v_add_u32_e32 v7, 0x3e0, v13
	v_add_u32_e32 v195, 0, v13
	s_mov_b64 s[10:11], 0
.LBB61_267:                             ; =>This Inner Loop Header: Depth=1
	scratch_load_dwordx4 v[196:199], v195, off
	ds_read_b128 v[200:203], v7
	v_add_u32_e32 v6, -1, v6
	v_cmp_eq_u32_e32 vcc, 0, v6
	v_add_u32_e32 v7, 16, v7
	v_add_u32_e32 v195, 16, v195
	s_or_b64 s[10:11], vcc, s[10:11]
	s_waitcnt vmcnt(0) lgkmcnt(0)
	v_mul_f64 v[22:23], v[202:203], v[198:199]
	v_mul_f64 v[24:25], v[200:201], v[198:199]
	v_fma_f64 v[22:23], v[200:201], v[196:197], -v[22:23]
	v_fmac_f64_e32 v[24:25], v[202:203], v[196:197]
	v_add_f64 v[2:3], v[2:3], v[22:23]
	v_add_f64 v[4:5], v[4:5], v[24:25]
	s_andn2_b64 exec, exec, s[10:11]
	s_cbranch_execnz .LBB61_267
; %bb.268:
	s_or_b64 exec, exec, s[10:11]
.LBB61_269:
	s_or_b64 exec, exec, s[0:1]
.LBB61_270:
	s_or_b64 exec, exec, s[8:9]
	v_mov_b32_e32 v6, 0
	ds_read_b128 v[196:199], v6 offset:656
	s_waitcnt lgkmcnt(0)
	v_mul_f64 v[6:7], v[4:5], v[198:199]
	v_mul_f64 v[200:201], v[2:3], v[198:199]
	v_fma_f64 v[198:199], v[2:3], v[196:197], -v[6:7]
	v_fmac_f64_e32 v[200:201], v[4:5], v[196:197]
	scratch_store_dwordx4 off, v[198:201], off offset:656
.LBB61_271:
	s_or_b64 exec, exec, s[4:5]
	scratch_load_dwordx4 v[2:5], v155, off
	v_cmp_lt_u32_e64 s[0:1], 40, v0
	s_waitcnt vmcnt(0)
	ds_write_b128 v9, v[2:5]
	s_waitcnt lgkmcnt(0)
	; wave barrier
	s_waitcnt lgkmcnt(0)
	s_and_saveexec_b64 s[4:5], s[0:1]
	s_cbranch_execz .LBB61_285
; %bb.272:
	ds_read_b128 v[2:5], v9
	s_andn2_b64 vcc, exec, s[6:7]
	s_cbranch_vccnz .LBB61_274
; %bb.273:
	scratch_load_dwordx4 v[196:199], v8, off
	s_waitcnt vmcnt(0) lgkmcnt(0)
	v_mul_f64 v[22:23], v[2:3], v[198:199]
	v_mul_f64 v[6:7], v[4:5], v[198:199]
	v_fmac_f64_e32 v[22:23], v[4:5], v[196:197]
	v_fma_f64 v[2:3], v[2:3], v[196:197], -v[6:7]
	v_mov_b64_e32 v[4:5], v[22:23]
.LBB61_274:
	s_and_saveexec_b64 s[8:9], s[2:3]
	s_cbranch_execz .LBB61_284
; %bb.275:
	v_subrev_u32_e32 v7, 42, v0
	v_subrev_u32_e32 v6, 41, v0
	v_cmp_lt_u32_e32 vcc, 6, v7
	v_mov_b32_e32 v196, 41
	s_and_saveexec_b64 s[2:3], vcc
	s_cbranch_execz .LBB61_279
; %bb.276:
	v_and_b32_e32 v7, -8, v6
	s_mov_b32 s12, 0
	s_mov_b64 s[10:11], 0
	v_mov_b32_e32 v195, 0
	s_mov_b32 s13, 0
.LBB61_277:                             ; =>This Inner Loop Header: Depth=1
	v_readfirstlane_b32 s14, v195
	s_add_i32 s14, s14, s12
	s_add_i32 s15, s14, 0x290
	v_mov_b32_e32 v13, s12
	ds_read_b128 v[196:199], v13 offset:1648
	ds_read_b128 v[200:203], v13 offset:1664
	;; [unrolled: 1-line block ×4, first 2 shown]
	scratch_load_dwordx4 v[212:215], off, s15
	s_add_i32 s15, s14, 0x2a0
	s_addk_i32 s12, 0x80
	s_waitcnt vmcnt(0) lgkmcnt(3)
	v_mul_f64 v[22:23], v[198:199], v[214:215]
	v_mul_f64 v[24:25], v[196:197], v[214:215]
	v_fma_f64 v[22:23], v[196:197], v[212:213], -v[22:23]
	v_fmac_f64_e32 v[24:25], v[198:199], v[212:213]
	v_add_f64 v[22:23], v[2:3], v[22:23]
	v_add_f64 v[24:25], v[4:5], v[24:25]
	scratch_load_dwordx4 v[2:5], off, s15
	s_add_i32 s15, s14, 0x2b0
	s_waitcnt vmcnt(0) lgkmcnt(2)
	v_mul_f64 v[32:33], v[202:203], v[4:5]
	v_mul_f64 v[4:5], v[200:201], v[4:5]
	v_fmac_f64_e32 v[4:5], v[202:203], v[2:3]
	v_fma_f64 v[32:33], v[200:201], v[2:3], -v[32:33]
	v_add_f64 v[24:25], v[24:25], v[4:5]
	scratch_load_dwordx4 v[2:5], off, s15
	v_add_f64 v[22:23], v[22:23], v[32:33]
	s_add_i32 s15, s14, 0x2c0
	s_waitcnt vmcnt(0) lgkmcnt(1)
	v_mul_f64 v[32:33], v[206:207], v[4:5]
	v_mul_f64 v[4:5], v[204:205], v[4:5]
	v_fmac_f64_e32 v[4:5], v[206:207], v[2:3]
	v_fma_f64 v[32:33], v[204:205], v[2:3], -v[32:33]
	v_add_f64 v[24:25], v[24:25], v[4:5]
	scratch_load_dwordx4 v[2:5], off, s15
	s_add_i32 s15, s14, 0x2d0
	scratch_load_dwordx4 v[196:199], off, s15
	v_add_f64 v[22:23], v[22:23], v[32:33]
	s_add_i32 s15, s14, 0x2e0
	s_waitcnt vmcnt(1) lgkmcnt(0)
	v_mul_f64 v[32:33], v[210:211], v[4:5]
	v_mul_f64 v[4:5], v[208:209], v[4:5]
	v_fmac_f64_e32 v[4:5], v[210:211], v[2:3]
	v_fma_f64 v[32:33], v[208:209], v[2:3], -v[32:33]
	v_add_f64 v[24:25], v[24:25], v[4:5]
	ds_read_b128 v[2:5], v13 offset:1712
	v_add_f64 v[22:23], v[22:23], v[32:33]
	s_waitcnt vmcnt(0) lgkmcnt(0)
	v_mul_f64 v[32:33], v[4:5], v[198:199]
	v_fma_f64 v[32:33], v[2:3], v[196:197], -v[32:33]
	v_mul_f64 v[2:3], v[2:3], v[198:199]
	v_fmac_f64_e32 v[2:3], v[4:5], v[196:197]
	scratch_load_dwordx4 v[196:199], off, s15
	v_add_f64 v[24:25], v[24:25], v[2:3]
	ds_read_b128 v[2:5], v13 offset:1728
	v_add_f64 v[22:23], v[22:23], v[32:33]
	s_add_i32 s15, s14, 0x2f0
	s_addk_i32 s14, 0x300
	s_waitcnt vmcnt(0) lgkmcnt(0)
	v_mul_f64 v[32:33], v[4:5], v[198:199]
	v_fma_f64 v[32:33], v[2:3], v[196:197], -v[32:33]
	v_mul_f64 v[2:3], v[2:3], v[198:199]
	v_fmac_f64_e32 v[2:3], v[4:5], v[196:197]
	scratch_load_dwordx4 v[196:199], off, s15
	v_add_f64 v[24:25], v[24:25], v[2:3]
	ds_read_b128 v[2:5], v13 offset:1744
	v_add_f64 v[22:23], v[22:23], v[32:33]
	s_waitcnt vmcnt(0) lgkmcnt(0)
	v_mul_f64 v[32:33], v[4:5], v[198:199]
	v_fma_f64 v[32:33], v[2:3], v[196:197], -v[32:33]
	v_mul_f64 v[2:3], v[2:3], v[198:199]
	v_fmac_f64_e32 v[2:3], v[4:5], v[196:197]
	scratch_load_dwordx4 v[196:199], off, s14
	v_add_f64 v[24:25], v[24:25], v[2:3]
	ds_read_b128 v[2:5], v13 offset:1760
	v_add_f64 v[22:23], v[22:23], v[32:33]
	s_add_i32 s14, s13, 8
	v_cmp_eq_u32_e32 vcc, s14, v7
	s_add_i32 s13, s13, 49
	s_or_b64 s[10:11], vcc, s[10:11]
	s_waitcnt vmcnt(0) lgkmcnt(0)
	v_mul_f64 v[32:33], v[4:5], v[198:199]
	v_mul_f64 v[138:139], v[2:3], v[198:199]
	v_fma_f64 v[32:33], v[2:3], v[196:197], -v[32:33]
	v_fmac_f64_e32 v[138:139], v[4:5], v[196:197]
	v_add_f64 v[2:3], v[22:23], v[32:33]
	v_add_f64 v[4:5], v[24:25], v[138:139]
	v_mov_b32_e32 v196, s13
	s_mov_b32 s13, s14
	s_andn2_b64 exec, exec, s[10:11]
	s_cbranch_execnz .LBB61_277
; %bb.278:
	s_or_b64 exec, exec, s[10:11]
.LBB61_279:
	s_or_b64 exec, exec, s[2:3]
	v_and_b32_e32 v6, 7, v6
	v_cmp_ne_u32_e32 vcc, 0, v6
	s_and_saveexec_b64 s[2:3], vcc
	s_cbranch_execz .LBB61_283
; %bb.280:
	v_lshlrev_b32_e32 v13, 4, v196
	v_add_u32_e32 v7, 0x3e0, v13
	v_add_u32_e32 v195, 0, v13
	s_mov_b64 s[10:11], 0
.LBB61_281:                             ; =>This Inner Loop Header: Depth=1
	scratch_load_dwordx4 v[196:199], v195, off
	ds_read_b128 v[200:203], v7
	v_add_u32_e32 v6, -1, v6
	v_cmp_eq_u32_e32 vcc, 0, v6
	v_add_u32_e32 v7, 16, v7
	v_add_u32_e32 v195, 16, v195
	s_or_b64 s[10:11], vcc, s[10:11]
	s_waitcnt vmcnt(0) lgkmcnt(0)
	v_mul_f64 v[22:23], v[202:203], v[198:199]
	v_mul_f64 v[24:25], v[200:201], v[198:199]
	v_fma_f64 v[22:23], v[200:201], v[196:197], -v[22:23]
	v_fmac_f64_e32 v[24:25], v[202:203], v[196:197]
	v_add_f64 v[2:3], v[2:3], v[22:23]
	v_add_f64 v[4:5], v[4:5], v[24:25]
	s_andn2_b64 exec, exec, s[10:11]
	s_cbranch_execnz .LBB61_281
; %bb.282:
	s_or_b64 exec, exec, s[10:11]
.LBB61_283:
	s_or_b64 exec, exec, s[2:3]
.LBB61_284:
	s_or_b64 exec, exec, s[8:9]
	v_mov_b32_e32 v6, 0
	ds_read_b128 v[196:199], v6 offset:640
	s_waitcnt lgkmcnt(0)
	v_mul_f64 v[6:7], v[4:5], v[198:199]
	v_mul_f64 v[200:201], v[2:3], v[198:199]
	v_fma_f64 v[198:199], v[2:3], v[196:197], -v[6:7]
	v_fmac_f64_e32 v[200:201], v[4:5], v[196:197]
	scratch_store_dwordx4 off, v[198:201], off offset:640
.LBB61_285:
	s_or_b64 exec, exec, s[4:5]
	scratch_load_dwordx4 v[2:5], v156, off
	v_cmp_lt_u32_e64 s[2:3], 39, v0
	s_waitcnt vmcnt(0)
	ds_write_b128 v9, v[2:5]
	s_waitcnt lgkmcnt(0)
	; wave barrier
	s_waitcnt lgkmcnt(0)
	s_and_saveexec_b64 s[4:5], s[2:3]
	s_cbranch_execz .LBB61_299
; %bb.286:
	ds_read_b128 v[2:5], v9
	s_andn2_b64 vcc, exec, s[6:7]
	s_cbranch_vccnz .LBB61_288
; %bb.287:
	scratch_load_dwordx4 v[196:199], v8, off
	s_waitcnt vmcnt(0) lgkmcnt(0)
	v_mul_f64 v[22:23], v[2:3], v[198:199]
	v_mul_f64 v[6:7], v[4:5], v[198:199]
	v_fmac_f64_e32 v[22:23], v[4:5], v[196:197]
	v_fma_f64 v[2:3], v[2:3], v[196:197], -v[6:7]
	v_mov_b64_e32 v[4:5], v[22:23]
.LBB61_288:
	s_and_saveexec_b64 s[8:9], s[0:1]
	s_cbranch_execz .LBB61_298
; %bb.289:
	v_subrev_u32_e32 v6, 41, v0
	v_cmp_lt_u32_e32 vcc, 6, v6
	v_mov_b32_e32 v6, 40
	s_and_saveexec_b64 s[0:1], vcc
	s_cbranch_execz .LBB61_293
; %bb.290:
	v_and_b32_e32 v6, 56, v0
	s_mov_b32 s12, 40
	s_mov_b32 s13, 0
	s_mov_b64 s[10:11], 0
	v_mov_b32_e32 v7, 0
.LBB61_291:                             ; =>This Inner Loop Header: Depth=1
	s_nop 0
	v_readfirstlane_b32 s14, v7
	s_add_i32 s14, s14, s13
	s_add_i32 s15, s14, 0x280
	v_mov_b32_e32 v13, s13
	ds_read_b128 v[196:199], v13 offset:1632
	ds_read_b128 v[200:203], v13 offset:1648
	;; [unrolled: 1-line block ×4, first 2 shown]
	scratch_load_dwordx4 v[212:215], off, s15
	s_add_i32 s15, s14, 0x290
	s_add_i32 s12, s12, 8
	s_addk_i32 s13, 0x80
	v_cmp_eq_u32_e32 vcc, s12, v6
	s_waitcnt vmcnt(0) lgkmcnt(3)
	v_mul_f64 v[22:23], v[198:199], v[214:215]
	v_mul_f64 v[24:25], v[196:197], v[214:215]
	v_fma_f64 v[22:23], v[196:197], v[212:213], -v[22:23]
	v_fmac_f64_e32 v[24:25], v[198:199], v[212:213]
	v_add_f64 v[22:23], v[2:3], v[22:23]
	v_add_f64 v[24:25], v[4:5], v[24:25]
	scratch_load_dwordx4 v[2:5], off, s15
	s_add_i32 s15, s14, 0x2a0
	s_waitcnt vmcnt(0) lgkmcnt(2)
	v_mul_f64 v[32:33], v[202:203], v[4:5]
	v_mul_f64 v[4:5], v[200:201], v[4:5]
	v_fmac_f64_e32 v[4:5], v[202:203], v[2:3]
	v_fma_f64 v[32:33], v[200:201], v[2:3], -v[32:33]
	v_add_f64 v[24:25], v[24:25], v[4:5]
	scratch_load_dwordx4 v[2:5], off, s15
	v_add_f64 v[22:23], v[22:23], v[32:33]
	s_add_i32 s15, s14, 0x2b0
	s_waitcnt vmcnt(0) lgkmcnt(1)
	v_mul_f64 v[32:33], v[206:207], v[4:5]
	v_mul_f64 v[4:5], v[204:205], v[4:5]
	v_fmac_f64_e32 v[4:5], v[206:207], v[2:3]
	v_fma_f64 v[32:33], v[204:205], v[2:3], -v[32:33]
	v_add_f64 v[24:25], v[24:25], v[4:5]
	scratch_load_dwordx4 v[2:5], off, s15
	s_add_i32 s15, s14, 0x2c0
	scratch_load_dwordx4 v[196:199], off, s15
	v_add_f64 v[22:23], v[22:23], v[32:33]
	s_add_i32 s15, s14, 0x2d0
	s_waitcnt vmcnt(1) lgkmcnt(0)
	v_mul_f64 v[32:33], v[210:211], v[4:5]
	v_mul_f64 v[4:5], v[208:209], v[4:5]
	v_fmac_f64_e32 v[4:5], v[210:211], v[2:3]
	v_fma_f64 v[32:33], v[208:209], v[2:3], -v[32:33]
	v_add_f64 v[24:25], v[24:25], v[4:5]
	ds_read_b128 v[2:5], v13 offset:1696
	v_add_f64 v[22:23], v[22:23], v[32:33]
	s_waitcnt vmcnt(0) lgkmcnt(0)
	v_mul_f64 v[32:33], v[4:5], v[198:199]
	v_fma_f64 v[32:33], v[2:3], v[196:197], -v[32:33]
	v_mul_f64 v[2:3], v[2:3], v[198:199]
	v_fmac_f64_e32 v[2:3], v[4:5], v[196:197]
	scratch_load_dwordx4 v[196:199], off, s15
	v_add_f64 v[24:25], v[24:25], v[2:3]
	ds_read_b128 v[2:5], v13 offset:1712
	v_add_f64 v[22:23], v[22:23], v[32:33]
	s_add_i32 s15, s14, 0x2e0
	s_addk_i32 s14, 0x2f0
	s_or_b64 s[10:11], vcc, s[10:11]
	s_waitcnt vmcnt(0) lgkmcnt(0)
	v_mul_f64 v[32:33], v[4:5], v[198:199]
	v_fma_f64 v[32:33], v[2:3], v[196:197], -v[32:33]
	v_mul_f64 v[2:3], v[2:3], v[198:199]
	v_fmac_f64_e32 v[2:3], v[4:5], v[196:197]
	scratch_load_dwordx4 v[196:199], off, s15
	v_add_f64 v[24:25], v[24:25], v[2:3]
	ds_read_b128 v[2:5], v13 offset:1728
	v_add_f64 v[22:23], v[22:23], v[32:33]
	s_waitcnt vmcnt(0) lgkmcnt(0)
	v_mul_f64 v[32:33], v[4:5], v[198:199]
	v_fma_f64 v[32:33], v[2:3], v[196:197], -v[32:33]
	v_mul_f64 v[2:3], v[2:3], v[198:199]
	v_fmac_f64_e32 v[2:3], v[4:5], v[196:197]
	scratch_load_dwordx4 v[196:199], off, s14
	v_add_f64 v[24:25], v[24:25], v[2:3]
	ds_read_b128 v[2:5], v13 offset:1744
	v_add_f64 v[22:23], v[22:23], v[32:33]
	s_waitcnt vmcnt(0) lgkmcnt(0)
	v_mul_f64 v[32:33], v[4:5], v[198:199]
	v_mul_f64 v[138:139], v[2:3], v[198:199]
	v_fma_f64 v[32:33], v[2:3], v[196:197], -v[32:33]
	v_fmac_f64_e32 v[138:139], v[4:5], v[196:197]
	v_add_f64 v[2:3], v[22:23], v[32:33]
	v_add_f64 v[4:5], v[24:25], v[138:139]
	s_andn2_b64 exec, exec, s[10:11]
	s_cbranch_execnz .LBB61_291
; %bb.292:
	s_or_b64 exec, exec, s[10:11]
.LBB61_293:
	s_or_b64 exec, exec, s[0:1]
	v_and_b32_e32 v7, 7, v0
	v_cmp_ne_u32_e32 vcc, 0, v7
	s_and_saveexec_b64 s[0:1], vcc
	s_cbranch_execz .LBB61_297
; %bb.294:
	v_lshlrev_b32_e32 v13, 4, v6
	v_add_u32_e32 v6, 0x3e0, v13
	v_add_u32_e32 v195, 0, v13
	s_mov_b64 s[10:11], 0
.LBB61_295:                             ; =>This Inner Loop Header: Depth=1
	scratch_load_dwordx4 v[196:199], v195, off
	ds_read_b128 v[200:203], v6
	v_add_u32_e32 v7, -1, v7
	v_cmp_eq_u32_e32 vcc, 0, v7
	v_add_u32_e32 v6, 16, v6
	v_add_u32_e32 v195, 16, v195
	s_or_b64 s[10:11], vcc, s[10:11]
	s_waitcnt vmcnt(0) lgkmcnt(0)
	v_mul_f64 v[22:23], v[202:203], v[198:199]
	v_mul_f64 v[24:25], v[200:201], v[198:199]
	v_fma_f64 v[22:23], v[200:201], v[196:197], -v[22:23]
	v_fmac_f64_e32 v[24:25], v[202:203], v[196:197]
	v_add_f64 v[2:3], v[2:3], v[22:23]
	v_add_f64 v[4:5], v[4:5], v[24:25]
	s_andn2_b64 exec, exec, s[10:11]
	s_cbranch_execnz .LBB61_295
; %bb.296:
	s_or_b64 exec, exec, s[10:11]
.LBB61_297:
	s_or_b64 exec, exec, s[0:1]
.LBB61_298:
	s_or_b64 exec, exec, s[8:9]
	v_mov_b32_e32 v6, 0
	ds_read_b128 v[196:199], v6 offset:624
	s_waitcnt lgkmcnt(0)
	v_mul_f64 v[6:7], v[4:5], v[198:199]
	v_mul_f64 v[200:201], v[2:3], v[198:199]
	v_fma_f64 v[198:199], v[2:3], v[196:197], -v[6:7]
	v_fmac_f64_e32 v[200:201], v[4:5], v[196:197]
	scratch_store_dwordx4 off, v[198:201], off offset:624
.LBB61_299:
	s_or_b64 exec, exec, s[4:5]
	scratch_load_dwordx4 v[2:5], v157, off
	v_cmp_lt_u32_e64 s[0:1], 38, v0
	s_waitcnt vmcnt(0)
	ds_write_b128 v9, v[2:5]
	s_waitcnt lgkmcnt(0)
	; wave barrier
	s_waitcnt lgkmcnt(0)
	s_and_saveexec_b64 s[4:5], s[0:1]
	s_cbranch_execz .LBB61_313
; %bb.300:
	ds_read_b128 v[2:5], v9
	s_andn2_b64 vcc, exec, s[6:7]
	s_cbranch_vccnz .LBB61_302
; %bb.301:
	scratch_load_dwordx4 v[196:199], v8, off
	s_waitcnt vmcnt(0) lgkmcnt(0)
	v_mul_f64 v[22:23], v[2:3], v[198:199]
	v_mul_f64 v[6:7], v[4:5], v[198:199]
	v_fmac_f64_e32 v[22:23], v[4:5], v[196:197]
	v_fma_f64 v[2:3], v[2:3], v[196:197], -v[6:7]
	v_mov_b64_e32 v[4:5], v[22:23]
.LBB61_302:
	s_and_saveexec_b64 s[8:9], s[2:3]
	s_cbranch_execz .LBB61_312
; %bb.303:
	v_subrev_u32_e32 v7, 40, v0
	v_subrev_u32_e32 v6, 39, v0
	v_cmp_lt_u32_e32 vcc, 6, v7
	v_mov_b32_e32 v196, 39
	s_and_saveexec_b64 s[2:3], vcc
	s_cbranch_execz .LBB61_307
; %bb.304:
	v_and_b32_e32 v7, -8, v6
	s_mov_b32 s12, 0
	s_mov_b64 s[10:11], 0
	v_mov_b32_e32 v195, 0
	s_mov_b32 s13, 0
.LBB61_305:                             ; =>This Inner Loop Header: Depth=1
	v_readfirstlane_b32 s14, v195
	s_add_i32 s14, s14, s12
	s_add_i32 s15, s14, 0x270
	v_mov_b32_e32 v13, s12
	ds_read_b128 v[196:199], v13 offset:1616
	ds_read_b128 v[200:203], v13 offset:1632
	ds_read_b128 v[204:207], v13 offset:1648
	ds_read_b128 v[208:211], v13 offset:1664
	scratch_load_dwordx4 v[212:215], off, s15
	s_add_i32 s15, s14, 0x280
	s_addk_i32 s12, 0x80
	s_waitcnt vmcnt(0) lgkmcnt(3)
	v_mul_f64 v[22:23], v[198:199], v[214:215]
	v_mul_f64 v[24:25], v[196:197], v[214:215]
	v_fma_f64 v[22:23], v[196:197], v[212:213], -v[22:23]
	v_fmac_f64_e32 v[24:25], v[198:199], v[212:213]
	v_add_f64 v[22:23], v[2:3], v[22:23]
	v_add_f64 v[24:25], v[4:5], v[24:25]
	scratch_load_dwordx4 v[2:5], off, s15
	s_add_i32 s15, s14, 0x290
	s_waitcnt vmcnt(0) lgkmcnt(2)
	v_mul_f64 v[32:33], v[202:203], v[4:5]
	v_mul_f64 v[4:5], v[200:201], v[4:5]
	v_fmac_f64_e32 v[4:5], v[202:203], v[2:3]
	v_fma_f64 v[32:33], v[200:201], v[2:3], -v[32:33]
	v_add_f64 v[24:25], v[24:25], v[4:5]
	scratch_load_dwordx4 v[2:5], off, s15
	v_add_f64 v[22:23], v[22:23], v[32:33]
	s_add_i32 s15, s14, 0x2a0
	s_waitcnt vmcnt(0) lgkmcnt(1)
	v_mul_f64 v[32:33], v[206:207], v[4:5]
	v_mul_f64 v[4:5], v[204:205], v[4:5]
	v_fmac_f64_e32 v[4:5], v[206:207], v[2:3]
	v_fma_f64 v[32:33], v[204:205], v[2:3], -v[32:33]
	v_add_f64 v[24:25], v[24:25], v[4:5]
	scratch_load_dwordx4 v[2:5], off, s15
	s_add_i32 s15, s14, 0x2b0
	scratch_load_dwordx4 v[196:199], off, s15
	v_add_f64 v[22:23], v[22:23], v[32:33]
	s_add_i32 s15, s14, 0x2c0
	s_waitcnt vmcnt(1) lgkmcnt(0)
	v_mul_f64 v[32:33], v[210:211], v[4:5]
	v_mul_f64 v[4:5], v[208:209], v[4:5]
	v_fmac_f64_e32 v[4:5], v[210:211], v[2:3]
	v_fma_f64 v[32:33], v[208:209], v[2:3], -v[32:33]
	v_add_f64 v[24:25], v[24:25], v[4:5]
	ds_read_b128 v[2:5], v13 offset:1680
	v_add_f64 v[22:23], v[22:23], v[32:33]
	s_waitcnt vmcnt(0) lgkmcnt(0)
	v_mul_f64 v[32:33], v[4:5], v[198:199]
	v_fma_f64 v[32:33], v[2:3], v[196:197], -v[32:33]
	v_mul_f64 v[2:3], v[2:3], v[198:199]
	v_fmac_f64_e32 v[2:3], v[4:5], v[196:197]
	scratch_load_dwordx4 v[196:199], off, s15
	v_add_f64 v[24:25], v[24:25], v[2:3]
	ds_read_b128 v[2:5], v13 offset:1696
	v_add_f64 v[22:23], v[22:23], v[32:33]
	s_add_i32 s15, s14, 0x2d0
	s_addk_i32 s14, 0x2e0
	s_waitcnt vmcnt(0) lgkmcnt(0)
	v_mul_f64 v[32:33], v[4:5], v[198:199]
	v_fma_f64 v[32:33], v[2:3], v[196:197], -v[32:33]
	v_mul_f64 v[2:3], v[2:3], v[198:199]
	v_fmac_f64_e32 v[2:3], v[4:5], v[196:197]
	scratch_load_dwordx4 v[196:199], off, s15
	v_add_f64 v[24:25], v[24:25], v[2:3]
	ds_read_b128 v[2:5], v13 offset:1712
	v_add_f64 v[22:23], v[22:23], v[32:33]
	s_waitcnt vmcnt(0) lgkmcnt(0)
	v_mul_f64 v[32:33], v[4:5], v[198:199]
	v_fma_f64 v[32:33], v[2:3], v[196:197], -v[32:33]
	v_mul_f64 v[2:3], v[2:3], v[198:199]
	v_fmac_f64_e32 v[2:3], v[4:5], v[196:197]
	scratch_load_dwordx4 v[196:199], off, s14
	v_add_f64 v[24:25], v[24:25], v[2:3]
	ds_read_b128 v[2:5], v13 offset:1728
	v_add_f64 v[22:23], v[22:23], v[32:33]
	s_add_i32 s14, s13, 8
	v_cmp_eq_u32_e32 vcc, s14, v7
	s_add_i32 s13, s13, 47
	s_or_b64 s[10:11], vcc, s[10:11]
	s_waitcnt vmcnt(0) lgkmcnt(0)
	v_mul_f64 v[32:33], v[4:5], v[198:199]
	v_mul_f64 v[138:139], v[2:3], v[198:199]
	v_fma_f64 v[32:33], v[2:3], v[196:197], -v[32:33]
	v_fmac_f64_e32 v[138:139], v[4:5], v[196:197]
	v_add_f64 v[2:3], v[22:23], v[32:33]
	v_add_f64 v[4:5], v[24:25], v[138:139]
	v_mov_b32_e32 v196, s13
	s_mov_b32 s13, s14
	s_andn2_b64 exec, exec, s[10:11]
	s_cbranch_execnz .LBB61_305
; %bb.306:
	s_or_b64 exec, exec, s[10:11]
.LBB61_307:
	s_or_b64 exec, exec, s[2:3]
	v_and_b32_e32 v6, 7, v6
	v_cmp_ne_u32_e32 vcc, 0, v6
	s_and_saveexec_b64 s[2:3], vcc
	s_cbranch_execz .LBB61_311
; %bb.308:
	v_lshlrev_b32_e32 v13, 4, v196
	v_add_u32_e32 v7, 0x3e0, v13
	v_add_u32_e32 v195, 0, v13
	s_mov_b64 s[10:11], 0
.LBB61_309:                             ; =>This Inner Loop Header: Depth=1
	scratch_load_dwordx4 v[196:199], v195, off
	ds_read_b128 v[200:203], v7
	v_add_u32_e32 v6, -1, v6
	v_cmp_eq_u32_e32 vcc, 0, v6
	v_add_u32_e32 v7, 16, v7
	v_add_u32_e32 v195, 16, v195
	s_or_b64 s[10:11], vcc, s[10:11]
	s_waitcnt vmcnt(0) lgkmcnt(0)
	v_mul_f64 v[22:23], v[202:203], v[198:199]
	v_mul_f64 v[24:25], v[200:201], v[198:199]
	v_fma_f64 v[22:23], v[200:201], v[196:197], -v[22:23]
	v_fmac_f64_e32 v[24:25], v[202:203], v[196:197]
	v_add_f64 v[2:3], v[2:3], v[22:23]
	v_add_f64 v[4:5], v[4:5], v[24:25]
	s_andn2_b64 exec, exec, s[10:11]
	s_cbranch_execnz .LBB61_309
; %bb.310:
	s_or_b64 exec, exec, s[10:11]
.LBB61_311:
	s_or_b64 exec, exec, s[2:3]
.LBB61_312:
	s_or_b64 exec, exec, s[8:9]
	v_mov_b32_e32 v6, 0
	ds_read_b128 v[196:199], v6 offset:608
	s_waitcnt lgkmcnt(0)
	v_mul_f64 v[6:7], v[4:5], v[198:199]
	v_mul_f64 v[200:201], v[2:3], v[198:199]
	v_fma_f64 v[198:199], v[2:3], v[196:197], -v[6:7]
	v_fmac_f64_e32 v[200:201], v[4:5], v[196:197]
	scratch_store_dwordx4 off, v[198:201], off offset:608
.LBB61_313:
	s_or_b64 exec, exec, s[4:5]
	scratch_load_dwordx4 v[2:5], v158, off
	v_cmp_lt_u32_e64 s[2:3], 37, v0
	s_waitcnt vmcnt(0)
	ds_write_b128 v9, v[2:5]
	s_waitcnt lgkmcnt(0)
	; wave barrier
	s_waitcnt lgkmcnt(0)
	s_and_saveexec_b64 s[4:5], s[2:3]
	s_cbranch_execz .LBB61_327
; %bb.314:
	ds_read_b128 v[2:5], v9
	s_andn2_b64 vcc, exec, s[6:7]
	s_cbranch_vccnz .LBB61_316
; %bb.315:
	scratch_load_dwordx4 v[196:199], v8, off
	s_waitcnt vmcnt(0) lgkmcnt(0)
	v_mul_f64 v[22:23], v[2:3], v[198:199]
	v_mul_f64 v[6:7], v[4:5], v[198:199]
	v_fmac_f64_e32 v[22:23], v[4:5], v[196:197]
	v_fma_f64 v[2:3], v[2:3], v[196:197], -v[6:7]
	v_mov_b64_e32 v[4:5], v[22:23]
.LBB61_316:
	s_and_saveexec_b64 s[8:9], s[0:1]
	s_cbranch_execz .LBB61_326
; %bb.317:
	v_subrev_u32_e32 v7, 39, v0
	v_subrev_u32_e32 v6, 38, v0
	v_cmp_lt_u32_e32 vcc, 6, v7
	v_mov_b32_e32 v196, 38
	s_and_saveexec_b64 s[0:1], vcc
	s_cbranch_execz .LBB61_321
; %bb.318:
	v_and_b32_e32 v7, -8, v6
	s_mov_b32 s12, 0
	s_mov_b64 s[10:11], 0
	v_mov_b32_e32 v195, 0
	s_mov_b32 s13, 0
.LBB61_319:                             ; =>This Inner Loop Header: Depth=1
	v_readfirstlane_b32 s14, v195
	s_add_i32 s14, s14, s12
	s_add_i32 s15, s14, 0x260
	v_mov_b32_e32 v13, s12
	ds_read_b128 v[196:199], v13 offset:1600
	ds_read_b128 v[200:203], v13 offset:1616
	ds_read_b128 v[204:207], v13 offset:1632
	ds_read_b128 v[208:211], v13 offset:1648
	scratch_load_dwordx4 v[212:215], off, s15
	s_add_i32 s15, s14, 0x270
	s_addk_i32 s12, 0x80
	s_waitcnt vmcnt(0) lgkmcnt(3)
	v_mul_f64 v[22:23], v[198:199], v[214:215]
	v_mul_f64 v[24:25], v[196:197], v[214:215]
	v_fma_f64 v[22:23], v[196:197], v[212:213], -v[22:23]
	v_fmac_f64_e32 v[24:25], v[198:199], v[212:213]
	v_add_f64 v[22:23], v[2:3], v[22:23]
	v_add_f64 v[24:25], v[4:5], v[24:25]
	scratch_load_dwordx4 v[2:5], off, s15
	s_add_i32 s15, s14, 0x280
	s_waitcnt vmcnt(0) lgkmcnt(2)
	v_mul_f64 v[32:33], v[202:203], v[4:5]
	v_mul_f64 v[4:5], v[200:201], v[4:5]
	v_fmac_f64_e32 v[4:5], v[202:203], v[2:3]
	v_fma_f64 v[32:33], v[200:201], v[2:3], -v[32:33]
	v_add_f64 v[24:25], v[24:25], v[4:5]
	scratch_load_dwordx4 v[2:5], off, s15
	v_add_f64 v[22:23], v[22:23], v[32:33]
	s_add_i32 s15, s14, 0x290
	s_waitcnt vmcnt(0) lgkmcnt(1)
	v_mul_f64 v[32:33], v[206:207], v[4:5]
	v_mul_f64 v[4:5], v[204:205], v[4:5]
	v_fmac_f64_e32 v[4:5], v[206:207], v[2:3]
	v_fma_f64 v[32:33], v[204:205], v[2:3], -v[32:33]
	v_add_f64 v[24:25], v[24:25], v[4:5]
	scratch_load_dwordx4 v[2:5], off, s15
	s_add_i32 s15, s14, 0x2a0
	scratch_load_dwordx4 v[196:199], off, s15
	v_add_f64 v[22:23], v[22:23], v[32:33]
	s_add_i32 s15, s14, 0x2b0
	s_waitcnt vmcnt(1) lgkmcnt(0)
	v_mul_f64 v[32:33], v[210:211], v[4:5]
	v_mul_f64 v[4:5], v[208:209], v[4:5]
	v_fmac_f64_e32 v[4:5], v[210:211], v[2:3]
	v_fma_f64 v[32:33], v[208:209], v[2:3], -v[32:33]
	v_add_f64 v[24:25], v[24:25], v[4:5]
	ds_read_b128 v[2:5], v13 offset:1664
	v_add_f64 v[22:23], v[22:23], v[32:33]
	s_waitcnt vmcnt(0) lgkmcnt(0)
	v_mul_f64 v[32:33], v[4:5], v[198:199]
	v_fma_f64 v[32:33], v[2:3], v[196:197], -v[32:33]
	v_mul_f64 v[2:3], v[2:3], v[198:199]
	v_fmac_f64_e32 v[2:3], v[4:5], v[196:197]
	scratch_load_dwordx4 v[196:199], off, s15
	v_add_f64 v[24:25], v[24:25], v[2:3]
	ds_read_b128 v[2:5], v13 offset:1680
	v_add_f64 v[22:23], v[22:23], v[32:33]
	s_add_i32 s15, s14, 0x2c0
	s_addk_i32 s14, 0x2d0
	s_waitcnt vmcnt(0) lgkmcnt(0)
	v_mul_f64 v[32:33], v[4:5], v[198:199]
	v_fma_f64 v[32:33], v[2:3], v[196:197], -v[32:33]
	v_mul_f64 v[2:3], v[2:3], v[198:199]
	v_fmac_f64_e32 v[2:3], v[4:5], v[196:197]
	scratch_load_dwordx4 v[196:199], off, s15
	v_add_f64 v[24:25], v[24:25], v[2:3]
	ds_read_b128 v[2:5], v13 offset:1696
	v_add_f64 v[22:23], v[22:23], v[32:33]
	s_waitcnt vmcnt(0) lgkmcnt(0)
	v_mul_f64 v[32:33], v[4:5], v[198:199]
	v_fma_f64 v[32:33], v[2:3], v[196:197], -v[32:33]
	v_mul_f64 v[2:3], v[2:3], v[198:199]
	v_fmac_f64_e32 v[2:3], v[4:5], v[196:197]
	scratch_load_dwordx4 v[196:199], off, s14
	v_add_f64 v[24:25], v[24:25], v[2:3]
	ds_read_b128 v[2:5], v13 offset:1712
	v_add_f64 v[22:23], v[22:23], v[32:33]
	s_add_i32 s14, s13, 8
	v_cmp_eq_u32_e32 vcc, s14, v7
	s_add_i32 s13, s13, 46
	s_or_b64 s[10:11], vcc, s[10:11]
	s_waitcnt vmcnt(0) lgkmcnt(0)
	v_mul_f64 v[32:33], v[4:5], v[198:199]
	v_mul_f64 v[138:139], v[2:3], v[198:199]
	v_fma_f64 v[32:33], v[2:3], v[196:197], -v[32:33]
	v_fmac_f64_e32 v[138:139], v[4:5], v[196:197]
	v_add_f64 v[2:3], v[22:23], v[32:33]
	v_add_f64 v[4:5], v[24:25], v[138:139]
	v_mov_b32_e32 v196, s13
	s_mov_b32 s13, s14
	s_andn2_b64 exec, exec, s[10:11]
	s_cbranch_execnz .LBB61_319
; %bb.320:
	s_or_b64 exec, exec, s[10:11]
.LBB61_321:
	s_or_b64 exec, exec, s[0:1]
	v_and_b32_e32 v6, 7, v6
	v_cmp_ne_u32_e32 vcc, 0, v6
	s_and_saveexec_b64 s[0:1], vcc
	s_cbranch_execz .LBB61_325
; %bb.322:
	v_lshlrev_b32_e32 v13, 4, v196
	v_add_u32_e32 v7, 0x3e0, v13
	v_add_u32_e32 v195, 0, v13
	s_mov_b64 s[10:11], 0
.LBB61_323:                             ; =>This Inner Loop Header: Depth=1
	scratch_load_dwordx4 v[196:199], v195, off
	ds_read_b128 v[200:203], v7
	v_add_u32_e32 v6, -1, v6
	v_cmp_eq_u32_e32 vcc, 0, v6
	v_add_u32_e32 v7, 16, v7
	v_add_u32_e32 v195, 16, v195
	s_or_b64 s[10:11], vcc, s[10:11]
	s_waitcnt vmcnt(0) lgkmcnt(0)
	v_mul_f64 v[22:23], v[202:203], v[198:199]
	v_mul_f64 v[24:25], v[200:201], v[198:199]
	v_fma_f64 v[22:23], v[200:201], v[196:197], -v[22:23]
	v_fmac_f64_e32 v[24:25], v[202:203], v[196:197]
	v_add_f64 v[2:3], v[2:3], v[22:23]
	v_add_f64 v[4:5], v[4:5], v[24:25]
	s_andn2_b64 exec, exec, s[10:11]
	s_cbranch_execnz .LBB61_323
; %bb.324:
	s_or_b64 exec, exec, s[10:11]
.LBB61_325:
	s_or_b64 exec, exec, s[0:1]
.LBB61_326:
	s_or_b64 exec, exec, s[8:9]
	v_mov_b32_e32 v6, 0
	ds_read_b128 v[196:199], v6 offset:592
	s_waitcnt lgkmcnt(0)
	v_mul_f64 v[6:7], v[4:5], v[198:199]
	v_mul_f64 v[200:201], v[2:3], v[198:199]
	v_fma_f64 v[198:199], v[2:3], v[196:197], -v[6:7]
	v_fmac_f64_e32 v[200:201], v[4:5], v[196:197]
	scratch_store_dwordx4 off, v[198:201], off offset:592
.LBB61_327:
	s_or_b64 exec, exec, s[4:5]
	scratch_load_dwordx4 v[2:5], v159, off
	v_cmp_lt_u32_e64 s[0:1], 36, v0
	s_waitcnt vmcnt(0)
	ds_write_b128 v9, v[2:5]
	s_waitcnt lgkmcnt(0)
	; wave barrier
	s_waitcnt lgkmcnt(0)
	s_and_saveexec_b64 s[4:5], s[0:1]
	s_cbranch_execz .LBB61_341
; %bb.328:
	ds_read_b128 v[2:5], v9
	s_andn2_b64 vcc, exec, s[6:7]
	s_cbranch_vccnz .LBB61_330
; %bb.329:
	scratch_load_dwordx4 v[196:199], v8, off
	s_waitcnt vmcnt(0) lgkmcnt(0)
	v_mul_f64 v[22:23], v[2:3], v[198:199]
	v_mul_f64 v[6:7], v[4:5], v[198:199]
	v_fmac_f64_e32 v[22:23], v[4:5], v[196:197]
	v_fma_f64 v[2:3], v[2:3], v[196:197], -v[6:7]
	v_mov_b64_e32 v[4:5], v[22:23]
.LBB61_330:
	s_and_saveexec_b64 s[8:9], s[2:3]
	s_cbranch_execz .LBB61_340
; %bb.331:
	v_subrev_u32_e32 v7, 38, v0
	v_subrev_u32_e32 v6, 37, v0
	v_cmp_lt_u32_e32 vcc, 6, v7
	v_mov_b32_e32 v196, 37
	s_and_saveexec_b64 s[2:3], vcc
	s_cbranch_execz .LBB61_335
; %bb.332:
	v_and_b32_e32 v7, -8, v6
	s_mov_b32 s12, 0
	s_mov_b64 s[10:11], 0
	v_mov_b32_e32 v195, 0
	s_mov_b32 s13, 0
.LBB61_333:                             ; =>This Inner Loop Header: Depth=1
	v_readfirstlane_b32 s14, v195
	s_add_i32 s14, s14, s12
	s_add_i32 s15, s14, 0x250
	v_mov_b32_e32 v13, s12
	ds_read_b128 v[196:199], v13 offset:1584
	ds_read_b128 v[200:203], v13 offset:1600
	;; [unrolled: 1-line block ×4, first 2 shown]
	scratch_load_dwordx4 v[212:215], off, s15
	s_add_i32 s15, s14, 0x260
	s_addk_i32 s12, 0x80
	s_waitcnt vmcnt(0) lgkmcnt(3)
	v_mul_f64 v[22:23], v[198:199], v[214:215]
	v_mul_f64 v[24:25], v[196:197], v[214:215]
	v_fma_f64 v[22:23], v[196:197], v[212:213], -v[22:23]
	v_fmac_f64_e32 v[24:25], v[198:199], v[212:213]
	v_add_f64 v[22:23], v[2:3], v[22:23]
	v_add_f64 v[24:25], v[4:5], v[24:25]
	scratch_load_dwordx4 v[2:5], off, s15
	s_add_i32 s15, s14, 0x270
	s_waitcnt vmcnt(0) lgkmcnt(2)
	v_mul_f64 v[32:33], v[202:203], v[4:5]
	v_mul_f64 v[4:5], v[200:201], v[4:5]
	v_fmac_f64_e32 v[4:5], v[202:203], v[2:3]
	v_fma_f64 v[32:33], v[200:201], v[2:3], -v[32:33]
	v_add_f64 v[24:25], v[24:25], v[4:5]
	scratch_load_dwordx4 v[2:5], off, s15
	v_add_f64 v[22:23], v[22:23], v[32:33]
	s_add_i32 s15, s14, 0x280
	s_waitcnt vmcnt(0) lgkmcnt(1)
	v_mul_f64 v[32:33], v[206:207], v[4:5]
	v_mul_f64 v[4:5], v[204:205], v[4:5]
	v_fmac_f64_e32 v[4:5], v[206:207], v[2:3]
	v_fma_f64 v[32:33], v[204:205], v[2:3], -v[32:33]
	v_add_f64 v[24:25], v[24:25], v[4:5]
	scratch_load_dwordx4 v[2:5], off, s15
	s_add_i32 s15, s14, 0x290
	scratch_load_dwordx4 v[196:199], off, s15
	v_add_f64 v[22:23], v[22:23], v[32:33]
	s_add_i32 s15, s14, 0x2a0
	s_waitcnt vmcnt(1) lgkmcnt(0)
	v_mul_f64 v[32:33], v[210:211], v[4:5]
	v_mul_f64 v[4:5], v[208:209], v[4:5]
	v_fmac_f64_e32 v[4:5], v[210:211], v[2:3]
	v_fma_f64 v[32:33], v[208:209], v[2:3], -v[32:33]
	v_add_f64 v[24:25], v[24:25], v[4:5]
	ds_read_b128 v[2:5], v13 offset:1648
	v_add_f64 v[22:23], v[22:23], v[32:33]
	s_waitcnt vmcnt(0) lgkmcnt(0)
	v_mul_f64 v[32:33], v[4:5], v[198:199]
	v_fma_f64 v[32:33], v[2:3], v[196:197], -v[32:33]
	v_mul_f64 v[2:3], v[2:3], v[198:199]
	v_fmac_f64_e32 v[2:3], v[4:5], v[196:197]
	scratch_load_dwordx4 v[196:199], off, s15
	v_add_f64 v[24:25], v[24:25], v[2:3]
	ds_read_b128 v[2:5], v13 offset:1664
	v_add_f64 v[22:23], v[22:23], v[32:33]
	s_add_i32 s15, s14, 0x2b0
	s_addk_i32 s14, 0x2c0
	s_waitcnt vmcnt(0) lgkmcnt(0)
	v_mul_f64 v[32:33], v[4:5], v[198:199]
	v_fma_f64 v[32:33], v[2:3], v[196:197], -v[32:33]
	v_mul_f64 v[2:3], v[2:3], v[198:199]
	v_fmac_f64_e32 v[2:3], v[4:5], v[196:197]
	scratch_load_dwordx4 v[196:199], off, s15
	v_add_f64 v[24:25], v[24:25], v[2:3]
	ds_read_b128 v[2:5], v13 offset:1680
	v_add_f64 v[22:23], v[22:23], v[32:33]
	s_waitcnt vmcnt(0) lgkmcnt(0)
	v_mul_f64 v[32:33], v[4:5], v[198:199]
	v_fma_f64 v[32:33], v[2:3], v[196:197], -v[32:33]
	v_mul_f64 v[2:3], v[2:3], v[198:199]
	v_fmac_f64_e32 v[2:3], v[4:5], v[196:197]
	scratch_load_dwordx4 v[196:199], off, s14
	v_add_f64 v[24:25], v[24:25], v[2:3]
	ds_read_b128 v[2:5], v13 offset:1696
	v_add_f64 v[22:23], v[22:23], v[32:33]
	s_add_i32 s14, s13, 8
	v_cmp_eq_u32_e32 vcc, s14, v7
	s_add_i32 s13, s13, 45
	s_or_b64 s[10:11], vcc, s[10:11]
	s_waitcnt vmcnt(0) lgkmcnt(0)
	v_mul_f64 v[32:33], v[4:5], v[198:199]
	v_mul_f64 v[138:139], v[2:3], v[198:199]
	v_fma_f64 v[32:33], v[2:3], v[196:197], -v[32:33]
	v_fmac_f64_e32 v[138:139], v[4:5], v[196:197]
	v_add_f64 v[2:3], v[22:23], v[32:33]
	v_add_f64 v[4:5], v[24:25], v[138:139]
	v_mov_b32_e32 v196, s13
	s_mov_b32 s13, s14
	s_andn2_b64 exec, exec, s[10:11]
	s_cbranch_execnz .LBB61_333
; %bb.334:
	s_or_b64 exec, exec, s[10:11]
.LBB61_335:
	s_or_b64 exec, exec, s[2:3]
	v_and_b32_e32 v6, 7, v6
	v_cmp_ne_u32_e32 vcc, 0, v6
	s_and_saveexec_b64 s[2:3], vcc
	s_cbranch_execz .LBB61_339
; %bb.336:
	v_lshlrev_b32_e32 v13, 4, v196
	v_add_u32_e32 v7, 0x3e0, v13
	v_add_u32_e32 v195, 0, v13
	s_mov_b64 s[10:11], 0
.LBB61_337:                             ; =>This Inner Loop Header: Depth=1
	scratch_load_dwordx4 v[196:199], v195, off
	ds_read_b128 v[200:203], v7
	v_add_u32_e32 v6, -1, v6
	v_cmp_eq_u32_e32 vcc, 0, v6
	v_add_u32_e32 v7, 16, v7
	v_add_u32_e32 v195, 16, v195
	s_or_b64 s[10:11], vcc, s[10:11]
	s_waitcnt vmcnt(0) lgkmcnt(0)
	v_mul_f64 v[22:23], v[202:203], v[198:199]
	v_mul_f64 v[24:25], v[200:201], v[198:199]
	v_fma_f64 v[22:23], v[200:201], v[196:197], -v[22:23]
	v_fmac_f64_e32 v[24:25], v[202:203], v[196:197]
	v_add_f64 v[2:3], v[2:3], v[22:23]
	v_add_f64 v[4:5], v[4:5], v[24:25]
	s_andn2_b64 exec, exec, s[10:11]
	s_cbranch_execnz .LBB61_337
; %bb.338:
	s_or_b64 exec, exec, s[10:11]
.LBB61_339:
	s_or_b64 exec, exec, s[2:3]
.LBB61_340:
	s_or_b64 exec, exec, s[8:9]
	v_mov_b32_e32 v6, 0
	ds_read_b128 v[196:199], v6 offset:576
	s_waitcnt lgkmcnt(0)
	v_mul_f64 v[6:7], v[4:5], v[198:199]
	v_mul_f64 v[200:201], v[2:3], v[198:199]
	v_fma_f64 v[198:199], v[2:3], v[196:197], -v[6:7]
	v_fmac_f64_e32 v[200:201], v[4:5], v[196:197]
	scratch_store_dwordx4 off, v[198:201], off offset:576
.LBB61_341:
	s_or_b64 exec, exec, s[4:5]
	scratch_load_dwordx4 v[2:5], v160, off
	v_cmp_lt_u32_e64 s[2:3], 35, v0
	s_waitcnt vmcnt(0)
	ds_write_b128 v9, v[2:5]
	s_waitcnt lgkmcnt(0)
	; wave barrier
	s_waitcnt lgkmcnt(0)
	s_and_saveexec_b64 s[4:5], s[2:3]
	s_cbranch_execz .LBB61_355
; %bb.342:
	ds_read_b128 v[2:5], v9
	s_andn2_b64 vcc, exec, s[6:7]
	s_cbranch_vccnz .LBB61_344
; %bb.343:
	scratch_load_dwordx4 v[196:199], v8, off
	s_waitcnt vmcnt(0) lgkmcnt(0)
	v_mul_f64 v[22:23], v[2:3], v[198:199]
	v_mul_f64 v[6:7], v[4:5], v[198:199]
	v_fmac_f64_e32 v[22:23], v[4:5], v[196:197]
	v_fma_f64 v[2:3], v[2:3], v[196:197], -v[6:7]
	v_mov_b64_e32 v[4:5], v[22:23]
.LBB61_344:
	s_and_saveexec_b64 s[8:9], s[0:1]
	s_cbranch_execz .LBB61_354
; %bb.345:
	v_subrev_u32_e32 v7, 37, v0
	v_subrev_u32_e32 v6, 36, v0
	v_cmp_lt_u32_e32 vcc, 6, v7
	v_mov_b32_e32 v196, 36
	s_and_saveexec_b64 s[0:1], vcc
	s_cbranch_execz .LBB61_349
; %bb.346:
	v_and_b32_e32 v7, -8, v6
	s_mov_b32 s12, 0
	s_mov_b64 s[10:11], 0
	v_mov_b32_e32 v195, 0
	s_mov_b32 s13, 0
.LBB61_347:                             ; =>This Inner Loop Header: Depth=1
	v_readfirstlane_b32 s14, v195
	s_add_i32 s14, s14, s12
	s_add_i32 s15, s14, 0x240
	v_mov_b32_e32 v13, s12
	ds_read_b128 v[196:199], v13 offset:1568
	ds_read_b128 v[200:203], v13 offset:1584
	ds_read_b128 v[204:207], v13 offset:1600
	ds_read_b128 v[208:211], v13 offset:1616
	scratch_load_dwordx4 v[212:215], off, s15
	s_add_i32 s15, s14, 0x250
	s_addk_i32 s12, 0x80
	s_waitcnt vmcnt(0) lgkmcnt(3)
	v_mul_f64 v[22:23], v[198:199], v[214:215]
	v_mul_f64 v[24:25], v[196:197], v[214:215]
	v_fma_f64 v[22:23], v[196:197], v[212:213], -v[22:23]
	v_fmac_f64_e32 v[24:25], v[198:199], v[212:213]
	v_add_f64 v[22:23], v[2:3], v[22:23]
	v_add_f64 v[24:25], v[4:5], v[24:25]
	scratch_load_dwordx4 v[2:5], off, s15
	s_add_i32 s15, s14, 0x260
	s_waitcnt vmcnt(0) lgkmcnt(2)
	v_mul_f64 v[32:33], v[202:203], v[4:5]
	v_mul_f64 v[4:5], v[200:201], v[4:5]
	v_fmac_f64_e32 v[4:5], v[202:203], v[2:3]
	v_fma_f64 v[32:33], v[200:201], v[2:3], -v[32:33]
	v_add_f64 v[24:25], v[24:25], v[4:5]
	scratch_load_dwordx4 v[2:5], off, s15
	v_add_f64 v[22:23], v[22:23], v[32:33]
	s_add_i32 s15, s14, 0x270
	s_waitcnt vmcnt(0) lgkmcnt(1)
	v_mul_f64 v[32:33], v[206:207], v[4:5]
	v_mul_f64 v[4:5], v[204:205], v[4:5]
	v_fmac_f64_e32 v[4:5], v[206:207], v[2:3]
	v_fma_f64 v[32:33], v[204:205], v[2:3], -v[32:33]
	v_add_f64 v[24:25], v[24:25], v[4:5]
	scratch_load_dwordx4 v[2:5], off, s15
	s_add_i32 s15, s14, 0x280
	scratch_load_dwordx4 v[196:199], off, s15
	v_add_f64 v[22:23], v[22:23], v[32:33]
	s_add_i32 s15, s14, 0x290
	s_waitcnt vmcnt(1) lgkmcnt(0)
	v_mul_f64 v[32:33], v[210:211], v[4:5]
	v_mul_f64 v[4:5], v[208:209], v[4:5]
	v_fmac_f64_e32 v[4:5], v[210:211], v[2:3]
	v_fma_f64 v[32:33], v[208:209], v[2:3], -v[32:33]
	v_add_f64 v[24:25], v[24:25], v[4:5]
	ds_read_b128 v[2:5], v13 offset:1632
	v_add_f64 v[22:23], v[22:23], v[32:33]
	s_waitcnt vmcnt(0) lgkmcnt(0)
	v_mul_f64 v[32:33], v[4:5], v[198:199]
	v_fma_f64 v[32:33], v[2:3], v[196:197], -v[32:33]
	v_mul_f64 v[2:3], v[2:3], v[198:199]
	v_fmac_f64_e32 v[2:3], v[4:5], v[196:197]
	scratch_load_dwordx4 v[196:199], off, s15
	v_add_f64 v[24:25], v[24:25], v[2:3]
	ds_read_b128 v[2:5], v13 offset:1648
	v_add_f64 v[22:23], v[22:23], v[32:33]
	s_add_i32 s15, s14, 0x2a0
	s_addk_i32 s14, 0x2b0
	s_waitcnt vmcnt(0) lgkmcnt(0)
	v_mul_f64 v[32:33], v[4:5], v[198:199]
	v_fma_f64 v[32:33], v[2:3], v[196:197], -v[32:33]
	v_mul_f64 v[2:3], v[2:3], v[198:199]
	v_fmac_f64_e32 v[2:3], v[4:5], v[196:197]
	scratch_load_dwordx4 v[196:199], off, s15
	v_add_f64 v[24:25], v[24:25], v[2:3]
	ds_read_b128 v[2:5], v13 offset:1664
	v_add_f64 v[22:23], v[22:23], v[32:33]
	s_waitcnt vmcnt(0) lgkmcnt(0)
	v_mul_f64 v[32:33], v[4:5], v[198:199]
	v_fma_f64 v[32:33], v[2:3], v[196:197], -v[32:33]
	v_mul_f64 v[2:3], v[2:3], v[198:199]
	v_fmac_f64_e32 v[2:3], v[4:5], v[196:197]
	scratch_load_dwordx4 v[196:199], off, s14
	v_add_f64 v[24:25], v[24:25], v[2:3]
	ds_read_b128 v[2:5], v13 offset:1680
	v_add_f64 v[22:23], v[22:23], v[32:33]
	s_add_i32 s14, s13, 8
	v_cmp_eq_u32_e32 vcc, s14, v7
	s_add_i32 s13, s13, 44
	s_or_b64 s[10:11], vcc, s[10:11]
	s_waitcnt vmcnt(0) lgkmcnt(0)
	v_mul_f64 v[32:33], v[4:5], v[198:199]
	v_mul_f64 v[138:139], v[2:3], v[198:199]
	v_fma_f64 v[32:33], v[2:3], v[196:197], -v[32:33]
	v_fmac_f64_e32 v[138:139], v[4:5], v[196:197]
	v_add_f64 v[2:3], v[22:23], v[32:33]
	v_add_f64 v[4:5], v[24:25], v[138:139]
	v_mov_b32_e32 v196, s13
	s_mov_b32 s13, s14
	s_andn2_b64 exec, exec, s[10:11]
	s_cbranch_execnz .LBB61_347
; %bb.348:
	s_or_b64 exec, exec, s[10:11]
.LBB61_349:
	s_or_b64 exec, exec, s[0:1]
	v_and_b32_e32 v6, 7, v6
	v_cmp_ne_u32_e32 vcc, 0, v6
	s_and_saveexec_b64 s[0:1], vcc
	s_cbranch_execz .LBB61_353
; %bb.350:
	v_lshlrev_b32_e32 v13, 4, v196
	v_add_u32_e32 v7, 0x3e0, v13
	v_add_u32_e32 v195, 0, v13
	s_mov_b64 s[10:11], 0
.LBB61_351:                             ; =>This Inner Loop Header: Depth=1
	scratch_load_dwordx4 v[196:199], v195, off
	ds_read_b128 v[200:203], v7
	v_add_u32_e32 v6, -1, v6
	v_cmp_eq_u32_e32 vcc, 0, v6
	v_add_u32_e32 v7, 16, v7
	v_add_u32_e32 v195, 16, v195
	s_or_b64 s[10:11], vcc, s[10:11]
	s_waitcnt vmcnt(0) lgkmcnt(0)
	v_mul_f64 v[22:23], v[202:203], v[198:199]
	v_mul_f64 v[24:25], v[200:201], v[198:199]
	v_fma_f64 v[22:23], v[200:201], v[196:197], -v[22:23]
	v_fmac_f64_e32 v[24:25], v[202:203], v[196:197]
	v_add_f64 v[2:3], v[2:3], v[22:23]
	v_add_f64 v[4:5], v[4:5], v[24:25]
	s_andn2_b64 exec, exec, s[10:11]
	s_cbranch_execnz .LBB61_351
; %bb.352:
	s_or_b64 exec, exec, s[10:11]
.LBB61_353:
	s_or_b64 exec, exec, s[0:1]
.LBB61_354:
	s_or_b64 exec, exec, s[8:9]
	v_mov_b32_e32 v6, 0
	ds_read_b128 v[196:199], v6 offset:560
	s_waitcnt lgkmcnt(0)
	v_mul_f64 v[6:7], v[4:5], v[198:199]
	v_mul_f64 v[200:201], v[2:3], v[198:199]
	v_fma_f64 v[198:199], v[2:3], v[196:197], -v[6:7]
	v_fmac_f64_e32 v[200:201], v[4:5], v[196:197]
	scratch_store_dwordx4 off, v[198:201], off offset:560
.LBB61_355:
	s_or_b64 exec, exec, s[4:5]
	scratch_load_dwordx4 v[2:5], v161, off
	v_cmp_lt_u32_e64 s[0:1], 34, v0
	s_waitcnt vmcnt(0)
	ds_write_b128 v9, v[2:5]
	s_waitcnt lgkmcnt(0)
	; wave barrier
	s_waitcnt lgkmcnt(0)
	s_and_saveexec_b64 s[4:5], s[0:1]
	s_cbranch_execz .LBB61_369
; %bb.356:
	ds_read_b128 v[2:5], v9
	s_andn2_b64 vcc, exec, s[6:7]
	s_cbranch_vccnz .LBB61_358
; %bb.357:
	scratch_load_dwordx4 v[196:199], v8, off
	s_waitcnt vmcnt(0) lgkmcnt(0)
	v_mul_f64 v[22:23], v[2:3], v[198:199]
	v_mul_f64 v[6:7], v[4:5], v[198:199]
	v_fmac_f64_e32 v[22:23], v[4:5], v[196:197]
	v_fma_f64 v[2:3], v[2:3], v[196:197], -v[6:7]
	v_mov_b64_e32 v[4:5], v[22:23]
.LBB61_358:
	s_and_saveexec_b64 s[8:9], s[2:3]
	s_cbranch_execz .LBB61_368
; %bb.359:
	v_subrev_u32_e32 v7, 36, v0
	v_subrev_u32_e32 v6, 35, v0
	v_cmp_lt_u32_e32 vcc, 6, v7
	v_mov_b32_e32 v196, 35
	s_and_saveexec_b64 s[2:3], vcc
	s_cbranch_execz .LBB61_363
; %bb.360:
	v_and_b32_e32 v7, -8, v6
	s_mov_b32 s12, 0
	s_mov_b64 s[10:11], 0
	v_mov_b32_e32 v195, 0
	s_mov_b32 s13, 0
.LBB61_361:                             ; =>This Inner Loop Header: Depth=1
	v_readfirstlane_b32 s14, v195
	s_add_i32 s14, s14, s12
	s_add_i32 s15, s14, 0x230
	v_mov_b32_e32 v13, s12
	ds_read_b128 v[196:199], v13 offset:1552
	ds_read_b128 v[200:203], v13 offset:1568
	;; [unrolled: 1-line block ×4, first 2 shown]
	scratch_load_dwordx4 v[212:215], off, s15
	s_add_i32 s15, s14, 0x240
	s_addk_i32 s12, 0x80
	s_waitcnt vmcnt(0) lgkmcnt(3)
	v_mul_f64 v[22:23], v[198:199], v[214:215]
	v_mul_f64 v[24:25], v[196:197], v[214:215]
	v_fma_f64 v[22:23], v[196:197], v[212:213], -v[22:23]
	v_fmac_f64_e32 v[24:25], v[198:199], v[212:213]
	v_add_f64 v[22:23], v[2:3], v[22:23]
	v_add_f64 v[24:25], v[4:5], v[24:25]
	scratch_load_dwordx4 v[2:5], off, s15
	s_add_i32 s15, s14, 0x250
	s_waitcnt vmcnt(0) lgkmcnt(2)
	v_mul_f64 v[32:33], v[202:203], v[4:5]
	v_mul_f64 v[4:5], v[200:201], v[4:5]
	v_fmac_f64_e32 v[4:5], v[202:203], v[2:3]
	v_fma_f64 v[32:33], v[200:201], v[2:3], -v[32:33]
	v_add_f64 v[24:25], v[24:25], v[4:5]
	scratch_load_dwordx4 v[2:5], off, s15
	v_add_f64 v[22:23], v[22:23], v[32:33]
	s_add_i32 s15, s14, 0x260
	s_waitcnt vmcnt(0) lgkmcnt(1)
	v_mul_f64 v[32:33], v[206:207], v[4:5]
	v_mul_f64 v[4:5], v[204:205], v[4:5]
	v_fmac_f64_e32 v[4:5], v[206:207], v[2:3]
	v_fma_f64 v[32:33], v[204:205], v[2:3], -v[32:33]
	v_add_f64 v[24:25], v[24:25], v[4:5]
	scratch_load_dwordx4 v[2:5], off, s15
	s_add_i32 s15, s14, 0x270
	scratch_load_dwordx4 v[196:199], off, s15
	v_add_f64 v[22:23], v[22:23], v[32:33]
	s_add_i32 s15, s14, 0x280
	s_waitcnt vmcnt(1) lgkmcnt(0)
	v_mul_f64 v[32:33], v[210:211], v[4:5]
	v_mul_f64 v[4:5], v[208:209], v[4:5]
	v_fmac_f64_e32 v[4:5], v[210:211], v[2:3]
	v_fma_f64 v[32:33], v[208:209], v[2:3], -v[32:33]
	v_add_f64 v[24:25], v[24:25], v[4:5]
	ds_read_b128 v[2:5], v13 offset:1616
	v_add_f64 v[22:23], v[22:23], v[32:33]
	s_waitcnt vmcnt(0) lgkmcnt(0)
	v_mul_f64 v[32:33], v[4:5], v[198:199]
	v_fma_f64 v[32:33], v[2:3], v[196:197], -v[32:33]
	v_mul_f64 v[2:3], v[2:3], v[198:199]
	v_fmac_f64_e32 v[2:3], v[4:5], v[196:197]
	scratch_load_dwordx4 v[196:199], off, s15
	v_add_f64 v[24:25], v[24:25], v[2:3]
	ds_read_b128 v[2:5], v13 offset:1632
	v_add_f64 v[22:23], v[22:23], v[32:33]
	s_add_i32 s15, s14, 0x290
	s_addk_i32 s14, 0x2a0
	s_waitcnt vmcnt(0) lgkmcnt(0)
	v_mul_f64 v[32:33], v[4:5], v[198:199]
	v_fma_f64 v[32:33], v[2:3], v[196:197], -v[32:33]
	v_mul_f64 v[2:3], v[2:3], v[198:199]
	v_fmac_f64_e32 v[2:3], v[4:5], v[196:197]
	scratch_load_dwordx4 v[196:199], off, s15
	v_add_f64 v[24:25], v[24:25], v[2:3]
	ds_read_b128 v[2:5], v13 offset:1648
	v_add_f64 v[22:23], v[22:23], v[32:33]
	s_waitcnt vmcnt(0) lgkmcnt(0)
	v_mul_f64 v[32:33], v[4:5], v[198:199]
	v_fma_f64 v[32:33], v[2:3], v[196:197], -v[32:33]
	v_mul_f64 v[2:3], v[2:3], v[198:199]
	v_fmac_f64_e32 v[2:3], v[4:5], v[196:197]
	scratch_load_dwordx4 v[196:199], off, s14
	v_add_f64 v[24:25], v[24:25], v[2:3]
	ds_read_b128 v[2:5], v13 offset:1664
	v_add_f64 v[22:23], v[22:23], v[32:33]
	s_add_i32 s14, s13, 8
	v_cmp_eq_u32_e32 vcc, s14, v7
	s_add_i32 s13, s13, 43
	s_or_b64 s[10:11], vcc, s[10:11]
	s_waitcnt vmcnt(0) lgkmcnt(0)
	v_mul_f64 v[32:33], v[4:5], v[198:199]
	v_mul_f64 v[138:139], v[2:3], v[198:199]
	v_fma_f64 v[32:33], v[2:3], v[196:197], -v[32:33]
	v_fmac_f64_e32 v[138:139], v[4:5], v[196:197]
	v_add_f64 v[2:3], v[22:23], v[32:33]
	v_add_f64 v[4:5], v[24:25], v[138:139]
	v_mov_b32_e32 v196, s13
	s_mov_b32 s13, s14
	s_andn2_b64 exec, exec, s[10:11]
	s_cbranch_execnz .LBB61_361
; %bb.362:
	s_or_b64 exec, exec, s[10:11]
.LBB61_363:
	s_or_b64 exec, exec, s[2:3]
	v_and_b32_e32 v6, 7, v6
	v_cmp_ne_u32_e32 vcc, 0, v6
	s_and_saveexec_b64 s[2:3], vcc
	s_cbranch_execz .LBB61_367
; %bb.364:
	v_lshlrev_b32_e32 v13, 4, v196
	v_add_u32_e32 v7, 0x3e0, v13
	v_add_u32_e32 v195, 0, v13
	s_mov_b64 s[10:11], 0
.LBB61_365:                             ; =>This Inner Loop Header: Depth=1
	scratch_load_dwordx4 v[196:199], v195, off
	ds_read_b128 v[200:203], v7
	v_add_u32_e32 v6, -1, v6
	v_cmp_eq_u32_e32 vcc, 0, v6
	v_add_u32_e32 v7, 16, v7
	v_add_u32_e32 v195, 16, v195
	s_or_b64 s[10:11], vcc, s[10:11]
	s_waitcnt vmcnt(0) lgkmcnt(0)
	v_mul_f64 v[22:23], v[202:203], v[198:199]
	v_mul_f64 v[24:25], v[200:201], v[198:199]
	v_fma_f64 v[22:23], v[200:201], v[196:197], -v[22:23]
	v_fmac_f64_e32 v[24:25], v[202:203], v[196:197]
	v_add_f64 v[2:3], v[2:3], v[22:23]
	v_add_f64 v[4:5], v[4:5], v[24:25]
	s_andn2_b64 exec, exec, s[10:11]
	s_cbranch_execnz .LBB61_365
; %bb.366:
	s_or_b64 exec, exec, s[10:11]
.LBB61_367:
	s_or_b64 exec, exec, s[2:3]
.LBB61_368:
	s_or_b64 exec, exec, s[8:9]
	v_mov_b32_e32 v6, 0
	ds_read_b128 v[196:199], v6 offset:544
	s_waitcnt lgkmcnt(0)
	v_mul_f64 v[6:7], v[4:5], v[198:199]
	v_mul_f64 v[200:201], v[2:3], v[198:199]
	v_fma_f64 v[198:199], v[2:3], v[196:197], -v[6:7]
	v_fmac_f64_e32 v[200:201], v[4:5], v[196:197]
	scratch_store_dwordx4 off, v[198:201], off offset:544
.LBB61_369:
	s_or_b64 exec, exec, s[4:5]
	scratch_load_dwordx4 v[2:5], v162, off
	v_cmp_lt_u32_e64 s[2:3], 33, v0
	s_waitcnt vmcnt(0)
	ds_write_b128 v9, v[2:5]
	s_waitcnt lgkmcnt(0)
	; wave barrier
	s_waitcnt lgkmcnt(0)
	s_and_saveexec_b64 s[4:5], s[2:3]
	s_cbranch_execz .LBB61_383
; %bb.370:
	ds_read_b128 v[2:5], v9
	s_andn2_b64 vcc, exec, s[6:7]
	s_cbranch_vccnz .LBB61_372
; %bb.371:
	scratch_load_dwordx4 v[196:199], v8, off
	s_waitcnt vmcnt(0) lgkmcnt(0)
	v_mul_f64 v[22:23], v[2:3], v[198:199]
	v_mul_f64 v[6:7], v[4:5], v[198:199]
	v_fmac_f64_e32 v[22:23], v[4:5], v[196:197]
	v_fma_f64 v[2:3], v[2:3], v[196:197], -v[6:7]
	v_mov_b64_e32 v[4:5], v[22:23]
.LBB61_372:
	s_and_saveexec_b64 s[8:9], s[0:1]
	s_cbranch_execz .LBB61_382
; %bb.373:
	v_subrev_u32_e32 v7, 35, v0
	v_subrev_u32_e32 v6, 34, v0
	v_cmp_lt_u32_e32 vcc, 6, v7
	v_mov_b32_e32 v196, 34
	s_and_saveexec_b64 s[0:1], vcc
	s_cbranch_execz .LBB61_377
; %bb.374:
	v_and_b32_e32 v7, -8, v6
	s_mov_b32 s12, 0
	s_mov_b64 s[10:11], 0
	v_mov_b32_e32 v195, 0
	s_mov_b32 s13, 0
.LBB61_375:                             ; =>This Inner Loop Header: Depth=1
	v_readfirstlane_b32 s14, v195
	s_add_i32 s14, s14, s12
	s_add_i32 s15, s14, 0x220
	v_mov_b32_e32 v13, s12
	ds_read_b128 v[196:199], v13 offset:1536
	ds_read_b128 v[200:203], v13 offset:1552
	;; [unrolled: 1-line block ×4, first 2 shown]
	scratch_load_dwordx4 v[212:215], off, s15
	s_add_i32 s15, s14, 0x230
	s_addk_i32 s12, 0x80
	s_waitcnt vmcnt(0) lgkmcnt(3)
	v_mul_f64 v[22:23], v[198:199], v[214:215]
	v_mul_f64 v[24:25], v[196:197], v[214:215]
	v_fma_f64 v[22:23], v[196:197], v[212:213], -v[22:23]
	v_fmac_f64_e32 v[24:25], v[198:199], v[212:213]
	v_add_f64 v[22:23], v[2:3], v[22:23]
	v_add_f64 v[24:25], v[4:5], v[24:25]
	scratch_load_dwordx4 v[2:5], off, s15
	s_add_i32 s15, s14, 0x240
	s_waitcnt vmcnt(0) lgkmcnt(2)
	v_mul_f64 v[32:33], v[202:203], v[4:5]
	v_mul_f64 v[4:5], v[200:201], v[4:5]
	v_fmac_f64_e32 v[4:5], v[202:203], v[2:3]
	v_fma_f64 v[32:33], v[200:201], v[2:3], -v[32:33]
	v_add_f64 v[24:25], v[24:25], v[4:5]
	scratch_load_dwordx4 v[2:5], off, s15
	v_add_f64 v[22:23], v[22:23], v[32:33]
	s_add_i32 s15, s14, 0x250
	s_waitcnt vmcnt(0) lgkmcnt(1)
	v_mul_f64 v[32:33], v[206:207], v[4:5]
	v_mul_f64 v[4:5], v[204:205], v[4:5]
	v_fmac_f64_e32 v[4:5], v[206:207], v[2:3]
	v_fma_f64 v[32:33], v[204:205], v[2:3], -v[32:33]
	v_add_f64 v[24:25], v[24:25], v[4:5]
	scratch_load_dwordx4 v[2:5], off, s15
	s_add_i32 s15, s14, 0x260
	scratch_load_dwordx4 v[196:199], off, s15
	v_add_f64 v[22:23], v[22:23], v[32:33]
	s_add_i32 s15, s14, 0x270
	s_waitcnt vmcnt(1) lgkmcnt(0)
	v_mul_f64 v[32:33], v[210:211], v[4:5]
	v_mul_f64 v[4:5], v[208:209], v[4:5]
	v_fmac_f64_e32 v[4:5], v[210:211], v[2:3]
	v_fma_f64 v[32:33], v[208:209], v[2:3], -v[32:33]
	v_add_f64 v[24:25], v[24:25], v[4:5]
	ds_read_b128 v[2:5], v13 offset:1600
	v_add_f64 v[22:23], v[22:23], v[32:33]
	s_waitcnt vmcnt(0) lgkmcnt(0)
	v_mul_f64 v[32:33], v[4:5], v[198:199]
	v_fma_f64 v[32:33], v[2:3], v[196:197], -v[32:33]
	v_mul_f64 v[2:3], v[2:3], v[198:199]
	v_fmac_f64_e32 v[2:3], v[4:5], v[196:197]
	scratch_load_dwordx4 v[196:199], off, s15
	v_add_f64 v[24:25], v[24:25], v[2:3]
	ds_read_b128 v[2:5], v13 offset:1616
	v_add_f64 v[22:23], v[22:23], v[32:33]
	s_add_i32 s15, s14, 0x280
	s_addk_i32 s14, 0x290
	s_waitcnt vmcnt(0) lgkmcnt(0)
	v_mul_f64 v[32:33], v[4:5], v[198:199]
	v_fma_f64 v[32:33], v[2:3], v[196:197], -v[32:33]
	v_mul_f64 v[2:3], v[2:3], v[198:199]
	v_fmac_f64_e32 v[2:3], v[4:5], v[196:197]
	scratch_load_dwordx4 v[196:199], off, s15
	v_add_f64 v[24:25], v[24:25], v[2:3]
	ds_read_b128 v[2:5], v13 offset:1632
	v_add_f64 v[22:23], v[22:23], v[32:33]
	s_waitcnt vmcnt(0) lgkmcnt(0)
	v_mul_f64 v[32:33], v[4:5], v[198:199]
	v_fma_f64 v[32:33], v[2:3], v[196:197], -v[32:33]
	v_mul_f64 v[2:3], v[2:3], v[198:199]
	v_fmac_f64_e32 v[2:3], v[4:5], v[196:197]
	scratch_load_dwordx4 v[196:199], off, s14
	v_add_f64 v[24:25], v[24:25], v[2:3]
	ds_read_b128 v[2:5], v13 offset:1648
	v_add_f64 v[22:23], v[22:23], v[32:33]
	s_add_i32 s14, s13, 8
	v_cmp_eq_u32_e32 vcc, s14, v7
	s_add_i32 s13, s13, 42
	s_or_b64 s[10:11], vcc, s[10:11]
	s_waitcnt vmcnt(0) lgkmcnt(0)
	v_mul_f64 v[32:33], v[4:5], v[198:199]
	v_mul_f64 v[138:139], v[2:3], v[198:199]
	v_fma_f64 v[32:33], v[2:3], v[196:197], -v[32:33]
	v_fmac_f64_e32 v[138:139], v[4:5], v[196:197]
	v_add_f64 v[2:3], v[22:23], v[32:33]
	v_add_f64 v[4:5], v[24:25], v[138:139]
	v_mov_b32_e32 v196, s13
	s_mov_b32 s13, s14
	s_andn2_b64 exec, exec, s[10:11]
	s_cbranch_execnz .LBB61_375
; %bb.376:
	s_or_b64 exec, exec, s[10:11]
.LBB61_377:
	s_or_b64 exec, exec, s[0:1]
	v_and_b32_e32 v6, 7, v6
	v_cmp_ne_u32_e32 vcc, 0, v6
	s_and_saveexec_b64 s[0:1], vcc
	s_cbranch_execz .LBB61_381
; %bb.378:
	v_lshlrev_b32_e32 v13, 4, v196
	v_add_u32_e32 v7, 0x3e0, v13
	v_add_u32_e32 v195, 0, v13
	s_mov_b64 s[10:11], 0
.LBB61_379:                             ; =>This Inner Loop Header: Depth=1
	scratch_load_dwordx4 v[196:199], v195, off
	ds_read_b128 v[200:203], v7
	v_add_u32_e32 v6, -1, v6
	v_cmp_eq_u32_e32 vcc, 0, v6
	v_add_u32_e32 v7, 16, v7
	v_add_u32_e32 v195, 16, v195
	s_or_b64 s[10:11], vcc, s[10:11]
	s_waitcnt vmcnt(0) lgkmcnt(0)
	v_mul_f64 v[22:23], v[202:203], v[198:199]
	v_mul_f64 v[24:25], v[200:201], v[198:199]
	v_fma_f64 v[22:23], v[200:201], v[196:197], -v[22:23]
	v_fmac_f64_e32 v[24:25], v[202:203], v[196:197]
	v_add_f64 v[2:3], v[2:3], v[22:23]
	v_add_f64 v[4:5], v[4:5], v[24:25]
	s_andn2_b64 exec, exec, s[10:11]
	s_cbranch_execnz .LBB61_379
; %bb.380:
	s_or_b64 exec, exec, s[10:11]
.LBB61_381:
	s_or_b64 exec, exec, s[0:1]
.LBB61_382:
	s_or_b64 exec, exec, s[8:9]
	v_mov_b32_e32 v6, 0
	ds_read_b128 v[196:199], v6 offset:528
	s_waitcnt lgkmcnt(0)
	v_mul_f64 v[6:7], v[4:5], v[198:199]
	v_mul_f64 v[200:201], v[2:3], v[198:199]
	v_fma_f64 v[198:199], v[2:3], v[196:197], -v[6:7]
	v_fmac_f64_e32 v[200:201], v[4:5], v[196:197]
	scratch_store_dwordx4 off, v[198:201], off offset:528
.LBB61_383:
	s_or_b64 exec, exec, s[4:5]
	scratch_load_dwordx4 v[2:5], v163, off
	v_cmp_lt_u32_e64 s[0:1], 32, v0
	s_waitcnt vmcnt(0)
	ds_write_b128 v9, v[2:5]
	s_waitcnt lgkmcnt(0)
	; wave barrier
	s_waitcnt lgkmcnt(0)
	s_and_saveexec_b64 s[4:5], s[0:1]
	s_cbranch_execz .LBB61_397
; %bb.384:
	ds_read_b128 v[2:5], v9
	s_andn2_b64 vcc, exec, s[6:7]
	s_cbranch_vccnz .LBB61_386
; %bb.385:
	scratch_load_dwordx4 v[196:199], v8, off
	s_waitcnt vmcnt(0) lgkmcnt(0)
	v_mul_f64 v[22:23], v[2:3], v[198:199]
	v_mul_f64 v[6:7], v[4:5], v[198:199]
	v_fmac_f64_e32 v[22:23], v[4:5], v[196:197]
	v_fma_f64 v[2:3], v[2:3], v[196:197], -v[6:7]
	v_mov_b64_e32 v[4:5], v[22:23]
.LBB61_386:
	s_and_saveexec_b64 s[8:9], s[2:3]
	s_cbranch_execz .LBB61_396
; %bb.387:
	v_subrev_u32_e32 v7, 34, v0
	v_subrev_u32_e32 v6, 33, v0
	v_cmp_lt_u32_e32 vcc, 6, v7
	v_mov_b32_e32 v196, 33
	s_and_saveexec_b64 s[2:3], vcc
	s_cbranch_execz .LBB61_391
; %bb.388:
	v_and_b32_e32 v7, -8, v6
	s_mov_b32 s12, 0
	s_mov_b64 s[10:11], 0
	v_mov_b32_e32 v195, 0
	s_mov_b32 s13, 0
.LBB61_389:                             ; =>This Inner Loop Header: Depth=1
	v_readfirstlane_b32 s14, v195
	s_add_i32 s14, s14, s12
	s_add_i32 s15, s14, 0x210
	v_mov_b32_e32 v13, s12
	ds_read_b128 v[196:199], v13 offset:1520
	ds_read_b128 v[200:203], v13 offset:1536
	;; [unrolled: 1-line block ×4, first 2 shown]
	scratch_load_dwordx4 v[212:215], off, s15
	s_add_i32 s15, s14, 0x220
	s_addk_i32 s12, 0x80
	s_waitcnt vmcnt(0) lgkmcnt(3)
	v_mul_f64 v[22:23], v[198:199], v[214:215]
	v_mul_f64 v[24:25], v[196:197], v[214:215]
	v_fma_f64 v[22:23], v[196:197], v[212:213], -v[22:23]
	v_fmac_f64_e32 v[24:25], v[198:199], v[212:213]
	v_add_f64 v[22:23], v[2:3], v[22:23]
	v_add_f64 v[24:25], v[4:5], v[24:25]
	scratch_load_dwordx4 v[2:5], off, s15
	s_add_i32 s15, s14, 0x230
	s_waitcnt vmcnt(0) lgkmcnt(2)
	v_mul_f64 v[32:33], v[202:203], v[4:5]
	v_mul_f64 v[4:5], v[200:201], v[4:5]
	v_fmac_f64_e32 v[4:5], v[202:203], v[2:3]
	v_fma_f64 v[32:33], v[200:201], v[2:3], -v[32:33]
	v_add_f64 v[24:25], v[24:25], v[4:5]
	scratch_load_dwordx4 v[2:5], off, s15
	v_add_f64 v[22:23], v[22:23], v[32:33]
	s_add_i32 s15, s14, 0x240
	s_waitcnt vmcnt(0) lgkmcnt(1)
	v_mul_f64 v[32:33], v[206:207], v[4:5]
	v_mul_f64 v[4:5], v[204:205], v[4:5]
	v_fmac_f64_e32 v[4:5], v[206:207], v[2:3]
	v_fma_f64 v[32:33], v[204:205], v[2:3], -v[32:33]
	v_add_f64 v[24:25], v[24:25], v[4:5]
	scratch_load_dwordx4 v[2:5], off, s15
	s_add_i32 s15, s14, 0x250
	scratch_load_dwordx4 v[196:199], off, s15
	v_add_f64 v[22:23], v[22:23], v[32:33]
	s_add_i32 s15, s14, 0x260
	s_waitcnt vmcnt(1) lgkmcnt(0)
	v_mul_f64 v[32:33], v[210:211], v[4:5]
	v_mul_f64 v[4:5], v[208:209], v[4:5]
	v_fmac_f64_e32 v[4:5], v[210:211], v[2:3]
	v_fma_f64 v[32:33], v[208:209], v[2:3], -v[32:33]
	v_add_f64 v[24:25], v[24:25], v[4:5]
	ds_read_b128 v[2:5], v13 offset:1584
	v_add_f64 v[22:23], v[22:23], v[32:33]
	s_waitcnt vmcnt(0) lgkmcnt(0)
	v_mul_f64 v[32:33], v[4:5], v[198:199]
	v_fma_f64 v[32:33], v[2:3], v[196:197], -v[32:33]
	v_mul_f64 v[2:3], v[2:3], v[198:199]
	v_fmac_f64_e32 v[2:3], v[4:5], v[196:197]
	scratch_load_dwordx4 v[196:199], off, s15
	v_add_f64 v[24:25], v[24:25], v[2:3]
	ds_read_b128 v[2:5], v13 offset:1600
	v_add_f64 v[22:23], v[22:23], v[32:33]
	s_add_i32 s15, s14, 0x270
	s_addk_i32 s14, 0x280
	s_waitcnt vmcnt(0) lgkmcnt(0)
	v_mul_f64 v[32:33], v[4:5], v[198:199]
	v_fma_f64 v[32:33], v[2:3], v[196:197], -v[32:33]
	v_mul_f64 v[2:3], v[2:3], v[198:199]
	v_fmac_f64_e32 v[2:3], v[4:5], v[196:197]
	scratch_load_dwordx4 v[196:199], off, s15
	v_add_f64 v[24:25], v[24:25], v[2:3]
	ds_read_b128 v[2:5], v13 offset:1616
	v_add_f64 v[22:23], v[22:23], v[32:33]
	s_waitcnt vmcnt(0) lgkmcnt(0)
	v_mul_f64 v[32:33], v[4:5], v[198:199]
	v_fma_f64 v[32:33], v[2:3], v[196:197], -v[32:33]
	v_mul_f64 v[2:3], v[2:3], v[198:199]
	v_fmac_f64_e32 v[2:3], v[4:5], v[196:197]
	scratch_load_dwordx4 v[196:199], off, s14
	v_add_f64 v[24:25], v[24:25], v[2:3]
	ds_read_b128 v[2:5], v13 offset:1632
	v_add_f64 v[22:23], v[22:23], v[32:33]
	s_add_i32 s14, s13, 8
	v_cmp_eq_u32_e32 vcc, s14, v7
	s_add_i32 s13, s13, 41
	s_or_b64 s[10:11], vcc, s[10:11]
	s_waitcnt vmcnt(0) lgkmcnt(0)
	v_mul_f64 v[32:33], v[4:5], v[198:199]
	v_mul_f64 v[138:139], v[2:3], v[198:199]
	v_fma_f64 v[32:33], v[2:3], v[196:197], -v[32:33]
	v_fmac_f64_e32 v[138:139], v[4:5], v[196:197]
	v_add_f64 v[2:3], v[22:23], v[32:33]
	v_add_f64 v[4:5], v[24:25], v[138:139]
	v_mov_b32_e32 v196, s13
	s_mov_b32 s13, s14
	s_andn2_b64 exec, exec, s[10:11]
	s_cbranch_execnz .LBB61_389
; %bb.390:
	s_or_b64 exec, exec, s[10:11]
.LBB61_391:
	s_or_b64 exec, exec, s[2:3]
	v_and_b32_e32 v6, 7, v6
	v_cmp_ne_u32_e32 vcc, 0, v6
	s_and_saveexec_b64 s[2:3], vcc
	s_cbranch_execz .LBB61_395
; %bb.392:
	v_lshlrev_b32_e32 v13, 4, v196
	v_add_u32_e32 v7, 0x3e0, v13
	v_add_u32_e32 v195, 0, v13
	s_mov_b64 s[10:11], 0
.LBB61_393:                             ; =>This Inner Loop Header: Depth=1
	scratch_load_dwordx4 v[196:199], v195, off
	ds_read_b128 v[200:203], v7
	v_add_u32_e32 v6, -1, v6
	v_cmp_eq_u32_e32 vcc, 0, v6
	v_add_u32_e32 v7, 16, v7
	v_add_u32_e32 v195, 16, v195
	s_or_b64 s[10:11], vcc, s[10:11]
	s_waitcnt vmcnt(0) lgkmcnt(0)
	v_mul_f64 v[22:23], v[202:203], v[198:199]
	v_mul_f64 v[24:25], v[200:201], v[198:199]
	v_fma_f64 v[22:23], v[200:201], v[196:197], -v[22:23]
	v_fmac_f64_e32 v[24:25], v[202:203], v[196:197]
	v_add_f64 v[2:3], v[2:3], v[22:23]
	v_add_f64 v[4:5], v[4:5], v[24:25]
	s_andn2_b64 exec, exec, s[10:11]
	s_cbranch_execnz .LBB61_393
; %bb.394:
	s_or_b64 exec, exec, s[10:11]
.LBB61_395:
	s_or_b64 exec, exec, s[2:3]
.LBB61_396:
	s_or_b64 exec, exec, s[8:9]
	v_mov_b32_e32 v6, 0
	ds_read_b128 v[196:199], v6 offset:512
	s_waitcnt lgkmcnt(0)
	v_mul_f64 v[6:7], v[4:5], v[198:199]
	v_mul_f64 v[200:201], v[2:3], v[198:199]
	v_fma_f64 v[198:199], v[2:3], v[196:197], -v[6:7]
	v_fmac_f64_e32 v[200:201], v[4:5], v[196:197]
	scratch_store_dwordx4 off, v[198:201], off offset:512
.LBB61_397:
	s_or_b64 exec, exec, s[4:5]
	scratch_load_dwordx4 v[2:5], v164, off
	v_cmp_lt_u32_e64 s[2:3], 31, v0
	s_waitcnt vmcnt(0)
	ds_write_b128 v9, v[2:5]
	s_waitcnt lgkmcnt(0)
	; wave barrier
	s_waitcnt lgkmcnt(0)
	s_and_saveexec_b64 s[4:5], s[2:3]
	s_cbranch_execz .LBB61_411
; %bb.398:
	ds_read_b128 v[2:5], v9
	s_andn2_b64 vcc, exec, s[6:7]
	s_cbranch_vccnz .LBB61_400
; %bb.399:
	scratch_load_dwordx4 v[196:199], v8, off
	s_waitcnt vmcnt(0) lgkmcnt(0)
	v_mul_f64 v[22:23], v[2:3], v[198:199]
	v_mul_f64 v[6:7], v[4:5], v[198:199]
	v_fmac_f64_e32 v[22:23], v[4:5], v[196:197]
	v_fma_f64 v[2:3], v[2:3], v[196:197], -v[6:7]
	v_mov_b64_e32 v[4:5], v[22:23]
.LBB61_400:
	s_and_saveexec_b64 s[8:9], s[0:1]
	s_cbranch_execz .LBB61_410
; %bb.401:
	v_subrev_u32_e32 v6, 33, v0
	v_cmp_lt_u32_e32 vcc, 6, v6
	v_mov_b32_e32 v6, 32
	s_and_saveexec_b64 s[0:1], vcc
	s_cbranch_execz .LBB61_405
; %bb.402:
	v_and_b32_e32 v6, 56, v0
	s_mov_b32 s12, 32
	s_mov_b32 s13, 0
	s_mov_b64 s[10:11], 0
	v_mov_b32_e32 v7, 0
.LBB61_403:                             ; =>This Inner Loop Header: Depth=1
	s_nop 0
	v_readfirstlane_b32 s14, v7
	s_add_i32 s14, s14, s13
	s_add_i32 s15, s14, 0x200
	v_mov_b32_e32 v13, s13
	ds_read_b128 v[196:199], v13 offset:1504
	ds_read_b128 v[200:203], v13 offset:1520
	;; [unrolled: 1-line block ×4, first 2 shown]
	scratch_load_dwordx4 v[212:215], off, s15
	s_add_i32 s15, s14, 0x210
	s_add_i32 s12, s12, 8
	s_addk_i32 s13, 0x80
	v_cmp_eq_u32_e32 vcc, s12, v6
	s_waitcnt vmcnt(0) lgkmcnt(3)
	v_mul_f64 v[22:23], v[198:199], v[214:215]
	v_mul_f64 v[24:25], v[196:197], v[214:215]
	v_fma_f64 v[22:23], v[196:197], v[212:213], -v[22:23]
	v_fmac_f64_e32 v[24:25], v[198:199], v[212:213]
	v_add_f64 v[22:23], v[2:3], v[22:23]
	v_add_f64 v[24:25], v[4:5], v[24:25]
	scratch_load_dwordx4 v[2:5], off, s15
	s_add_i32 s15, s14, 0x220
	s_waitcnt vmcnt(0) lgkmcnt(2)
	v_mul_f64 v[32:33], v[202:203], v[4:5]
	v_mul_f64 v[4:5], v[200:201], v[4:5]
	v_fmac_f64_e32 v[4:5], v[202:203], v[2:3]
	v_fma_f64 v[32:33], v[200:201], v[2:3], -v[32:33]
	v_add_f64 v[24:25], v[24:25], v[4:5]
	scratch_load_dwordx4 v[2:5], off, s15
	v_add_f64 v[22:23], v[22:23], v[32:33]
	s_add_i32 s15, s14, 0x230
	s_waitcnt vmcnt(0) lgkmcnt(1)
	v_mul_f64 v[32:33], v[206:207], v[4:5]
	v_mul_f64 v[4:5], v[204:205], v[4:5]
	v_fmac_f64_e32 v[4:5], v[206:207], v[2:3]
	v_fma_f64 v[32:33], v[204:205], v[2:3], -v[32:33]
	v_add_f64 v[24:25], v[24:25], v[4:5]
	scratch_load_dwordx4 v[2:5], off, s15
	s_add_i32 s15, s14, 0x240
	scratch_load_dwordx4 v[196:199], off, s15
	v_add_f64 v[22:23], v[22:23], v[32:33]
	s_add_i32 s15, s14, 0x250
	s_waitcnt vmcnt(1) lgkmcnt(0)
	v_mul_f64 v[32:33], v[210:211], v[4:5]
	v_mul_f64 v[4:5], v[208:209], v[4:5]
	v_fmac_f64_e32 v[4:5], v[210:211], v[2:3]
	v_fma_f64 v[32:33], v[208:209], v[2:3], -v[32:33]
	v_add_f64 v[24:25], v[24:25], v[4:5]
	ds_read_b128 v[2:5], v13 offset:1568
	v_add_f64 v[22:23], v[22:23], v[32:33]
	s_waitcnt vmcnt(0) lgkmcnt(0)
	v_mul_f64 v[32:33], v[4:5], v[198:199]
	v_fma_f64 v[32:33], v[2:3], v[196:197], -v[32:33]
	v_mul_f64 v[2:3], v[2:3], v[198:199]
	v_fmac_f64_e32 v[2:3], v[4:5], v[196:197]
	scratch_load_dwordx4 v[196:199], off, s15
	v_add_f64 v[24:25], v[24:25], v[2:3]
	ds_read_b128 v[2:5], v13 offset:1584
	v_add_f64 v[22:23], v[22:23], v[32:33]
	s_add_i32 s15, s14, 0x260
	s_addk_i32 s14, 0x270
	s_or_b64 s[10:11], vcc, s[10:11]
	s_waitcnt vmcnt(0) lgkmcnt(0)
	v_mul_f64 v[32:33], v[4:5], v[198:199]
	v_fma_f64 v[32:33], v[2:3], v[196:197], -v[32:33]
	v_mul_f64 v[2:3], v[2:3], v[198:199]
	v_fmac_f64_e32 v[2:3], v[4:5], v[196:197]
	scratch_load_dwordx4 v[196:199], off, s15
	v_add_f64 v[24:25], v[24:25], v[2:3]
	ds_read_b128 v[2:5], v13 offset:1600
	v_add_f64 v[22:23], v[22:23], v[32:33]
	s_waitcnt vmcnt(0) lgkmcnt(0)
	v_mul_f64 v[32:33], v[4:5], v[198:199]
	v_fma_f64 v[32:33], v[2:3], v[196:197], -v[32:33]
	v_mul_f64 v[2:3], v[2:3], v[198:199]
	v_fmac_f64_e32 v[2:3], v[4:5], v[196:197]
	scratch_load_dwordx4 v[196:199], off, s14
	v_add_f64 v[24:25], v[24:25], v[2:3]
	ds_read_b128 v[2:5], v13 offset:1616
	v_add_f64 v[22:23], v[22:23], v[32:33]
	s_waitcnt vmcnt(0) lgkmcnt(0)
	v_mul_f64 v[32:33], v[4:5], v[198:199]
	v_mul_f64 v[138:139], v[2:3], v[198:199]
	v_fma_f64 v[32:33], v[2:3], v[196:197], -v[32:33]
	v_fmac_f64_e32 v[138:139], v[4:5], v[196:197]
	v_add_f64 v[2:3], v[22:23], v[32:33]
	v_add_f64 v[4:5], v[24:25], v[138:139]
	s_andn2_b64 exec, exec, s[10:11]
	s_cbranch_execnz .LBB61_403
; %bb.404:
	s_or_b64 exec, exec, s[10:11]
.LBB61_405:
	s_or_b64 exec, exec, s[0:1]
	v_and_b32_e32 v7, 7, v0
	v_cmp_ne_u32_e32 vcc, 0, v7
	s_and_saveexec_b64 s[0:1], vcc
	s_cbranch_execz .LBB61_409
; %bb.406:
	v_lshlrev_b32_e32 v13, 4, v6
	v_add_u32_e32 v6, 0x3e0, v13
	v_add_u32_e32 v195, 0, v13
	s_mov_b64 s[10:11], 0
.LBB61_407:                             ; =>This Inner Loop Header: Depth=1
	scratch_load_dwordx4 v[196:199], v195, off
	ds_read_b128 v[200:203], v6
	v_add_u32_e32 v7, -1, v7
	v_cmp_eq_u32_e32 vcc, 0, v7
	v_add_u32_e32 v6, 16, v6
	v_add_u32_e32 v195, 16, v195
	s_or_b64 s[10:11], vcc, s[10:11]
	s_waitcnt vmcnt(0) lgkmcnt(0)
	v_mul_f64 v[22:23], v[202:203], v[198:199]
	v_mul_f64 v[24:25], v[200:201], v[198:199]
	v_fma_f64 v[22:23], v[200:201], v[196:197], -v[22:23]
	v_fmac_f64_e32 v[24:25], v[202:203], v[196:197]
	v_add_f64 v[2:3], v[2:3], v[22:23]
	v_add_f64 v[4:5], v[4:5], v[24:25]
	s_andn2_b64 exec, exec, s[10:11]
	s_cbranch_execnz .LBB61_407
; %bb.408:
	s_or_b64 exec, exec, s[10:11]
.LBB61_409:
	s_or_b64 exec, exec, s[0:1]
.LBB61_410:
	s_or_b64 exec, exec, s[8:9]
	v_mov_b32_e32 v6, 0
	ds_read_b128 v[196:199], v6 offset:496
	s_waitcnt lgkmcnt(0)
	v_mul_f64 v[6:7], v[4:5], v[198:199]
	v_mul_f64 v[200:201], v[2:3], v[198:199]
	v_fma_f64 v[198:199], v[2:3], v[196:197], -v[6:7]
	v_fmac_f64_e32 v[200:201], v[4:5], v[196:197]
	scratch_store_dwordx4 off, v[198:201], off offset:496
.LBB61_411:
	s_or_b64 exec, exec, s[4:5]
	scratch_load_dwordx4 v[2:5], v165, off
	v_cmp_lt_u32_e64 s[0:1], 30, v0
	s_waitcnt vmcnt(0)
	ds_write_b128 v9, v[2:5]
	s_waitcnt lgkmcnt(0)
	; wave barrier
	s_waitcnt lgkmcnt(0)
	s_and_saveexec_b64 s[4:5], s[0:1]
	s_cbranch_execz .LBB61_425
; %bb.412:
	ds_read_b128 v[2:5], v9
	s_andn2_b64 vcc, exec, s[6:7]
	s_cbranch_vccnz .LBB61_414
; %bb.413:
	scratch_load_dwordx4 v[196:199], v8, off
	s_waitcnt vmcnt(0) lgkmcnt(0)
	v_mul_f64 v[22:23], v[2:3], v[198:199]
	v_mul_f64 v[6:7], v[4:5], v[198:199]
	v_fmac_f64_e32 v[22:23], v[4:5], v[196:197]
	v_fma_f64 v[2:3], v[2:3], v[196:197], -v[6:7]
	v_mov_b64_e32 v[4:5], v[22:23]
.LBB61_414:
	s_and_saveexec_b64 s[8:9], s[2:3]
	s_cbranch_execz .LBB61_424
; %bb.415:
	v_subrev_u32_e32 v7, 32, v0
	v_subrev_u32_e32 v6, 31, v0
	v_cmp_lt_u32_e32 vcc, 6, v7
	v_mov_b32_e32 v196, 31
	s_and_saveexec_b64 s[2:3], vcc
	s_cbranch_execz .LBB61_419
; %bb.416:
	v_and_b32_e32 v7, -8, v6
	s_mov_b32 s12, 0
	s_mov_b64 s[10:11], 0
	v_mov_b32_e32 v195, 0
	s_mov_b32 s13, 0
.LBB61_417:                             ; =>This Inner Loop Header: Depth=1
	v_readfirstlane_b32 s14, v195
	s_add_i32 s14, s14, s12
	s_add_i32 s15, s14, 0x1f0
	v_mov_b32_e32 v13, s12
	ds_read_b128 v[196:199], v13 offset:1488
	ds_read_b128 v[200:203], v13 offset:1504
	;; [unrolled: 1-line block ×4, first 2 shown]
	scratch_load_dwordx4 v[212:215], off, s15
	s_add_i32 s15, s14, 0x200
	s_addk_i32 s12, 0x80
	s_waitcnt vmcnt(0) lgkmcnt(3)
	v_mul_f64 v[22:23], v[198:199], v[214:215]
	v_mul_f64 v[24:25], v[196:197], v[214:215]
	v_fma_f64 v[22:23], v[196:197], v[212:213], -v[22:23]
	v_fmac_f64_e32 v[24:25], v[198:199], v[212:213]
	v_add_f64 v[22:23], v[2:3], v[22:23]
	v_add_f64 v[24:25], v[4:5], v[24:25]
	scratch_load_dwordx4 v[2:5], off, s15
	s_add_i32 s15, s14, 0x210
	s_waitcnt vmcnt(0) lgkmcnt(2)
	v_mul_f64 v[32:33], v[202:203], v[4:5]
	v_mul_f64 v[4:5], v[200:201], v[4:5]
	v_fmac_f64_e32 v[4:5], v[202:203], v[2:3]
	v_fma_f64 v[32:33], v[200:201], v[2:3], -v[32:33]
	v_add_f64 v[24:25], v[24:25], v[4:5]
	scratch_load_dwordx4 v[2:5], off, s15
	v_add_f64 v[22:23], v[22:23], v[32:33]
	s_add_i32 s15, s14, 0x220
	s_waitcnt vmcnt(0) lgkmcnt(1)
	v_mul_f64 v[32:33], v[206:207], v[4:5]
	v_mul_f64 v[4:5], v[204:205], v[4:5]
	v_fmac_f64_e32 v[4:5], v[206:207], v[2:3]
	v_fma_f64 v[32:33], v[204:205], v[2:3], -v[32:33]
	v_add_f64 v[24:25], v[24:25], v[4:5]
	scratch_load_dwordx4 v[2:5], off, s15
	s_add_i32 s15, s14, 0x230
	scratch_load_dwordx4 v[196:199], off, s15
	v_add_f64 v[22:23], v[22:23], v[32:33]
	s_add_i32 s15, s14, 0x240
	s_waitcnt vmcnt(1) lgkmcnt(0)
	v_mul_f64 v[32:33], v[210:211], v[4:5]
	v_mul_f64 v[4:5], v[208:209], v[4:5]
	v_fmac_f64_e32 v[4:5], v[210:211], v[2:3]
	v_fma_f64 v[32:33], v[208:209], v[2:3], -v[32:33]
	v_add_f64 v[24:25], v[24:25], v[4:5]
	ds_read_b128 v[2:5], v13 offset:1552
	v_add_f64 v[22:23], v[22:23], v[32:33]
	s_waitcnt vmcnt(0) lgkmcnt(0)
	v_mul_f64 v[32:33], v[4:5], v[198:199]
	v_fma_f64 v[32:33], v[2:3], v[196:197], -v[32:33]
	v_mul_f64 v[2:3], v[2:3], v[198:199]
	v_fmac_f64_e32 v[2:3], v[4:5], v[196:197]
	scratch_load_dwordx4 v[196:199], off, s15
	v_add_f64 v[24:25], v[24:25], v[2:3]
	ds_read_b128 v[2:5], v13 offset:1568
	v_add_f64 v[22:23], v[22:23], v[32:33]
	s_add_i32 s15, s14, 0x250
	s_addk_i32 s14, 0x260
	s_waitcnt vmcnt(0) lgkmcnt(0)
	v_mul_f64 v[32:33], v[4:5], v[198:199]
	v_fma_f64 v[32:33], v[2:3], v[196:197], -v[32:33]
	v_mul_f64 v[2:3], v[2:3], v[198:199]
	v_fmac_f64_e32 v[2:3], v[4:5], v[196:197]
	scratch_load_dwordx4 v[196:199], off, s15
	v_add_f64 v[24:25], v[24:25], v[2:3]
	ds_read_b128 v[2:5], v13 offset:1584
	v_add_f64 v[22:23], v[22:23], v[32:33]
	s_waitcnt vmcnt(0) lgkmcnt(0)
	v_mul_f64 v[32:33], v[4:5], v[198:199]
	v_fma_f64 v[32:33], v[2:3], v[196:197], -v[32:33]
	v_mul_f64 v[2:3], v[2:3], v[198:199]
	v_fmac_f64_e32 v[2:3], v[4:5], v[196:197]
	scratch_load_dwordx4 v[196:199], off, s14
	v_add_f64 v[24:25], v[24:25], v[2:3]
	ds_read_b128 v[2:5], v13 offset:1600
	v_add_f64 v[22:23], v[22:23], v[32:33]
	s_add_i32 s14, s13, 8
	v_cmp_eq_u32_e32 vcc, s14, v7
	s_add_i32 s13, s13, 39
	s_or_b64 s[10:11], vcc, s[10:11]
	s_waitcnt vmcnt(0) lgkmcnt(0)
	v_mul_f64 v[32:33], v[4:5], v[198:199]
	v_mul_f64 v[138:139], v[2:3], v[198:199]
	v_fma_f64 v[32:33], v[2:3], v[196:197], -v[32:33]
	v_fmac_f64_e32 v[138:139], v[4:5], v[196:197]
	v_add_f64 v[2:3], v[22:23], v[32:33]
	v_add_f64 v[4:5], v[24:25], v[138:139]
	v_mov_b32_e32 v196, s13
	s_mov_b32 s13, s14
	s_andn2_b64 exec, exec, s[10:11]
	s_cbranch_execnz .LBB61_417
; %bb.418:
	s_or_b64 exec, exec, s[10:11]
.LBB61_419:
	s_or_b64 exec, exec, s[2:3]
	v_and_b32_e32 v6, 7, v6
	v_cmp_ne_u32_e32 vcc, 0, v6
	s_and_saveexec_b64 s[2:3], vcc
	s_cbranch_execz .LBB61_423
; %bb.420:
	v_lshlrev_b32_e32 v13, 4, v196
	v_add_u32_e32 v7, 0x3e0, v13
	v_add_u32_e32 v195, 0, v13
	s_mov_b64 s[10:11], 0
.LBB61_421:                             ; =>This Inner Loop Header: Depth=1
	scratch_load_dwordx4 v[196:199], v195, off
	ds_read_b128 v[200:203], v7
	v_add_u32_e32 v6, -1, v6
	v_cmp_eq_u32_e32 vcc, 0, v6
	v_add_u32_e32 v7, 16, v7
	v_add_u32_e32 v195, 16, v195
	s_or_b64 s[10:11], vcc, s[10:11]
	s_waitcnt vmcnt(0) lgkmcnt(0)
	v_mul_f64 v[22:23], v[202:203], v[198:199]
	v_mul_f64 v[24:25], v[200:201], v[198:199]
	v_fma_f64 v[22:23], v[200:201], v[196:197], -v[22:23]
	v_fmac_f64_e32 v[24:25], v[202:203], v[196:197]
	v_add_f64 v[2:3], v[2:3], v[22:23]
	v_add_f64 v[4:5], v[4:5], v[24:25]
	s_andn2_b64 exec, exec, s[10:11]
	s_cbranch_execnz .LBB61_421
; %bb.422:
	s_or_b64 exec, exec, s[10:11]
.LBB61_423:
	s_or_b64 exec, exec, s[2:3]
.LBB61_424:
	s_or_b64 exec, exec, s[8:9]
	v_mov_b32_e32 v6, 0
	ds_read_b128 v[196:199], v6 offset:480
	s_waitcnt lgkmcnt(0)
	v_mul_f64 v[6:7], v[4:5], v[198:199]
	v_mul_f64 v[200:201], v[2:3], v[198:199]
	v_fma_f64 v[198:199], v[2:3], v[196:197], -v[6:7]
	v_fmac_f64_e32 v[200:201], v[4:5], v[196:197]
	scratch_store_dwordx4 off, v[198:201], off offset:480
.LBB61_425:
	s_or_b64 exec, exec, s[4:5]
	scratch_load_dwordx4 v[2:5], v166, off
	v_cmp_lt_u32_e64 s[2:3], 29, v0
	s_waitcnt vmcnt(0)
	ds_write_b128 v9, v[2:5]
	s_waitcnt lgkmcnt(0)
	; wave barrier
	s_waitcnt lgkmcnt(0)
	s_and_saveexec_b64 s[4:5], s[2:3]
	s_cbranch_execz .LBB61_439
; %bb.426:
	ds_read_b128 v[2:5], v9
	s_andn2_b64 vcc, exec, s[6:7]
	s_cbranch_vccnz .LBB61_428
; %bb.427:
	scratch_load_dwordx4 v[196:199], v8, off
	s_waitcnt vmcnt(0) lgkmcnt(0)
	v_mul_f64 v[22:23], v[2:3], v[198:199]
	v_mul_f64 v[6:7], v[4:5], v[198:199]
	v_fmac_f64_e32 v[22:23], v[4:5], v[196:197]
	v_fma_f64 v[2:3], v[2:3], v[196:197], -v[6:7]
	v_mov_b64_e32 v[4:5], v[22:23]
.LBB61_428:
	s_and_saveexec_b64 s[8:9], s[0:1]
	s_cbranch_execz .LBB61_438
; %bb.429:
	v_subrev_u32_e32 v7, 31, v0
	v_subrev_u32_e32 v6, 30, v0
	v_cmp_lt_u32_e32 vcc, 6, v7
	v_mov_b32_e32 v196, 30
	s_and_saveexec_b64 s[0:1], vcc
	s_cbranch_execz .LBB61_433
; %bb.430:
	v_and_b32_e32 v7, -8, v6
	s_mov_b32 s12, 0
	s_mov_b64 s[10:11], 0
	v_mov_b32_e32 v195, 0
	s_mov_b32 s13, 0
.LBB61_431:                             ; =>This Inner Loop Header: Depth=1
	v_readfirstlane_b32 s14, v195
	s_add_i32 s14, s14, s12
	s_add_i32 s15, s14, 0x1e0
	v_mov_b32_e32 v13, s12
	ds_read_b128 v[196:199], v13 offset:1472
	ds_read_b128 v[200:203], v13 offset:1488
	;; [unrolled: 1-line block ×4, first 2 shown]
	scratch_load_dwordx4 v[212:215], off, s15
	s_add_i32 s15, s14, 0x1f0
	s_addk_i32 s12, 0x80
	s_waitcnt vmcnt(0) lgkmcnt(3)
	v_mul_f64 v[22:23], v[198:199], v[214:215]
	v_mul_f64 v[24:25], v[196:197], v[214:215]
	v_fma_f64 v[22:23], v[196:197], v[212:213], -v[22:23]
	v_fmac_f64_e32 v[24:25], v[198:199], v[212:213]
	v_add_f64 v[22:23], v[2:3], v[22:23]
	v_add_f64 v[24:25], v[4:5], v[24:25]
	scratch_load_dwordx4 v[2:5], off, s15
	s_add_i32 s15, s14, 0x200
	s_waitcnt vmcnt(0) lgkmcnt(2)
	v_mul_f64 v[32:33], v[202:203], v[4:5]
	v_mul_f64 v[4:5], v[200:201], v[4:5]
	v_fmac_f64_e32 v[4:5], v[202:203], v[2:3]
	v_fma_f64 v[32:33], v[200:201], v[2:3], -v[32:33]
	v_add_f64 v[24:25], v[24:25], v[4:5]
	scratch_load_dwordx4 v[2:5], off, s15
	v_add_f64 v[22:23], v[22:23], v[32:33]
	s_add_i32 s15, s14, 0x210
	s_waitcnt vmcnt(0) lgkmcnt(1)
	v_mul_f64 v[32:33], v[206:207], v[4:5]
	v_mul_f64 v[4:5], v[204:205], v[4:5]
	v_fmac_f64_e32 v[4:5], v[206:207], v[2:3]
	v_fma_f64 v[32:33], v[204:205], v[2:3], -v[32:33]
	v_add_f64 v[24:25], v[24:25], v[4:5]
	scratch_load_dwordx4 v[2:5], off, s15
	s_add_i32 s15, s14, 0x220
	scratch_load_dwordx4 v[196:199], off, s15
	v_add_f64 v[22:23], v[22:23], v[32:33]
	s_add_i32 s15, s14, 0x230
	s_waitcnt vmcnt(1) lgkmcnt(0)
	v_mul_f64 v[32:33], v[210:211], v[4:5]
	v_mul_f64 v[4:5], v[208:209], v[4:5]
	v_fmac_f64_e32 v[4:5], v[210:211], v[2:3]
	v_fma_f64 v[32:33], v[208:209], v[2:3], -v[32:33]
	v_add_f64 v[24:25], v[24:25], v[4:5]
	ds_read_b128 v[2:5], v13 offset:1536
	v_add_f64 v[22:23], v[22:23], v[32:33]
	s_waitcnt vmcnt(0) lgkmcnt(0)
	v_mul_f64 v[32:33], v[4:5], v[198:199]
	v_fma_f64 v[32:33], v[2:3], v[196:197], -v[32:33]
	v_mul_f64 v[2:3], v[2:3], v[198:199]
	v_fmac_f64_e32 v[2:3], v[4:5], v[196:197]
	scratch_load_dwordx4 v[196:199], off, s15
	v_add_f64 v[24:25], v[24:25], v[2:3]
	ds_read_b128 v[2:5], v13 offset:1552
	v_add_f64 v[22:23], v[22:23], v[32:33]
	s_add_i32 s15, s14, 0x240
	s_addk_i32 s14, 0x250
	s_waitcnt vmcnt(0) lgkmcnt(0)
	v_mul_f64 v[32:33], v[4:5], v[198:199]
	v_fma_f64 v[32:33], v[2:3], v[196:197], -v[32:33]
	v_mul_f64 v[2:3], v[2:3], v[198:199]
	v_fmac_f64_e32 v[2:3], v[4:5], v[196:197]
	scratch_load_dwordx4 v[196:199], off, s15
	v_add_f64 v[24:25], v[24:25], v[2:3]
	ds_read_b128 v[2:5], v13 offset:1568
	v_add_f64 v[22:23], v[22:23], v[32:33]
	s_waitcnt vmcnt(0) lgkmcnt(0)
	v_mul_f64 v[32:33], v[4:5], v[198:199]
	v_fma_f64 v[32:33], v[2:3], v[196:197], -v[32:33]
	v_mul_f64 v[2:3], v[2:3], v[198:199]
	v_fmac_f64_e32 v[2:3], v[4:5], v[196:197]
	scratch_load_dwordx4 v[196:199], off, s14
	v_add_f64 v[24:25], v[24:25], v[2:3]
	ds_read_b128 v[2:5], v13 offset:1584
	v_add_f64 v[22:23], v[22:23], v[32:33]
	s_add_i32 s14, s13, 8
	v_cmp_eq_u32_e32 vcc, s14, v7
	s_add_i32 s13, s13, 38
	s_or_b64 s[10:11], vcc, s[10:11]
	s_waitcnt vmcnt(0) lgkmcnt(0)
	v_mul_f64 v[32:33], v[4:5], v[198:199]
	v_mul_f64 v[138:139], v[2:3], v[198:199]
	v_fma_f64 v[32:33], v[2:3], v[196:197], -v[32:33]
	v_fmac_f64_e32 v[138:139], v[4:5], v[196:197]
	v_add_f64 v[2:3], v[22:23], v[32:33]
	v_add_f64 v[4:5], v[24:25], v[138:139]
	v_mov_b32_e32 v196, s13
	s_mov_b32 s13, s14
	s_andn2_b64 exec, exec, s[10:11]
	s_cbranch_execnz .LBB61_431
; %bb.432:
	s_or_b64 exec, exec, s[10:11]
.LBB61_433:
	s_or_b64 exec, exec, s[0:1]
	v_and_b32_e32 v6, 7, v6
	v_cmp_ne_u32_e32 vcc, 0, v6
	s_and_saveexec_b64 s[0:1], vcc
	s_cbranch_execz .LBB61_437
; %bb.434:
	v_lshlrev_b32_e32 v13, 4, v196
	v_add_u32_e32 v7, 0x3e0, v13
	v_add_u32_e32 v195, 0, v13
	s_mov_b64 s[10:11], 0
.LBB61_435:                             ; =>This Inner Loop Header: Depth=1
	scratch_load_dwordx4 v[196:199], v195, off
	ds_read_b128 v[200:203], v7
	v_add_u32_e32 v6, -1, v6
	v_cmp_eq_u32_e32 vcc, 0, v6
	v_add_u32_e32 v7, 16, v7
	v_add_u32_e32 v195, 16, v195
	s_or_b64 s[10:11], vcc, s[10:11]
	s_waitcnt vmcnt(0) lgkmcnt(0)
	v_mul_f64 v[22:23], v[202:203], v[198:199]
	v_mul_f64 v[24:25], v[200:201], v[198:199]
	v_fma_f64 v[22:23], v[200:201], v[196:197], -v[22:23]
	v_fmac_f64_e32 v[24:25], v[202:203], v[196:197]
	v_add_f64 v[2:3], v[2:3], v[22:23]
	v_add_f64 v[4:5], v[4:5], v[24:25]
	s_andn2_b64 exec, exec, s[10:11]
	s_cbranch_execnz .LBB61_435
; %bb.436:
	s_or_b64 exec, exec, s[10:11]
.LBB61_437:
	s_or_b64 exec, exec, s[0:1]
.LBB61_438:
	s_or_b64 exec, exec, s[8:9]
	v_mov_b32_e32 v6, 0
	ds_read_b128 v[196:199], v6 offset:464
	s_waitcnt lgkmcnt(0)
	v_mul_f64 v[6:7], v[4:5], v[198:199]
	v_mul_f64 v[200:201], v[2:3], v[198:199]
	v_fma_f64 v[198:199], v[2:3], v[196:197], -v[6:7]
	v_fmac_f64_e32 v[200:201], v[4:5], v[196:197]
	scratch_store_dwordx4 off, v[198:201], off offset:464
.LBB61_439:
	s_or_b64 exec, exec, s[4:5]
	scratch_load_dwordx4 v[2:5], v167, off
	v_cmp_lt_u32_e64 s[0:1], 28, v0
	s_waitcnt vmcnt(0)
	ds_write_b128 v9, v[2:5]
	s_waitcnt lgkmcnt(0)
	; wave barrier
	s_waitcnt lgkmcnt(0)
	s_and_saveexec_b64 s[4:5], s[0:1]
	s_cbranch_execz .LBB61_453
; %bb.440:
	ds_read_b128 v[2:5], v9
	s_andn2_b64 vcc, exec, s[6:7]
	s_cbranch_vccnz .LBB61_442
; %bb.441:
	scratch_load_dwordx4 v[196:199], v8, off
	s_waitcnt vmcnt(0) lgkmcnt(0)
	v_mul_f64 v[22:23], v[2:3], v[198:199]
	v_mul_f64 v[6:7], v[4:5], v[198:199]
	v_fmac_f64_e32 v[22:23], v[4:5], v[196:197]
	v_fma_f64 v[2:3], v[2:3], v[196:197], -v[6:7]
	v_mov_b64_e32 v[4:5], v[22:23]
.LBB61_442:
	s_and_saveexec_b64 s[8:9], s[2:3]
	s_cbranch_execz .LBB61_452
; %bb.443:
	v_subrev_u32_e32 v7, 30, v0
	v_subrev_u32_e32 v6, 29, v0
	v_cmp_lt_u32_e32 vcc, 6, v7
	v_mov_b32_e32 v196, 29
	s_and_saveexec_b64 s[2:3], vcc
	s_cbranch_execz .LBB61_447
; %bb.444:
	v_and_b32_e32 v7, -8, v6
	s_mov_b32 s12, 0
	s_mov_b64 s[10:11], 0
	v_mov_b32_e32 v195, 0
	s_mov_b32 s13, 0
.LBB61_445:                             ; =>This Inner Loop Header: Depth=1
	v_readfirstlane_b32 s14, v195
	s_add_i32 s14, s14, s12
	s_add_i32 s15, s14, 0x1d0
	v_mov_b32_e32 v13, s12
	ds_read_b128 v[196:199], v13 offset:1456
	ds_read_b128 v[200:203], v13 offset:1472
	;; [unrolled: 1-line block ×4, first 2 shown]
	scratch_load_dwordx4 v[212:215], off, s15
	s_add_i32 s15, s14, 0x1e0
	s_addk_i32 s12, 0x80
	s_waitcnt vmcnt(0) lgkmcnt(3)
	v_mul_f64 v[22:23], v[198:199], v[214:215]
	v_mul_f64 v[24:25], v[196:197], v[214:215]
	v_fma_f64 v[22:23], v[196:197], v[212:213], -v[22:23]
	v_fmac_f64_e32 v[24:25], v[198:199], v[212:213]
	v_add_f64 v[22:23], v[2:3], v[22:23]
	v_add_f64 v[24:25], v[4:5], v[24:25]
	scratch_load_dwordx4 v[2:5], off, s15
	s_add_i32 s15, s14, 0x1f0
	s_waitcnt vmcnt(0) lgkmcnt(2)
	v_mul_f64 v[32:33], v[202:203], v[4:5]
	v_mul_f64 v[4:5], v[200:201], v[4:5]
	v_fmac_f64_e32 v[4:5], v[202:203], v[2:3]
	v_fma_f64 v[32:33], v[200:201], v[2:3], -v[32:33]
	v_add_f64 v[24:25], v[24:25], v[4:5]
	scratch_load_dwordx4 v[2:5], off, s15
	v_add_f64 v[22:23], v[22:23], v[32:33]
	s_add_i32 s15, s14, 0x200
	s_waitcnt vmcnt(0) lgkmcnt(1)
	v_mul_f64 v[32:33], v[206:207], v[4:5]
	v_mul_f64 v[4:5], v[204:205], v[4:5]
	v_fmac_f64_e32 v[4:5], v[206:207], v[2:3]
	v_fma_f64 v[32:33], v[204:205], v[2:3], -v[32:33]
	v_add_f64 v[24:25], v[24:25], v[4:5]
	scratch_load_dwordx4 v[2:5], off, s15
	s_add_i32 s15, s14, 0x210
	scratch_load_dwordx4 v[196:199], off, s15
	v_add_f64 v[22:23], v[22:23], v[32:33]
	s_add_i32 s15, s14, 0x220
	s_waitcnt vmcnt(1) lgkmcnt(0)
	v_mul_f64 v[32:33], v[210:211], v[4:5]
	v_mul_f64 v[4:5], v[208:209], v[4:5]
	v_fmac_f64_e32 v[4:5], v[210:211], v[2:3]
	v_fma_f64 v[32:33], v[208:209], v[2:3], -v[32:33]
	v_add_f64 v[24:25], v[24:25], v[4:5]
	ds_read_b128 v[2:5], v13 offset:1520
	v_add_f64 v[22:23], v[22:23], v[32:33]
	s_waitcnt vmcnt(0) lgkmcnt(0)
	v_mul_f64 v[32:33], v[4:5], v[198:199]
	v_fma_f64 v[32:33], v[2:3], v[196:197], -v[32:33]
	v_mul_f64 v[2:3], v[2:3], v[198:199]
	v_fmac_f64_e32 v[2:3], v[4:5], v[196:197]
	scratch_load_dwordx4 v[196:199], off, s15
	v_add_f64 v[24:25], v[24:25], v[2:3]
	ds_read_b128 v[2:5], v13 offset:1536
	v_add_f64 v[22:23], v[22:23], v[32:33]
	s_add_i32 s15, s14, 0x230
	s_addk_i32 s14, 0x240
	s_waitcnt vmcnt(0) lgkmcnt(0)
	v_mul_f64 v[32:33], v[4:5], v[198:199]
	v_fma_f64 v[32:33], v[2:3], v[196:197], -v[32:33]
	v_mul_f64 v[2:3], v[2:3], v[198:199]
	v_fmac_f64_e32 v[2:3], v[4:5], v[196:197]
	scratch_load_dwordx4 v[196:199], off, s15
	v_add_f64 v[24:25], v[24:25], v[2:3]
	ds_read_b128 v[2:5], v13 offset:1552
	v_add_f64 v[22:23], v[22:23], v[32:33]
	s_waitcnt vmcnt(0) lgkmcnt(0)
	v_mul_f64 v[32:33], v[4:5], v[198:199]
	v_fma_f64 v[32:33], v[2:3], v[196:197], -v[32:33]
	v_mul_f64 v[2:3], v[2:3], v[198:199]
	v_fmac_f64_e32 v[2:3], v[4:5], v[196:197]
	scratch_load_dwordx4 v[196:199], off, s14
	v_add_f64 v[24:25], v[24:25], v[2:3]
	ds_read_b128 v[2:5], v13 offset:1568
	v_add_f64 v[22:23], v[22:23], v[32:33]
	s_add_i32 s14, s13, 8
	v_cmp_eq_u32_e32 vcc, s14, v7
	s_add_i32 s13, s13, 37
	s_or_b64 s[10:11], vcc, s[10:11]
	s_waitcnt vmcnt(0) lgkmcnt(0)
	v_mul_f64 v[32:33], v[4:5], v[198:199]
	v_mul_f64 v[138:139], v[2:3], v[198:199]
	v_fma_f64 v[32:33], v[2:3], v[196:197], -v[32:33]
	v_fmac_f64_e32 v[138:139], v[4:5], v[196:197]
	v_add_f64 v[2:3], v[22:23], v[32:33]
	v_add_f64 v[4:5], v[24:25], v[138:139]
	v_mov_b32_e32 v196, s13
	s_mov_b32 s13, s14
	s_andn2_b64 exec, exec, s[10:11]
	s_cbranch_execnz .LBB61_445
; %bb.446:
	s_or_b64 exec, exec, s[10:11]
.LBB61_447:
	s_or_b64 exec, exec, s[2:3]
	v_and_b32_e32 v6, 7, v6
	v_cmp_ne_u32_e32 vcc, 0, v6
	s_and_saveexec_b64 s[2:3], vcc
	s_cbranch_execz .LBB61_451
; %bb.448:
	v_lshlrev_b32_e32 v13, 4, v196
	v_add_u32_e32 v7, 0x3e0, v13
	v_add_u32_e32 v195, 0, v13
	s_mov_b64 s[10:11], 0
.LBB61_449:                             ; =>This Inner Loop Header: Depth=1
	scratch_load_dwordx4 v[196:199], v195, off
	ds_read_b128 v[200:203], v7
	v_add_u32_e32 v6, -1, v6
	v_cmp_eq_u32_e32 vcc, 0, v6
	v_add_u32_e32 v7, 16, v7
	v_add_u32_e32 v195, 16, v195
	s_or_b64 s[10:11], vcc, s[10:11]
	s_waitcnt vmcnt(0) lgkmcnt(0)
	v_mul_f64 v[22:23], v[202:203], v[198:199]
	v_mul_f64 v[24:25], v[200:201], v[198:199]
	v_fma_f64 v[22:23], v[200:201], v[196:197], -v[22:23]
	v_fmac_f64_e32 v[24:25], v[202:203], v[196:197]
	v_add_f64 v[2:3], v[2:3], v[22:23]
	v_add_f64 v[4:5], v[4:5], v[24:25]
	s_andn2_b64 exec, exec, s[10:11]
	s_cbranch_execnz .LBB61_449
; %bb.450:
	s_or_b64 exec, exec, s[10:11]
.LBB61_451:
	s_or_b64 exec, exec, s[2:3]
.LBB61_452:
	s_or_b64 exec, exec, s[8:9]
	v_mov_b32_e32 v6, 0
	ds_read_b128 v[196:199], v6 offset:448
	s_waitcnt lgkmcnt(0)
	v_mul_f64 v[6:7], v[4:5], v[198:199]
	v_mul_f64 v[200:201], v[2:3], v[198:199]
	v_fma_f64 v[198:199], v[2:3], v[196:197], -v[6:7]
	v_fmac_f64_e32 v[200:201], v[4:5], v[196:197]
	scratch_store_dwordx4 off, v[198:201], off offset:448
.LBB61_453:
	s_or_b64 exec, exec, s[4:5]
	scratch_load_dwordx4 v[2:5], v168, off
	v_cmp_lt_u32_e64 s[2:3], 27, v0
	s_waitcnt vmcnt(0)
	ds_write_b128 v9, v[2:5]
	s_waitcnt lgkmcnt(0)
	; wave barrier
	s_waitcnt lgkmcnt(0)
	s_and_saveexec_b64 s[4:5], s[2:3]
	s_cbranch_execz .LBB61_467
; %bb.454:
	ds_read_b128 v[2:5], v9
	s_andn2_b64 vcc, exec, s[6:7]
	s_cbranch_vccnz .LBB61_456
; %bb.455:
	scratch_load_dwordx4 v[196:199], v8, off
	s_waitcnt vmcnt(0) lgkmcnt(0)
	v_mul_f64 v[22:23], v[2:3], v[198:199]
	v_mul_f64 v[6:7], v[4:5], v[198:199]
	v_fmac_f64_e32 v[22:23], v[4:5], v[196:197]
	v_fma_f64 v[2:3], v[2:3], v[196:197], -v[6:7]
	v_mov_b64_e32 v[4:5], v[22:23]
.LBB61_456:
	s_and_saveexec_b64 s[8:9], s[0:1]
	s_cbranch_execz .LBB61_466
; %bb.457:
	v_subrev_u32_e32 v7, 29, v0
	v_subrev_u32_e32 v6, 28, v0
	v_cmp_lt_u32_e32 vcc, 6, v7
	v_mov_b32_e32 v196, 28
	s_and_saveexec_b64 s[0:1], vcc
	s_cbranch_execz .LBB61_461
; %bb.458:
	v_and_b32_e32 v7, -8, v6
	s_mov_b32 s12, 0
	s_mov_b64 s[10:11], 0
	v_mov_b32_e32 v195, 0
	s_mov_b32 s13, 0
.LBB61_459:                             ; =>This Inner Loop Header: Depth=1
	v_readfirstlane_b32 s14, v195
	s_add_i32 s14, s14, s12
	s_add_i32 s15, s14, 0x1c0
	v_mov_b32_e32 v13, s12
	ds_read_b128 v[196:199], v13 offset:1440
	ds_read_b128 v[200:203], v13 offset:1456
	;; [unrolled: 1-line block ×4, first 2 shown]
	scratch_load_dwordx4 v[212:215], off, s15
	s_add_i32 s15, s14, 0x1d0
	s_addk_i32 s12, 0x80
	s_waitcnt vmcnt(0) lgkmcnt(3)
	v_mul_f64 v[22:23], v[198:199], v[214:215]
	v_mul_f64 v[24:25], v[196:197], v[214:215]
	v_fma_f64 v[22:23], v[196:197], v[212:213], -v[22:23]
	v_fmac_f64_e32 v[24:25], v[198:199], v[212:213]
	v_add_f64 v[22:23], v[2:3], v[22:23]
	v_add_f64 v[24:25], v[4:5], v[24:25]
	scratch_load_dwordx4 v[2:5], off, s15
	s_add_i32 s15, s14, 0x1e0
	s_waitcnt vmcnt(0) lgkmcnt(2)
	v_mul_f64 v[32:33], v[202:203], v[4:5]
	v_mul_f64 v[4:5], v[200:201], v[4:5]
	v_fmac_f64_e32 v[4:5], v[202:203], v[2:3]
	v_fma_f64 v[32:33], v[200:201], v[2:3], -v[32:33]
	v_add_f64 v[24:25], v[24:25], v[4:5]
	scratch_load_dwordx4 v[2:5], off, s15
	v_add_f64 v[22:23], v[22:23], v[32:33]
	s_add_i32 s15, s14, 0x1f0
	s_waitcnt vmcnt(0) lgkmcnt(1)
	v_mul_f64 v[32:33], v[206:207], v[4:5]
	v_mul_f64 v[4:5], v[204:205], v[4:5]
	v_fmac_f64_e32 v[4:5], v[206:207], v[2:3]
	v_fma_f64 v[32:33], v[204:205], v[2:3], -v[32:33]
	v_add_f64 v[24:25], v[24:25], v[4:5]
	scratch_load_dwordx4 v[2:5], off, s15
	s_add_i32 s15, s14, 0x200
	scratch_load_dwordx4 v[196:199], off, s15
	v_add_f64 v[22:23], v[22:23], v[32:33]
	s_add_i32 s15, s14, 0x210
	s_waitcnt vmcnt(1) lgkmcnt(0)
	v_mul_f64 v[32:33], v[210:211], v[4:5]
	v_mul_f64 v[4:5], v[208:209], v[4:5]
	v_fmac_f64_e32 v[4:5], v[210:211], v[2:3]
	v_fma_f64 v[32:33], v[208:209], v[2:3], -v[32:33]
	v_add_f64 v[24:25], v[24:25], v[4:5]
	ds_read_b128 v[2:5], v13 offset:1504
	v_add_f64 v[22:23], v[22:23], v[32:33]
	s_waitcnt vmcnt(0) lgkmcnt(0)
	v_mul_f64 v[32:33], v[4:5], v[198:199]
	v_fma_f64 v[32:33], v[2:3], v[196:197], -v[32:33]
	v_mul_f64 v[2:3], v[2:3], v[198:199]
	v_fmac_f64_e32 v[2:3], v[4:5], v[196:197]
	scratch_load_dwordx4 v[196:199], off, s15
	v_add_f64 v[24:25], v[24:25], v[2:3]
	ds_read_b128 v[2:5], v13 offset:1520
	v_add_f64 v[22:23], v[22:23], v[32:33]
	s_add_i32 s15, s14, 0x220
	s_addk_i32 s14, 0x230
	s_waitcnt vmcnt(0) lgkmcnt(0)
	v_mul_f64 v[32:33], v[4:5], v[198:199]
	v_fma_f64 v[32:33], v[2:3], v[196:197], -v[32:33]
	v_mul_f64 v[2:3], v[2:3], v[198:199]
	v_fmac_f64_e32 v[2:3], v[4:5], v[196:197]
	scratch_load_dwordx4 v[196:199], off, s15
	v_add_f64 v[24:25], v[24:25], v[2:3]
	ds_read_b128 v[2:5], v13 offset:1536
	v_add_f64 v[22:23], v[22:23], v[32:33]
	s_waitcnt vmcnt(0) lgkmcnt(0)
	v_mul_f64 v[32:33], v[4:5], v[198:199]
	v_fma_f64 v[32:33], v[2:3], v[196:197], -v[32:33]
	v_mul_f64 v[2:3], v[2:3], v[198:199]
	v_fmac_f64_e32 v[2:3], v[4:5], v[196:197]
	scratch_load_dwordx4 v[196:199], off, s14
	v_add_f64 v[24:25], v[24:25], v[2:3]
	ds_read_b128 v[2:5], v13 offset:1552
	v_add_f64 v[22:23], v[22:23], v[32:33]
	s_add_i32 s14, s13, 8
	v_cmp_eq_u32_e32 vcc, s14, v7
	s_add_i32 s13, s13, 36
	s_or_b64 s[10:11], vcc, s[10:11]
	s_waitcnt vmcnt(0) lgkmcnt(0)
	v_mul_f64 v[32:33], v[4:5], v[198:199]
	v_mul_f64 v[138:139], v[2:3], v[198:199]
	v_fma_f64 v[32:33], v[2:3], v[196:197], -v[32:33]
	v_fmac_f64_e32 v[138:139], v[4:5], v[196:197]
	v_add_f64 v[2:3], v[22:23], v[32:33]
	v_add_f64 v[4:5], v[24:25], v[138:139]
	v_mov_b32_e32 v196, s13
	s_mov_b32 s13, s14
	s_andn2_b64 exec, exec, s[10:11]
	s_cbranch_execnz .LBB61_459
; %bb.460:
	s_or_b64 exec, exec, s[10:11]
.LBB61_461:
	s_or_b64 exec, exec, s[0:1]
	v_and_b32_e32 v6, 7, v6
	v_cmp_ne_u32_e32 vcc, 0, v6
	s_and_saveexec_b64 s[0:1], vcc
	s_cbranch_execz .LBB61_465
; %bb.462:
	v_lshlrev_b32_e32 v13, 4, v196
	v_add_u32_e32 v7, 0x3e0, v13
	v_add_u32_e32 v195, 0, v13
	s_mov_b64 s[10:11], 0
.LBB61_463:                             ; =>This Inner Loop Header: Depth=1
	scratch_load_dwordx4 v[196:199], v195, off
	ds_read_b128 v[200:203], v7
	v_add_u32_e32 v6, -1, v6
	v_cmp_eq_u32_e32 vcc, 0, v6
	v_add_u32_e32 v7, 16, v7
	v_add_u32_e32 v195, 16, v195
	s_or_b64 s[10:11], vcc, s[10:11]
	s_waitcnt vmcnt(0) lgkmcnt(0)
	v_mul_f64 v[22:23], v[202:203], v[198:199]
	v_mul_f64 v[24:25], v[200:201], v[198:199]
	v_fma_f64 v[22:23], v[200:201], v[196:197], -v[22:23]
	v_fmac_f64_e32 v[24:25], v[202:203], v[196:197]
	v_add_f64 v[2:3], v[2:3], v[22:23]
	v_add_f64 v[4:5], v[4:5], v[24:25]
	s_andn2_b64 exec, exec, s[10:11]
	s_cbranch_execnz .LBB61_463
; %bb.464:
	s_or_b64 exec, exec, s[10:11]
.LBB61_465:
	s_or_b64 exec, exec, s[0:1]
.LBB61_466:
	s_or_b64 exec, exec, s[8:9]
	v_mov_b32_e32 v6, 0
	ds_read_b128 v[196:199], v6 offset:432
	s_waitcnt lgkmcnt(0)
	v_mul_f64 v[6:7], v[4:5], v[198:199]
	v_mul_f64 v[200:201], v[2:3], v[198:199]
	v_fma_f64 v[198:199], v[2:3], v[196:197], -v[6:7]
	v_fmac_f64_e32 v[200:201], v[4:5], v[196:197]
	scratch_store_dwordx4 off, v[198:201], off offset:432
.LBB61_467:
	s_or_b64 exec, exec, s[4:5]
	scratch_load_dwordx4 v[2:5], v169, off
	v_cmp_lt_u32_e64 s[0:1], 26, v0
	s_waitcnt vmcnt(0)
	ds_write_b128 v9, v[2:5]
	s_waitcnt lgkmcnt(0)
	; wave barrier
	s_waitcnt lgkmcnt(0)
	s_and_saveexec_b64 s[4:5], s[0:1]
	s_cbranch_execz .LBB61_481
; %bb.468:
	ds_read_b128 v[2:5], v9
	s_andn2_b64 vcc, exec, s[6:7]
	s_cbranch_vccnz .LBB61_470
; %bb.469:
	scratch_load_dwordx4 v[196:199], v8, off
	s_waitcnt vmcnt(0) lgkmcnt(0)
	v_mul_f64 v[22:23], v[2:3], v[198:199]
	v_mul_f64 v[6:7], v[4:5], v[198:199]
	v_fmac_f64_e32 v[22:23], v[4:5], v[196:197]
	v_fma_f64 v[2:3], v[2:3], v[196:197], -v[6:7]
	v_mov_b64_e32 v[4:5], v[22:23]
.LBB61_470:
	s_and_saveexec_b64 s[8:9], s[2:3]
	s_cbranch_execz .LBB61_480
; %bb.471:
	v_subrev_u32_e32 v7, 28, v0
	v_subrev_u32_e32 v6, 27, v0
	v_cmp_lt_u32_e32 vcc, 6, v7
	v_mov_b32_e32 v196, 27
	s_and_saveexec_b64 s[2:3], vcc
	s_cbranch_execz .LBB61_475
; %bb.472:
	v_and_b32_e32 v7, -8, v6
	s_mov_b32 s12, 0
	s_mov_b64 s[10:11], 0
	v_mov_b32_e32 v195, 0
	s_mov_b32 s13, 0
.LBB61_473:                             ; =>This Inner Loop Header: Depth=1
	v_readfirstlane_b32 s14, v195
	s_add_i32 s14, s14, s12
	s_add_i32 s15, s14, 0x1b0
	v_mov_b32_e32 v13, s12
	ds_read_b128 v[196:199], v13 offset:1424
	ds_read_b128 v[200:203], v13 offset:1440
	;; [unrolled: 1-line block ×4, first 2 shown]
	scratch_load_dwordx4 v[212:215], off, s15
	s_add_i32 s15, s14, 0x1c0
	s_addk_i32 s12, 0x80
	s_waitcnt vmcnt(0) lgkmcnt(3)
	v_mul_f64 v[22:23], v[198:199], v[214:215]
	v_mul_f64 v[24:25], v[196:197], v[214:215]
	v_fma_f64 v[22:23], v[196:197], v[212:213], -v[22:23]
	v_fmac_f64_e32 v[24:25], v[198:199], v[212:213]
	v_add_f64 v[22:23], v[2:3], v[22:23]
	v_add_f64 v[24:25], v[4:5], v[24:25]
	scratch_load_dwordx4 v[2:5], off, s15
	s_add_i32 s15, s14, 0x1d0
	s_waitcnt vmcnt(0) lgkmcnt(2)
	v_mul_f64 v[32:33], v[202:203], v[4:5]
	v_mul_f64 v[4:5], v[200:201], v[4:5]
	v_fmac_f64_e32 v[4:5], v[202:203], v[2:3]
	v_fma_f64 v[32:33], v[200:201], v[2:3], -v[32:33]
	v_add_f64 v[24:25], v[24:25], v[4:5]
	scratch_load_dwordx4 v[2:5], off, s15
	v_add_f64 v[22:23], v[22:23], v[32:33]
	s_add_i32 s15, s14, 0x1e0
	s_waitcnt vmcnt(0) lgkmcnt(1)
	v_mul_f64 v[32:33], v[206:207], v[4:5]
	v_mul_f64 v[4:5], v[204:205], v[4:5]
	v_fmac_f64_e32 v[4:5], v[206:207], v[2:3]
	v_fma_f64 v[32:33], v[204:205], v[2:3], -v[32:33]
	v_add_f64 v[24:25], v[24:25], v[4:5]
	scratch_load_dwordx4 v[2:5], off, s15
	s_add_i32 s15, s14, 0x1f0
	scratch_load_dwordx4 v[196:199], off, s15
	v_add_f64 v[22:23], v[22:23], v[32:33]
	s_add_i32 s15, s14, 0x200
	s_waitcnt vmcnt(1) lgkmcnt(0)
	v_mul_f64 v[32:33], v[210:211], v[4:5]
	v_mul_f64 v[4:5], v[208:209], v[4:5]
	v_fmac_f64_e32 v[4:5], v[210:211], v[2:3]
	v_fma_f64 v[32:33], v[208:209], v[2:3], -v[32:33]
	v_add_f64 v[24:25], v[24:25], v[4:5]
	ds_read_b128 v[2:5], v13 offset:1488
	v_add_f64 v[22:23], v[22:23], v[32:33]
	s_waitcnt vmcnt(0) lgkmcnt(0)
	v_mul_f64 v[32:33], v[4:5], v[198:199]
	v_fma_f64 v[32:33], v[2:3], v[196:197], -v[32:33]
	v_mul_f64 v[2:3], v[2:3], v[198:199]
	v_fmac_f64_e32 v[2:3], v[4:5], v[196:197]
	scratch_load_dwordx4 v[196:199], off, s15
	v_add_f64 v[24:25], v[24:25], v[2:3]
	ds_read_b128 v[2:5], v13 offset:1504
	v_add_f64 v[22:23], v[22:23], v[32:33]
	s_add_i32 s15, s14, 0x210
	s_addk_i32 s14, 0x220
	s_waitcnt vmcnt(0) lgkmcnt(0)
	v_mul_f64 v[32:33], v[4:5], v[198:199]
	v_fma_f64 v[32:33], v[2:3], v[196:197], -v[32:33]
	v_mul_f64 v[2:3], v[2:3], v[198:199]
	v_fmac_f64_e32 v[2:3], v[4:5], v[196:197]
	scratch_load_dwordx4 v[196:199], off, s15
	v_add_f64 v[24:25], v[24:25], v[2:3]
	ds_read_b128 v[2:5], v13 offset:1520
	v_add_f64 v[22:23], v[22:23], v[32:33]
	s_waitcnt vmcnt(0) lgkmcnt(0)
	v_mul_f64 v[32:33], v[4:5], v[198:199]
	v_fma_f64 v[32:33], v[2:3], v[196:197], -v[32:33]
	v_mul_f64 v[2:3], v[2:3], v[198:199]
	v_fmac_f64_e32 v[2:3], v[4:5], v[196:197]
	scratch_load_dwordx4 v[196:199], off, s14
	v_add_f64 v[24:25], v[24:25], v[2:3]
	ds_read_b128 v[2:5], v13 offset:1536
	v_add_f64 v[22:23], v[22:23], v[32:33]
	s_add_i32 s14, s13, 8
	v_cmp_eq_u32_e32 vcc, s14, v7
	s_add_i32 s13, s13, 35
	s_or_b64 s[10:11], vcc, s[10:11]
	s_waitcnt vmcnt(0) lgkmcnt(0)
	v_mul_f64 v[32:33], v[4:5], v[198:199]
	v_mul_f64 v[138:139], v[2:3], v[198:199]
	v_fma_f64 v[32:33], v[2:3], v[196:197], -v[32:33]
	v_fmac_f64_e32 v[138:139], v[4:5], v[196:197]
	v_add_f64 v[2:3], v[22:23], v[32:33]
	v_add_f64 v[4:5], v[24:25], v[138:139]
	v_mov_b32_e32 v196, s13
	s_mov_b32 s13, s14
	s_andn2_b64 exec, exec, s[10:11]
	s_cbranch_execnz .LBB61_473
; %bb.474:
	s_or_b64 exec, exec, s[10:11]
.LBB61_475:
	s_or_b64 exec, exec, s[2:3]
	v_and_b32_e32 v6, 7, v6
	v_cmp_ne_u32_e32 vcc, 0, v6
	s_and_saveexec_b64 s[2:3], vcc
	s_cbranch_execz .LBB61_479
; %bb.476:
	v_lshlrev_b32_e32 v13, 4, v196
	v_add_u32_e32 v7, 0x3e0, v13
	v_add_u32_e32 v195, 0, v13
	s_mov_b64 s[10:11], 0
.LBB61_477:                             ; =>This Inner Loop Header: Depth=1
	scratch_load_dwordx4 v[196:199], v195, off
	ds_read_b128 v[200:203], v7
	v_add_u32_e32 v6, -1, v6
	v_cmp_eq_u32_e32 vcc, 0, v6
	v_add_u32_e32 v7, 16, v7
	v_add_u32_e32 v195, 16, v195
	s_or_b64 s[10:11], vcc, s[10:11]
	s_waitcnt vmcnt(0) lgkmcnt(0)
	v_mul_f64 v[22:23], v[202:203], v[198:199]
	v_mul_f64 v[24:25], v[200:201], v[198:199]
	v_fma_f64 v[22:23], v[200:201], v[196:197], -v[22:23]
	v_fmac_f64_e32 v[24:25], v[202:203], v[196:197]
	v_add_f64 v[2:3], v[2:3], v[22:23]
	v_add_f64 v[4:5], v[4:5], v[24:25]
	s_andn2_b64 exec, exec, s[10:11]
	s_cbranch_execnz .LBB61_477
; %bb.478:
	s_or_b64 exec, exec, s[10:11]
.LBB61_479:
	s_or_b64 exec, exec, s[2:3]
.LBB61_480:
	s_or_b64 exec, exec, s[8:9]
	v_mov_b32_e32 v6, 0
	ds_read_b128 v[196:199], v6 offset:416
	s_waitcnt lgkmcnt(0)
	v_mul_f64 v[6:7], v[4:5], v[198:199]
	v_mul_f64 v[200:201], v[2:3], v[198:199]
	v_fma_f64 v[198:199], v[2:3], v[196:197], -v[6:7]
	v_fmac_f64_e32 v[200:201], v[4:5], v[196:197]
	scratch_store_dwordx4 off, v[198:201], off offset:416
.LBB61_481:
	s_or_b64 exec, exec, s[4:5]
	scratch_load_dwordx4 v[2:5], v170, off
	v_cmp_lt_u32_e64 s[2:3], 25, v0
	s_waitcnt vmcnt(0)
	ds_write_b128 v9, v[2:5]
	s_waitcnt lgkmcnt(0)
	; wave barrier
	s_waitcnt lgkmcnt(0)
	s_and_saveexec_b64 s[4:5], s[2:3]
	s_cbranch_execz .LBB61_495
; %bb.482:
	ds_read_b128 v[2:5], v9
	s_andn2_b64 vcc, exec, s[6:7]
	s_cbranch_vccnz .LBB61_484
; %bb.483:
	scratch_load_dwordx4 v[196:199], v8, off
	s_waitcnt vmcnt(0) lgkmcnt(0)
	v_mul_f64 v[22:23], v[2:3], v[198:199]
	v_mul_f64 v[6:7], v[4:5], v[198:199]
	v_fmac_f64_e32 v[22:23], v[4:5], v[196:197]
	v_fma_f64 v[2:3], v[2:3], v[196:197], -v[6:7]
	v_mov_b64_e32 v[4:5], v[22:23]
.LBB61_484:
	s_and_saveexec_b64 s[8:9], s[0:1]
	s_cbranch_execz .LBB61_494
; %bb.485:
	v_subrev_u32_e32 v7, 27, v0
	v_subrev_u32_e32 v6, 26, v0
	v_cmp_lt_u32_e32 vcc, 6, v7
	v_mov_b32_e32 v196, 26
	s_and_saveexec_b64 s[0:1], vcc
	s_cbranch_execz .LBB61_489
; %bb.486:
	v_and_b32_e32 v7, -8, v6
	s_mov_b32 s12, 0
	s_mov_b64 s[10:11], 0
	v_mov_b32_e32 v195, 0
	s_mov_b32 s13, 0
.LBB61_487:                             ; =>This Inner Loop Header: Depth=1
	v_readfirstlane_b32 s14, v195
	s_add_i32 s14, s14, s12
	s_add_i32 s15, s14, 0x1a0
	v_mov_b32_e32 v13, s12
	ds_read_b128 v[196:199], v13 offset:1408
	ds_read_b128 v[200:203], v13 offset:1424
	;; [unrolled: 1-line block ×4, first 2 shown]
	scratch_load_dwordx4 v[212:215], off, s15
	s_add_i32 s15, s14, 0x1b0
	s_addk_i32 s12, 0x80
	s_waitcnt vmcnt(0) lgkmcnt(3)
	v_mul_f64 v[22:23], v[198:199], v[214:215]
	v_mul_f64 v[24:25], v[196:197], v[214:215]
	v_fma_f64 v[22:23], v[196:197], v[212:213], -v[22:23]
	v_fmac_f64_e32 v[24:25], v[198:199], v[212:213]
	v_add_f64 v[22:23], v[2:3], v[22:23]
	v_add_f64 v[24:25], v[4:5], v[24:25]
	scratch_load_dwordx4 v[2:5], off, s15
	s_add_i32 s15, s14, 0x1c0
	s_waitcnt vmcnt(0) lgkmcnt(2)
	v_mul_f64 v[32:33], v[202:203], v[4:5]
	v_mul_f64 v[4:5], v[200:201], v[4:5]
	v_fmac_f64_e32 v[4:5], v[202:203], v[2:3]
	v_fma_f64 v[32:33], v[200:201], v[2:3], -v[32:33]
	v_add_f64 v[24:25], v[24:25], v[4:5]
	scratch_load_dwordx4 v[2:5], off, s15
	v_add_f64 v[22:23], v[22:23], v[32:33]
	s_add_i32 s15, s14, 0x1d0
	s_waitcnt vmcnt(0) lgkmcnt(1)
	v_mul_f64 v[32:33], v[206:207], v[4:5]
	v_mul_f64 v[4:5], v[204:205], v[4:5]
	v_fmac_f64_e32 v[4:5], v[206:207], v[2:3]
	v_fma_f64 v[32:33], v[204:205], v[2:3], -v[32:33]
	v_add_f64 v[24:25], v[24:25], v[4:5]
	scratch_load_dwordx4 v[2:5], off, s15
	s_add_i32 s15, s14, 0x1e0
	scratch_load_dwordx4 v[196:199], off, s15
	v_add_f64 v[22:23], v[22:23], v[32:33]
	s_add_i32 s15, s14, 0x1f0
	s_waitcnt vmcnt(1) lgkmcnt(0)
	v_mul_f64 v[32:33], v[210:211], v[4:5]
	v_mul_f64 v[4:5], v[208:209], v[4:5]
	v_fmac_f64_e32 v[4:5], v[210:211], v[2:3]
	v_fma_f64 v[32:33], v[208:209], v[2:3], -v[32:33]
	v_add_f64 v[24:25], v[24:25], v[4:5]
	ds_read_b128 v[2:5], v13 offset:1472
	v_add_f64 v[22:23], v[22:23], v[32:33]
	s_waitcnt vmcnt(0) lgkmcnt(0)
	v_mul_f64 v[32:33], v[4:5], v[198:199]
	v_fma_f64 v[32:33], v[2:3], v[196:197], -v[32:33]
	v_mul_f64 v[2:3], v[2:3], v[198:199]
	v_fmac_f64_e32 v[2:3], v[4:5], v[196:197]
	scratch_load_dwordx4 v[196:199], off, s15
	v_add_f64 v[24:25], v[24:25], v[2:3]
	ds_read_b128 v[2:5], v13 offset:1488
	v_add_f64 v[22:23], v[22:23], v[32:33]
	s_add_i32 s15, s14, 0x200
	s_addk_i32 s14, 0x210
	s_waitcnt vmcnt(0) lgkmcnt(0)
	v_mul_f64 v[32:33], v[4:5], v[198:199]
	v_fma_f64 v[32:33], v[2:3], v[196:197], -v[32:33]
	v_mul_f64 v[2:3], v[2:3], v[198:199]
	v_fmac_f64_e32 v[2:3], v[4:5], v[196:197]
	scratch_load_dwordx4 v[196:199], off, s15
	v_add_f64 v[24:25], v[24:25], v[2:3]
	ds_read_b128 v[2:5], v13 offset:1504
	v_add_f64 v[22:23], v[22:23], v[32:33]
	s_waitcnt vmcnt(0) lgkmcnt(0)
	v_mul_f64 v[32:33], v[4:5], v[198:199]
	v_fma_f64 v[32:33], v[2:3], v[196:197], -v[32:33]
	v_mul_f64 v[2:3], v[2:3], v[198:199]
	v_fmac_f64_e32 v[2:3], v[4:5], v[196:197]
	scratch_load_dwordx4 v[196:199], off, s14
	v_add_f64 v[24:25], v[24:25], v[2:3]
	ds_read_b128 v[2:5], v13 offset:1520
	v_add_f64 v[22:23], v[22:23], v[32:33]
	s_add_i32 s14, s13, 8
	v_cmp_eq_u32_e32 vcc, s14, v7
	s_add_i32 s13, s13, 34
	s_or_b64 s[10:11], vcc, s[10:11]
	s_waitcnt vmcnt(0) lgkmcnt(0)
	v_mul_f64 v[32:33], v[4:5], v[198:199]
	v_mul_f64 v[138:139], v[2:3], v[198:199]
	v_fma_f64 v[32:33], v[2:3], v[196:197], -v[32:33]
	v_fmac_f64_e32 v[138:139], v[4:5], v[196:197]
	v_add_f64 v[2:3], v[22:23], v[32:33]
	v_add_f64 v[4:5], v[24:25], v[138:139]
	v_mov_b32_e32 v196, s13
	s_mov_b32 s13, s14
	s_andn2_b64 exec, exec, s[10:11]
	s_cbranch_execnz .LBB61_487
; %bb.488:
	s_or_b64 exec, exec, s[10:11]
.LBB61_489:
	s_or_b64 exec, exec, s[0:1]
	v_and_b32_e32 v6, 7, v6
	v_cmp_ne_u32_e32 vcc, 0, v6
	s_and_saveexec_b64 s[0:1], vcc
	s_cbranch_execz .LBB61_493
; %bb.490:
	v_lshlrev_b32_e32 v13, 4, v196
	v_add_u32_e32 v7, 0x3e0, v13
	v_add_u32_e32 v195, 0, v13
	s_mov_b64 s[10:11], 0
.LBB61_491:                             ; =>This Inner Loop Header: Depth=1
	scratch_load_dwordx4 v[196:199], v195, off
	ds_read_b128 v[200:203], v7
	v_add_u32_e32 v6, -1, v6
	v_cmp_eq_u32_e32 vcc, 0, v6
	v_add_u32_e32 v7, 16, v7
	v_add_u32_e32 v195, 16, v195
	s_or_b64 s[10:11], vcc, s[10:11]
	s_waitcnt vmcnt(0) lgkmcnt(0)
	v_mul_f64 v[22:23], v[202:203], v[198:199]
	v_mul_f64 v[24:25], v[200:201], v[198:199]
	v_fma_f64 v[22:23], v[200:201], v[196:197], -v[22:23]
	v_fmac_f64_e32 v[24:25], v[202:203], v[196:197]
	v_add_f64 v[2:3], v[2:3], v[22:23]
	v_add_f64 v[4:5], v[4:5], v[24:25]
	s_andn2_b64 exec, exec, s[10:11]
	s_cbranch_execnz .LBB61_491
; %bb.492:
	s_or_b64 exec, exec, s[10:11]
.LBB61_493:
	s_or_b64 exec, exec, s[0:1]
.LBB61_494:
	s_or_b64 exec, exec, s[8:9]
	v_mov_b32_e32 v6, 0
	ds_read_b128 v[196:199], v6 offset:400
	s_waitcnt lgkmcnt(0)
	v_mul_f64 v[6:7], v[4:5], v[198:199]
	v_mul_f64 v[200:201], v[2:3], v[198:199]
	v_fma_f64 v[198:199], v[2:3], v[196:197], -v[6:7]
	v_fmac_f64_e32 v[200:201], v[4:5], v[196:197]
	scratch_store_dwordx4 off, v[198:201], off offset:400
.LBB61_495:
	s_or_b64 exec, exec, s[4:5]
	scratch_load_dwordx4 v[2:5], v171, off
	v_cmp_lt_u32_e64 s[0:1], 24, v0
	s_waitcnt vmcnt(0)
	ds_write_b128 v9, v[2:5]
	s_waitcnt lgkmcnt(0)
	; wave barrier
	s_waitcnt lgkmcnt(0)
	s_and_saveexec_b64 s[4:5], s[0:1]
	s_cbranch_execz .LBB61_509
; %bb.496:
	ds_read_b128 v[2:5], v9
	s_andn2_b64 vcc, exec, s[6:7]
	s_cbranch_vccnz .LBB61_498
; %bb.497:
	scratch_load_dwordx4 v[196:199], v8, off
	s_waitcnt vmcnt(0) lgkmcnt(0)
	v_mul_f64 v[22:23], v[2:3], v[198:199]
	v_mul_f64 v[6:7], v[4:5], v[198:199]
	v_fmac_f64_e32 v[22:23], v[4:5], v[196:197]
	v_fma_f64 v[2:3], v[2:3], v[196:197], -v[6:7]
	v_mov_b64_e32 v[4:5], v[22:23]
.LBB61_498:
	s_and_saveexec_b64 s[8:9], s[2:3]
	s_cbranch_execz .LBB61_508
; %bb.499:
	v_subrev_u32_e32 v7, 26, v0
	v_subrev_u32_e32 v6, 25, v0
	v_cmp_lt_u32_e32 vcc, 6, v7
	v_mov_b32_e32 v196, 25
	s_and_saveexec_b64 s[2:3], vcc
	s_cbranch_execz .LBB61_503
; %bb.500:
	v_and_b32_e32 v7, -8, v6
	s_mov_b32 s12, 0
	s_mov_b64 s[10:11], 0
	v_mov_b32_e32 v195, 0
	s_mov_b32 s13, 0
.LBB61_501:                             ; =>This Inner Loop Header: Depth=1
	v_readfirstlane_b32 s14, v195
	s_add_i32 s14, s14, s12
	s_add_i32 s15, s14, 0x190
	v_mov_b32_e32 v13, s12
	ds_read_b128 v[196:199], v13 offset:1392
	ds_read_b128 v[200:203], v13 offset:1408
	;; [unrolled: 1-line block ×4, first 2 shown]
	scratch_load_dwordx4 v[212:215], off, s15
	s_add_i32 s15, s14, 0x1a0
	s_addk_i32 s12, 0x80
	s_waitcnt vmcnt(0) lgkmcnt(3)
	v_mul_f64 v[22:23], v[198:199], v[214:215]
	v_mul_f64 v[24:25], v[196:197], v[214:215]
	v_fma_f64 v[22:23], v[196:197], v[212:213], -v[22:23]
	v_fmac_f64_e32 v[24:25], v[198:199], v[212:213]
	v_add_f64 v[22:23], v[2:3], v[22:23]
	v_add_f64 v[24:25], v[4:5], v[24:25]
	scratch_load_dwordx4 v[2:5], off, s15
	s_add_i32 s15, s14, 0x1b0
	s_waitcnt vmcnt(0) lgkmcnt(2)
	v_mul_f64 v[32:33], v[202:203], v[4:5]
	v_mul_f64 v[4:5], v[200:201], v[4:5]
	v_fmac_f64_e32 v[4:5], v[202:203], v[2:3]
	v_fma_f64 v[32:33], v[200:201], v[2:3], -v[32:33]
	v_add_f64 v[24:25], v[24:25], v[4:5]
	scratch_load_dwordx4 v[2:5], off, s15
	v_add_f64 v[22:23], v[22:23], v[32:33]
	s_add_i32 s15, s14, 0x1c0
	s_waitcnt vmcnt(0) lgkmcnt(1)
	v_mul_f64 v[32:33], v[206:207], v[4:5]
	v_mul_f64 v[4:5], v[204:205], v[4:5]
	v_fmac_f64_e32 v[4:5], v[206:207], v[2:3]
	v_fma_f64 v[32:33], v[204:205], v[2:3], -v[32:33]
	v_add_f64 v[24:25], v[24:25], v[4:5]
	scratch_load_dwordx4 v[2:5], off, s15
	s_add_i32 s15, s14, 0x1d0
	scratch_load_dwordx4 v[196:199], off, s15
	v_add_f64 v[22:23], v[22:23], v[32:33]
	s_add_i32 s15, s14, 0x1e0
	s_waitcnt vmcnt(1) lgkmcnt(0)
	v_mul_f64 v[32:33], v[210:211], v[4:5]
	v_mul_f64 v[4:5], v[208:209], v[4:5]
	v_fmac_f64_e32 v[4:5], v[210:211], v[2:3]
	v_fma_f64 v[32:33], v[208:209], v[2:3], -v[32:33]
	v_add_f64 v[24:25], v[24:25], v[4:5]
	ds_read_b128 v[2:5], v13 offset:1456
	v_add_f64 v[22:23], v[22:23], v[32:33]
	s_waitcnt vmcnt(0) lgkmcnt(0)
	v_mul_f64 v[32:33], v[4:5], v[198:199]
	v_fma_f64 v[32:33], v[2:3], v[196:197], -v[32:33]
	v_mul_f64 v[2:3], v[2:3], v[198:199]
	v_fmac_f64_e32 v[2:3], v[4:5], v[196:197]
	scratch_load_dwordx4 v[196:199], off, s15
	v_add_f64 v[24:25], v[24:25], v[2:3]
	ds_read_b128 v[2:5], v13 offset:1472
	v_add_f64 v[22:23], v[22:23], v[32:33]
	s_add_i32 s15, s14, 0x1f0
	s_addk_i32 s14, 0x200
	s_waitcnt vmcnt(0) lgkmcnt(0)
	v_mul_f64 v[32:33], v[4:5], v[198:199]
	v_fma_f64 v[32:33], v[2:3], v[196:197], -v[32:33]
	v_mul_f64 v[2:3], v[2:3], v[198:199]
	v_fmac_f64_e32 v[2:3], v[4:5], v[196:197]
	scratch_load_dwordx4 v[196:199], off, s15
	v_add_f64 v[24:25], v[24:25], v[2:3]
	ds_read_b128 v[2:5], v13 offset:1488
	v_add_f64 v[22:23], v[22:23], v[32:33]
	s_waitcnt vmcnt(0) lgkmcnt(0)
	v_mul_f64 v[32:33], v[4:5], v[198:199]
	v_fma_f64 v[32:33], v[2:3], v[196:197], -v[32:33]
	v_mul_f64 v[2:3], v[2:3], v[198:199]
	v_fmac_f64_e32 v[2:3], v[4:5], v[196:197]
	scratch_load_dwordx4 v[196:199], off, s14
	v_add_f64 v[24:25], v[24:25], v[2:3]
	ds_read_b128 v[2:5], v13 offset:1504
	v_add_f64 v[22:23], v[22:23], v[32:33]
	s_add_i32 s14, s13, 8
	v_cmp_eq_u32_e32 vcc, s14, v7
	s_add_i32 s13, s13, 33
	s_or_b64 s[10:11], vcc, s[10:11]
	s_waitcnt vmcnt(0) lgkmcnt(0)
	v_mul_f64 v[32:33], v[4:5], v[198:199]
	v_mul_f64 v[138:139], v[2:3], v[198:199]
	v_fma_f64 v[32:33], v[2:3], v[196:197], -v[32:33]
	v_fmac_f64_e32 v[138:139], v[4:5], v[196:197]
	v_add_f64 v[2:3], v[22:23], v[32:33]
	v_add_f64 v[4:5], v[24:25], v[138:139]
	v_mov_b32_e32 v196, s13
	s_mov_b32 s13, s14
	s_andn2_b64 exec, exec, s[10:11]
	s_cbranch_execnz .LBB61_501
; %bb.502:
	s_or_b64 exec, exec, s[10:11]
.LBB61_503:
	s_or_b64 exec, exec, s[2:3]
	v_and_b32_e32 v6, 7, v6
	v_cmp_ne_u32_e32 vcc, 0, v6
	s_and_saveexec_b64 s[2:3], vcc
	s_cbranch_execz .LBB61_507
; %bb.504:
	v_lshlrev_b32_e32 v13, 4, v196
	v_add_u32_e32 v7, 0x3e0, v13
	v_add_u32_e32 v195, 0, v13
	s_mov_b64 s[10:11], 0
.LBB61_505:                             ; =>This Inner Loop Header: Depth=1
	scratch_load_dwordx4 v[196:199], v195, off
	ds_read_b128 v[200:203], v7
	v_add_u32_e32 v6, -1, v6
	v_cmp_eq_u32_e32 vcc, 0, v6
	v_add_u32_e32 v7, 16, v7
	v_add_u32_e32 v195, 16, v195
	s_or_b64 s[10:11], vcc, s[10:11]
	s_waitcnt vmcnt(0) lgkmcnt(0)
	v_mul_f64 v[22:23], v[202:203], v[198:199]
	v_mul_f64 v[24:25], v[200:201], v[198:199]
	v_fma_f64 v[22:23], v[200:201], v[196:197], -v[22:23]
	v_fmac_f64_e32 v[24:25], v[202:203], v[196:197]
	v_add_f64 v[2:3], v[2:3], v[22:23]
	v_add_f64 v[4:5], v[4:5], v[24:25]
	s_andn2_b64 exec, exec, s[10:11]
	s_cbranch_execnz .LBB61_505
; %bb.506:
	s_or_b64 exec, exec, s[10:11]
.LBB61_507:
	s_or_b64 exec, exec, s[2:3]
.LBB61_508:
	s_or_b64 exec, exec, s[8:9]
	v_mov_b32_e32 v6, 0
	ds_read_b128 v[196:199], v6 offset:384
	s_waitcnt lgkmcnt(0)
	v_mul_f64 v[6:7], v[4:5], v[198:199]
	v_mul_f64 v[200:201], v[2:3], v[198:199]
	v_fma_f64 v[198:199], v[2:3], v[196:197], -v[6:7]
	v_fmac_f64_e32 v[200:201], v[4:5], v[196:197]
	scratch_store_dwordx4 off, v[198:201], off offset:384
.LBB61_509:
	s_or_b64 exec, exec, s[4:5]
	scratch_load_dwordx4 v[2:5], v172, off
	v_cmp_lt_u32_e64 s[2:3], 23, v0
	s_waitcnt vmcnt(0)
	ds_write_b128 v9, v[2:5]
	s_waitcnt lgkmcnt(0)
	; wave barrier
	s_waitcnt lgkmcnt(0)
	s_and_saveexec_b64 s[4:5], s[2:3]
	s_cbranch_execz .LBB61_523
; %bb.510:
	ds_read_b128 v[2:5], v9
	s_andn2_b64 vcc, exec, s[6:7]
	s_cbranch_vccnz .LBB61_512
; %bb.511:
	scratch_load_dwordx4 v[196:199], v8, off
	s_waitcnt vmcnt(0) lgkmcnt(0)
	v_mul_f64 v[22:23], v[2:3], v[198:199]
	v_mul_f64 v[6:7], v[4:5], v[198:199]
	v_fmac_f64_e32 v[22:23], v[4:5], v[196:197]
	v_fma_f64 v[2:3], v[2:3], v[196:197], -v[6:7]
	v_mov_b64_e32 v[4:5], v[22:23]
.LBB61_512:
	s_and_saveexec_b64 s[8:9], s[0:1]
	s_cbranch_execz .LBB61_522
; %bb.513:
	v_subrev_u32_e32 v6, 25, v0
	v_cmp_lt_u32_e32 vcc, 6, v6
	v_mov_b32_e32 v6, 24
	s_and_saveexec_b64 s[0:1], vcc
	s_cbranch_execz .LBB61_517
; %bb.514:
	v_and_b32_e32 v6, 56, v0
	s_mov_b32 s12, 24
	s_mov_b32 s13, 0
	s_mov_b64 s[10:11], 0
	v_mov_b32_e32 v7, 0
.LBB61_515:                             ; =>This Inner Loop Header: Depth=1
	s_nop 0
	v_readfirstlane_b32 s14, v7
	s_add_i32 s14, s14, s13
	s_add_i32 s15, s14, 0x180
	v_mov_b32_e32 v13, s13
	ds_read_b128 v[196:199], v13 offset:1376
	ds_read_b128 v[200:203], v13 offset:1392
	;; [unrolled: 1-line block ×4, first 2 shown]
	scratch_load_dwordx4 v[212:215], off, s15
	s_add_i32 s15, s14, 0x190
	s_add_i32 s12, s12, 8
	s_addk_i32 s13, 0x80
	v_cmp_eq_u32_e32 vcc, s12, v6
	s_waitcnt vmcnt(0) lgkmcnt(3)
	v_mul_f64 v[22:23], v[198:199], v[214:215]
	v_mul_f64 v[24:25], v[196:197], v[214:215]
	v_fma_f64 v[22:23], v[196:197], v[212:213], -v[22:23]
	v_fmac_f64_e32 v[24:25], v[198:199], v[212:213]
	v_add_f64 v[22:23], v[2:3], v[22:23]
	v_add_f64 v[24:25], v[4:5], v[24:25]
	scratch_load_dwordx4 v[2:5], off, s15
	s_add_i32 s15, s14, 0x1a0
	s_waitcnt vmcnt(0) lgkmcnt(2)
	v_mul_f64 v[32:33], v[202:203], v[4:5]
	v_mul_f64 v[4:5], v[200:201], v[4:5]
	v_fmac_f64_e32 v[4:5], v[202:203], v[2:3]
	v_fma_f64 v[32:33], v[200:201], v[2:3], -v[32:33]
	v_add_f64 v[24:25], v[24:25], v[4:5]
	scratch_load_dwordx4 v[2:5], off, s15
	v_add_f64 v[22:23], v[22:23], v[32:33]
	s_add_i32 s15, s14, 0x1b0
	s_waitcnt vmcnt(0) lgkmcnt(1)
	v_mul_f64 v[32:33], v[206:207], v[4:5]
	v_mul_f64 v[4:5], v[204:205], v[4:5]
	v_fmac_f64_e32 v[4:5], v[206:207], v[2:3]
	v_fma_f64 v[32:33], v[204:205], v[2:3], -v[32:33]
	v_add_f64 v[24:25], v[24:25], v[4:5]
	scratch_load_dwordx4 v[2:5], off, s15
	s_add_i32 s15, s14, 0x1c0
	scratch_load_dwordx4 v[196:199], off, s15
	v_add_f64 v[22:23], v[22:23], v[32:33]
	s_add_i32 s15, s14, 0x1d0
	s_waitcnt vmcnt(1) lgkmcnt(0)
	v_mul_f64 v[32:33], v[210:211], v[4:5]
	v_mul_f64 v[4:5], v[208:209], v[4:5]
	v_fmac_f64_e32 v[4:5], v[210:211], v[2:3]
	v_fma_f64 v[32:33], v[208:209], v[2:3], -v[32:33]
	v_add_f64 v[24:25], v[24:25], v[4:5]
	ds_read_b128 v[2:5], v13 offset:1440
	v_add_f64 v[22:23], v[22:23], v[32:33]
	s_waitcnt vmcnt(0) lgkmcnt(0)
	v_mul_f64 v[32:33], v[4:5], v[198:199]
	v_fma_f64 v[32:33], v[2:3], v[196:197], -v[32:33]
	v_mul_f64 v[2:3], v[2:3], v[198:199]
	v_fmac_f64_e32 v[2:3], v[4:5], v[196:197]
	scratch_load_dwordx4 v[196:199], off, s15
	v_add_f64 v[24:25], v[24:25], v[2:3]
	ds_read_b128 v[2:5], v13 offset:1456
	v_add_f64 v[22:23], v[22:23], v[32:33]
	s_add_i32 s15, s14, 0x1e0
	s_addk_i32 s14, 0x1f0
	s_or_b64 s[10:11], vcc, s[10:11]
	s_waitcnt vmcnt(0) lgkmcnt(0)
	v_mul_f64 v[32:33], v[4:5], v[198:199]
	v_fma_f64 v[32:33], v[2:3], v[196:197], -v[32:33]
	v_mul_f64 v[2:3], v[2:3], v[198:199]
	v_fmac_f64_e32 v[2:3], v[4:5], v[196:197]
	scratch_load_dwordx4 v[196:199], off, s15
	v_add_f64 v[24:25], v[24:25], v[2:3]
	ds_read_b128 v[2:5], v13 offset:1472
	v_add_f64 v[22:23], v[22:23], v[32:33]
	s_waitcnt vmcnt(0) lgkmcnt(0)
	v_mul_f64 v[32:33], v[4:5], v[198:199]
	v_fma_f64 v[32:33], v[2:3], v[196:197], -v[32:33]
	v_mul_f64 v[2:3], v[2:3], v[198:199]
	v_fmac_f64_e32 v[2:3], v[4:5], v[196:197]
	scratch_load_dwordx4 v[196:199], off, s14
	v_add_f64 v[24:25], v[24:25], v[2:3]
	ds_read_b128 v[2:5], v13 offset:1488
	v_add_f64 v[22:23], v[22:23], v[32:33]
	s_waitcnt vmcnt(0) lgkmcnt(0)
	v_mul_f64 v[32:33], v[4:5], v[198:199]
	v_mul_f64 v[138:139], v[2:3], v[198:199]
	v_fma_f64 v[32:33], v[2:3], v[196:197], -v[32:33]
	v_fmac_f64_e32 v[138:139], v[4:5], v[196:197]
	v_add_f64 v[2:3], v[22:23], v[32:33]
	v_add_f64 v[4:5], v[24:25], v[138:139]
	s_andn2_b64 exec, exec, s[10:11]
	s_cbranch_execnz .LBB61_515
; %bb.516:
	s_or_b64 exec, exec, s[10:11]
.LBB61_517:
	s_or_b64 exec, exec, s[0:1]
	v_and_b32_e32 v7, 7, v0
	v_cmp_ne_u32_e32 vcc, 0, v7
	s_and_saveexec_b64 s[0:1], vcc
	s_cbranch_execz .LBB61_521
; %bb.518:
	v_lshlrev_b32_e32 v13, 4, v6
	v_add_u32_e32 v6, 0x3e0, v13
	v_add_u32_e32 v195, 0, v13
	s_mov_b64 s[10:11], 0
.LBB61_519:                             ; =>This Inner Loop Header: Depth=1
	scratch_load_dwordx4 v[196:199], v195, off
	ds_read_b128 v[200:203], v6
	v_add_u32_e32 v7, -1, v7
	v_cmp_eq_u32_e32 vcc, 0, v7
	v_add_u32_e32 v6, 16, v6
	v_add_u32_e32 v195, 16, v195
	s_or_b64 s[10:11], vcc, s[10:11]
	s_waitcnt vmcnt(0) lgkmcnt(0)
	v_mul_f64 v[22:23], v[202:203], v[198:199]
	v_mul_f64 v[24:25], v[200:201], v[198:199]
	v_fma_f64 v[22:23], v[200:201], v[196:197], -v[22:23]
	v_fmac_f64_e32 v[24:25], v[202:203], v[196:197]
	v_add_f64 v[2:3], v[2:3], v[22:23]
	v_add_f64 v[4:5], v[4:5], v[24:25]
	s_andn2_b64 exec, exec, s[10:11]
	s_cbranch_execnz .LBB61_519
; %bb.520:
	s_or_b64 exec, exec, s[10:11]
.LBB61_521:
	s_or_b64 exec, exec, s[0:1]
.LBB61_522:
	s_or_b64 exec, exec, s[8:9]
	v_mov_b32_e32 v6, 0
	ds_read_b128 v[196:199], v6 offset:368
	s_waitcnt lgkmcnt(0)
	v_mul_f64 v[6:7], v[4:5], v[198:199]
	v_mul_f64 v[200:201], v[2:3], v[198:199]
	v_fma_f64 v[198:199], v[2:3], v[196:197], -v[6:7]
	v_fmac_f64_e32 v[200:201], v[4:5], v[196:197]
	scratch_store_dwordx4 off, v[198:201], off offset:368
.LBB61_523:
	s_or_b64 exec, exec, s[4:5]
	scratch_load_dwordx4 v[2:5], v173, off
	v_cmp_lt_u32_e64 s[0:1], 22, v0
	s_waitcnt vmcnt(0)
	ds_write_b128 v9, v[2:5]
	s_waitcnt lgkmcnt(0)
	; wave barrier
	s_waitcnt lgkmcnt(0)
	s_and_saveexec_b64 s[4:5], s[0:1]
	s_cbranch_execz .LBB61_537
; %bb.524:
	ds_read_b128 v[2:5], v9
	s_andn2_b64 vcc, exec, s[6:7]
	s_cbranch_vccnz .LBB61_526
; %bb.525:
	scratch_load_dwordx4 v[196:199], v8, off
	s_waitcnt vmcnt(0) lgkmcnt(0)
	v_mul_f64 v[22:23], v[2:3], v[198:199]
	v_mul_f64 v[6:7], v[4:5], v[198:199]
	v_fmac_f64_e32 v[22:23], v[4:5], v[196:197]
	v_fma_f64 v[2:3], v[2:3], v[196:197], -v[6:7]
	v_mov_b64_e32 v[4:5], v[22:23]
.LBB61_526:
	s_and_saveexec_b64 s[8:9], s[2:3]
	s_cbranch_execz .LBB61_536
; %bb.527:
	v_subrev_u32_e32 v7, 24, v0
	v_subrev_u32_e32 v6, 23, v0
	v_cmp_lt_u32_e32 vcc, 6, v7
	v_mov_b32_e32 v196, 23
	s_and_saveexec_b64 s[2:3], vcc
	s_cbranch_execz .LBB61_531
; %bb.528:
	v_and_b32_e32 v7, -8, v6
	s_mov_b32 s12, 0
	s_mov_b64 s[10:11], 0
	v_mov_b32_e32 v195, 0
	s_mov_b32 s13, 0
.LBB61_529:                             ; =>This Inner Loop Header: Depth=1
	v_readfirstlane_b32 s14, v195
	s_add_i32 s14, s14, s12
	s_add_i32 s15, s14, 0x170
	v_mov_b32_e32 v13, s12
	ds_read_b128 v[196:199], v13 offset:1360
	ds_read_b128 v[200:203], v13 offset:1376
	;; [unrolled: 1-line block ×4, first 2 shown]
	scratch_load_dwordx4 v[212:215], off, s15
	s_add_i32 s15, s14, 0x180
	s_addk_i32 s12, 0x80
	s_waitcnt vmcnt(0) lgkmcnt(3)
	v_mul_f64 v[22:23], v[198:199], v[214:215]
	v_mul_f64 v[24:25], v[196:197], v[214:215]
	v_fma_f64 v[22:23], v[196:197], v[212:213], -v[22:23]
	v_fmac_f64_e32 v[24:25], v[198:199], v[212:213]
	v_add_f64 v[22:23], v[2:3], v[22:23]
	v_add_f64 v[24:25], v[4:5], v[24:25]
	scratch_load_dwordx4 v[2:5], off, s15
	s_add_i32 s15, s14, 0x190
	s_waitcnt vmcnt(0) lgkmcnt(2)
	v_mul_f64 v[32:33], v[202:203], v[4:5]
	v_mul_f64 v[4:5], v[200:201], v[4:5]
	v_fmac_f64_e32 v[4:5], v[202:203], v[2:3]
	v_fma_f64 v[32:33], v[200:201], v[2:3], -v[32:33]
	v_add_f64 v[24:25], v[24:25], v[4:5]
	scratch_load_dwordx4 v[2:5], off, s15
	v_add_f64 v[22:23], v[22:23], v[32:33]
	s_add_i32 s15, s14, 0x1a0
	s_waitcnt vmcnt(0) lgkmcnt(1)
	v_mul_f64 v[32:33], v[206:207], v[4:5]
	v_mul_f64 v[4:5], v[204:205], v[4:5]
	v_fmac_f64_e32 v[4:5], v[206:207], v[2:3]
	v_fma_f64 v[32:33], v[204:205], v[2:3], -v[32:33]
	v_add_f64 v[24:25], v[24:25], v[4:5]
	scratch_load_dwordx4 v[2:5], off, s15
	s_add_i32 s15, s14, 0x1b0
	scratch_load_dwordx4 v[196:199], off, s15
	v_add_f64 v[22:23], v[22:23], v[32:33]
	s_add_i32 s15, s14, 0x1c0
	s_waitcnt vmcnt(1) lgkmcnt(0)
	v_mul_f64 v[32:33], v[210:211], v[4:5]
	v_mul_f64 v[4:5], v[208:209], v[4:5]
	v_fmac_f64_e32 v[4:5], v[210:211], v[2:3]
	v_fma_f64 v[32:33], v[208:209], v[2:3], -v[32:33]
	v_add_f64 v[24:25], v[24:25], v[4:5]
	ds_read_b128 v[2:5], v13 offset:1424
	v_add_f64 v[22:23], v[22:23], v[32:33]
	s_waitcnt vmcnt(0) lgkmcnt(0)
	v_mul_f64 v[32:33], v[4:5], v[198:199]
	v_fma_f64 v[32:33], v[2:3], v[196:197], -v[32:33]
	v_mul_f64 v[2:3], v[2:3], v[198:199]
	v_fmac_f64_e32 v[2:3], v[4:5], v[196:197]
	scratch_load_dwordx4 v[196:199], off, s15
	v_add_f64 v[24:25], v[24:25], v[2:3]
	ds_read_b128 v[2:5], v13 offset:1440
	v_add_f64 v[22:23], v[22:23], v[32:33]
	s_add_i32 s15, s14, 0x1d0
	s_addk_i32 s14, 0x1e0
	s_waitcnt vmcnt(0) lgkmcnt(0)
	v_mul_f64 v[32:33], v[4:5], v[198:199]
	v_fma_f64 v[32:33], v[2:3], v[196:197], -v[32:33]
	v_mul_f64 v[2:3], v[2:3], v[198:199]
	v_fmac_f64_e32 v[2:3], v[4:5], v[196:197]
	scratch_load_dwordx4 v[196:199], off, s15
	v_add_f64 v[24:25], v[24:25], v[2:3]
	ds_read_b128 v[2:5], v13 offset:1456
	v_add_f64 v[22:23], v[22:23], v[32:33]
	s_waitcnt vmcnt(0) lgkmcnt(0)
	v_mul_f64 v[32:33], v[4:5], v[198:199]
	v_fma_f64 v[32:33], v[2:3], v[196:197], -v[32:33]
	v_mul_f64 v[2:3], v[2:3], v[198:199]
	v_fmac_f64_e32 v[2:3], v[4:5], v[196:197]
	scratch_load_dwordx4 v[196:199], off, s14
	v_add_f64 v[24:25], v[24:25], v[2:3]
	ds_read_b128 v[2:5], v13 offset:1472
	v_add_f64 v[22:23], v[22:23], v[32:33]
	s_add_i32 s14, s13, 8
	v_cmp_eq_u32_e32 vcc, s14, v7
	s_add_i32 s13, s13, 31
	s_or_b64 s[10:11], vcc, s[10:11]
	s_waitcnt vmcnt(0) lgkmcnt(0)
	v_mul_f64 v[32:33], v[4:5], v[198:199]
	v_mul_f64 v[138:139], v[2:3], v[198:199]
	v_fma_f64 v[32:33], v[2:3], v[196:197], -v[32:33]
	v_fmac_f64_e32 v[138:139], v[4:5], v[196:197]
	v_add_f64 v[2:3], v[22:23], v[32:33]
	v_add_f64 v[4:5], v[24:25], v[138:139]
	v_mov_b32_e32 v196, s13
	s_mov_b32 s13, s14
	s_andn2_b64 exec, exec, s[10:11]
	s_cbranch_execnz .LBB61_529
; %bb.530:
	s_or_b64 exec, exec, s[10:11]
.LBB61_531:
	s_or_b64 exec, exec, s[2:3]
	v_and_b32_e32 v6, 7, v6
	v_cmp_ne_u32_e32 vcc, 0, v6
	s_and_saveexec_b64 s[2:3], vcc
	s_cbranch_execz .LBB61_535
; %bb.532:
	v_lshlrev_b32_e32 v13, 4, v196
	v_add_u32_e32 v7, 0x3e0, v13
	v_add_u32_e32 v195, 0, v13
	s_mov_b64 s[10:11], 0
.LBB61_533:                             ; =>This Inner Loop Header: Depth=1
	scratch_load_dwordx4 v[196:199], v195, off
	ds_read_b128 v[200:203], v7
	v_add_u32_e32 v6, -1, v6
	v_cmp_eq_u32_e32 vcc, 0, v6
	v_add_u32_e32 v7, 16, v7
	v_add_u32_e32 v195, 16, v195
	s_or_b64 s[10:11], vcc, s[10:11]
	s_waitcnt vmcnt(0) lgkmcnt(0)
	v_mul_f64 v[22:23], v[202:203], v[198:199]
	v_mul_f64 v[24:25], v[200:201], v[198:199]
	v_fma_f64 v[22:23], v[200:201], v[196:197], -v[22:23]
	v_fmac_f64_e32 v[24:25], v[202:203], v[196:197]
	v_add_f64 v[2:3], v[2:3], v[22:23]
	v_add_f64 v[4:5], v[4:5], v[24:25]
	s_andn2_b64 exec, exec, s[10:11]
	s_cbranch_execnz .LBB61_533
; %bb.534:
	s_or_b64 exec, exec, s[10:11]
.LBB61_535:
	s_or_b64 exec, exec, s[2:3]
.LBB61_536:
	s_or_b64 exec, exec, s[8:9]
	v_mov_b32_e32 v6, 0
	ds_read_b128 v[196:199], v6 offset:352
	s_waitcnt lgkmcnt(0)
	v_mul_f64 v[6:7], v[4:5], v[198:199]
	v_mul_f64 v[200:201], v[2:3], v[198:199]
	v_fma_f64 v[198:199], v[2:3], v[196:197], -v[6:7]
	v_fmac_f64_e32 v[200:201], v[4:5], v[196:197]
	scratch_store_dwordx4 off, v[198:201], off offset:352
.LBB61_537:
	s_or_b64 exec, exec, s[4:5]
	scratch_load_dwordx4 v[2:5], v174, off
	v_cmp_lt_u32_e64 s[2:3], 21, v0
	s_waitcnt vmcnt(0)
	ds_write_b128 v9, v[2:5]
	s_waitcnt lgkmcnt(0)
	; wave barrier
	s_waitcnt lgkmcnt(0)
	s_and_saveexec_b64 s[4:5], s[2:3]
	s_cbranch_execz .LBB61_551
; %bb.538:
	ds_read_b128 v[2:5], v9
	s_andn2_b64 vcc, exec, s[6:7]
	s_cbranch_vccnz .LBB61_540
; %bb.539:
	scratch_load_dwordx4 v[196:199], v8, off
	s_waitcnt vmcnt(0) lgkmcnt(0)
	v_mul_f64 v[22:23], v[2:3], v[198:199]
	v_mul_f64 v[6:7], v[4:5], v[198:199]
	v_fmac_f64_e32 v[22:23], v[4:5], v[196:197]
	v_fma_f64 v[2:3], v[2:3], v[196:197], -v[6:7]
	v_mov_b64_e32 v[4:5], v[22:23]
.LBB61_540:
	s_and_saveexec_b64 s[8:9], s[0:1]
	s_cbranch_execz .LBB61_550
; %bb.541:
	v_subrev_u32_e32 v7, 23, v0
	v_subrev_u32_e32 v6, 22, v0
	v_cmp_lt_u32_e32 vcc, 6, v7
	v_mov_b32_e32 v196, 22
	s_and_saveexec_b64 s[0:1], vcc
	s_cbranch_execz .LBB61_545
; %bb.542:
	v_and_b32_e32 v7, -8, v6
	s_mov_b32 s12, 0
	s_mov_b64 s[10:11], 0
	v_mov_b32_e32 v195, 0
	s_mov_b32 s13, 0
.LBB61_543:                             ; =>This Inner Loop Header: Depth=1
	v_readfirstlane_b32 s14, v195
	s_add_i32 s14, s14, s12
	s_add_i32 s15, s14, 0x160
	v_mov_b32_e32 v13, s12
	ds_read_b128 v[196:199], v13 offset:1344
	ds_read_b128 v[200:203], v13 offset:1360
	;; [unrolled: 1-line block ×4, first 2 shown]
	scratch_load_dwordx4 v[212:215], off, s15
	s_add_i32 s15, s14, 0x170
	s_addk_i32 s12, 0x80
	s_waitcnt vmcnt(0) lgkmcnt(3)
	v_mul_f64 v[22:23], v[198:199], v[214:215]
	v_mul_f64 v[24:25], v[196:197], v[214:215]
	v_fma_f64 v[22:23], v[196:197], v[212:213], -v[22:23]
	v_fmac_f64_e32 v[24:25], v[198:199], v[212:213]
	v_add_f64 v[22:23], v[2:3], v[22:23]
	v_add_f64 v[24:25], v[4:5], v[24:25]
	scratch_load_dwordx4 v[2:5], off, s15
	s_add_i32 s15, s14, 0x180
	s_waitcnt vmcnt(0) lgkmcnt(2)
	v_mul_f64 v[32:33], v[202:203], v[4:5]
	v_mul_f64 v[4:5], v[200:201], v[4:5]
	v_fmac_f64_e32 v[4:5], v[202:203], v[2:3]
	v_fma_f64 v[32:33], v[200:201], v[2:3], -v[32:33]
	v_add_f64 v[24:25], v[24:25], v[4:5]
	scratch_load_dwordx4 v[2:5], off, s15
	v_add_f64 v[22:23], v[22:23], v[32:33]
	s_add_i32 s15, s14, 0x190
	s_waitcnt vmcnt(0) lgkmcnt(1)
	v_mul_f64 v[32:33], v[206:207], v[4:5]
	v_mul_f64 v[4:5], v[204:205], v[4:5]
	v_fmac_f64_e32 v[4:5], v[206:207], v[2:3]
	v_fma_f64 v[32:33], v[204:205], v[2:3], -v[32:33]
	v_add_f64 v[24:25], v[24:25], v[4:5]
	scratch_load_dwordx4 v[2:5], off, s15
	s_add_i32 s15, s14, 0x1a0
	scratch_load_dwordx4 v[196:199], off, s15
	v_add_f64 v[22:23], v[22:23], v[32:33]
	s_add_i32 s15, s14, 0x1b0
	s_waitcnt vmcnt(1) lgkmcnt(0)
	v_mul_f64 v[32:33], v[210:211], v[4:5]
	v_mul_f64 v[4:5], v[208:209], v[4:5]
	v_fmac_f64_e32 v[4:5], v[210:211], v[2:3]
	v_fma_f64 v[32:33], v[208:209], v[2:3], -v[32:33]
	v_add_f64 v[24:25], v[24:25], v[4:5]
	ds_read_b128 v[2:5], v13 offset:1408
	v_add_f64 v[22:23], v[22:23], v[32:33]
	s_waitcnt vmcnt(0) lgkmcnt(0)
	v_mul_f64 v[32:33], v[4:5], v[198:199]
	v_fma_f64 v[32:33], v[2:3], v[196:197], -v[32:33]
	v_mul_f64 v[2:3], v[2:3], v[198:199]
	v_fmac_f64_e32 v[2:3], v[4:5], v[196:197]
	scratch_load_dwordx4 v[196:199], off, s15
	v_add_f64 v[24:25], v[24:25], v[2:3]
	ds_read_b128 v[2:5], v13 offset:1424
	v_add_f64 v[22:23], v[22:23], v[32:33]
	s_add_i32 s15, s14, 0x1c0
	s_addk_i32 s14, 0x1d0
	s_waitcnt vmcnt(0) lgkmcnt(0)
	v_mul_f64 v[32:33], v[4:5], v[198:199]
	v_fma_f64 v[32:33], v[2:3], v[196:197], -v[32:33]
	v_mul_f64 v[2:3], v[2:3], v[198:199]
	v_fmac_f64_e32 v[2:3], v[4:5], v[196:197]
	scratch_load_dwordx4 v[196:199], off, s15
	v_add_f64 v[24:25], v[24:25], v[2:3]
	ds_read_b128 v[2:5], v13 offset:1440
	v_add_f64 v[22:23], v[22:23], v[32:33]
	s_waitcnt vmcnt(0) lgkmcnt(0)
	v_mul_f64 v[32:33], v[4:5], v[198:199]
	v_fma_f64 v[32:33], v[2:3], v[196:197], -v[32:33]
	v_mul_f64 v[2:3], v[2:3], v[198:199]
	v_fmac_f64_e32 v[2:3], v[4:5], v[196:197]
	scratch_load_dwordx4 v[196:199], off, s14
	v_add_f64 v[24:25], v[24:25], v[2:3]
	ds_read_b128 v[2:5], v13 offset:1456
	v_add_f64 v[22:23], v[22:23], v[32:33]
	s_add_i32 s14, s13, 8
	v_cmp_eq_u32_e32 vcc, s14, v7
	s_add_i32 s13, s13, 30
	s_or_b64 s[10:11], vcc, s[10:11]
	s_waitcnt vmcnt(0) lgkmcnt(0)
	v_mul_f64 v[32:33], v[4:5], v[198:199]
	v_mul_f64 v[138:139], v[2:3], v[198:199]
	v_fma_f64 v[32:33], v[2:3], v[196:197], -v[32:33]
	v_fmac_f64_e32 v[138:139], v[4:5], v[196:197]
	v_add_f64 v[2:3], v[22:23], v[32:33]
	v_add_f64 v[4:5], v[24:25], v[138:139]
	v_mov_b32_e32 v196, s13
	s_mov_b32 s13, s14
	s_andn2_b64 exec, exec, s[10:11]
	s_cbranch_execnz .LBB61_543
; %bb.544:
	s_or_b64 exec, exec, s[10:11]
.LBB61_545:
	s_or_b64 exec, exec, s[0:1]
	v_and_b32_e32 v6, 7, v6
	v_cmp_ne_u32_e32 vcc, 0, v6
	s_and_saveexec_b64 s[0:1], vcc
	s_cbranch_execz .LBB61_549
; %bb.546:
	v_lshlrev_b32_e32 v13, 4, v196
	v_add_u32_e32 v7, 0x3e0, v13
	v_add_u32_e32 v195, 0, v13
	s_mov_b64 s[10:11], 0
.LBB61_547:                             ; =>This Inner Loop Header: Depth=1
	scratch_load_dwordx4 v[196:199], v195, off
	ds_read_b128 v[200:203], v7
	v_add_u32_e32 v6, -1, v6
	v_cmp_eq_u32_e32 vcc, 0, v6
	v_add_u32_e32 v7, 16, v7
	v_add_u32_e32 v195, 16, v195
	s_or_b64 s[10:11], vcc, s[10:11]
	s_waitcnt vmcnt(0) lgkmcnt(0)
	v_mul_f64 v[22:23], v[202:203], v[198:199]
	v_mul_f64 v[24:25], v[200:201], v[198:199]
	v_fma_f64 v[22:23], v[200:201], v[196:197], -v[22:23]
	v_fmac_f64_e32 v[24:25], v[202:203], v[196:197]
	v_add_f64 v[2:3], v[2:3], v[22:23]
	v_add_f64 v[4:5], v[4:5], v[24:25]
	s_andn2_b64 exec, exec, s[10:11]
	s_cbranch_execnz .LBB61_547
; %bb.548:
	s_or_b64 exec, exec, s[10:11]
.LBB61_549:
	s_or_b64 exec, exec, s[0:1]
.LBB61_550:
	s_or_b64 exec, exec, s[8:9]
	v_mov_b32_e32 v6, 0
	ds_read_b128 v[196:199], v6 offset:336
	s_waitcnt lgkmcnt(0)
	v_mul_f64 v[6:7], v[4:5], v[198:199]
	v_mul_f64 v[200:201], v[2:3], v[198:199]
	v_fma_f64 v[198:199], v[2:3], v[196:197], -v[6:7]
	v_fmac_f64_e32 v[200:201], v[4:5], v[196:197]
	scratch_store_dwordx4 off, v[198:201], off offset:336
.LBB61_551:
	s_or_b64 exec, exec, s[4:5]
	scratch_load_dwordx4 v[2:5], v175, off
	v_cmp_lt_u32_e64 s[0:1], 20, v0
	s_waitcnt vmcnt(0)
	ds_write_b128 v9, v[2:5]
	s_waitcnt lgkmcnt(0)
	; wave barrier
	s_waitcnt lgkmcnt(0)
	s_and_saveexec_b64 s[4:5], s[0:1]
	s_cbranch_execz .LBB61_565
; %bb.552:
	ds_read_b128 v[2:5], v9
	s_andn2_b64 vcc, exec, s[6:7]
	s_cbranch_vccnz .LBB61_554
; %bb.553:
	scratch_load_dwordx4 v[196:199], v8, off
	s_waitcnt vmcnt(0) lgkmcnt(0)
	v_mul_f64 v[22:23], v[2:3], v[198:199]
	v_mul_f64 v[6:7], v[4:5], v[198:199]
	v_fmac_f64_e32 v[22:23], v[4:5], v[196:197]
	v_fma_f64 v[2:3], v[2:3], v[196:197], -v[6:7]
	v_mov_b64_e32 v[4:5], v[22:23]
.LBB61_554:
	s_and_saveexec_b64 s[8:9], s[2:3]
	s_cbranch_execz .LBB61_564
; %bb.555:
	v_subrev_u32_e32 v7, 22, v0
	v_subrev_u32_e32 v6, 21, v0
	v_cmp_lt_u32_e32 vcc, 6, v7
	v_mov_b32_e32 v196, 21
	s_and_saveexec_b64 s[2:3], vcc
	s_cbranch_execz .LBB61_559
; %bb.556:
	v_and_b32_e32 v7, -8, v6
	s_mov_b32 s12, 0
	s_mov_b64 s[10:11], 0
	v_mov_b32_e32 v195, 0
	s_mov_b32 s13, 0
.LBB61_557:                             ; =>This Inner Loop Header: Depth=1
	v_readfirstlane_b32 s14, v195
	s_add_i32 s14, s14, s12
	s_add_i32 s15, s14, 0x150
	v_mov_b32_e32 v13, s12
	ds_read_b128 v[196:199], v13 offset:1328
	ds_read_b128 v[200:203], v13 offset:1344
	;; [unrolled: 1-line block ×4, first 2 shown]
	scratch_load_dwordx4 v[212:215], off, s15
	s_add_i32 s15, s14, 0x160
	s_addk_i32 s12, 0x80
	s_waitcnt vmcnt(0) lgkmcnt(3)
	v_mul_f64 v[22:23], v[198:199], v[214:215]
	v_mul_f64 v[24:25], v[196:197], v[214:215]
	v_fma_f64 v[22:23], v[196:197], v[212:213], -v[22:23]
	v_fmac_f64_e32 v[24:25], v[198:199], v[212:213]
	v_add_f64 v[22:23], v[2:3], v[22:23]
	v_add_f64 v[24:25], v[4:5], v[24:25]
	scratch_load_dwordx4 v[2:5], off, s15
	s_add_i32 s15, s14, 0x170
	s_waitcnt vmcnt(0) lgkmcnt(2)
	v_mul_f64 v[32:33], v[202:203], v[4:5]
	v_mul_f64 v[4:5], v[200:201], v[4:5]
	v_fmac_f64_e32 v[4:5], v[202:203], v[2:3]
	v_fma_f64 v[32:33], v[200:201], v[2:3], -v[32:33]
	v_add_f64 v[24:25], v[24:25], v[4:5]
	scratch_load_dwordx4 v[2:5], off, s15
	v_add_f64 v[22:23], v[22:23], v[32:33]
	s_add_i32 s15, s14, 0x180
	s_waitcnt vmcnt(0) lgkmcnt(1)
	v_mul_f64 v[32:33], v[206:207], v[4:5]
	v_mul_f64 v[4:5], v[204:205], v[4:5]
	v_fmac_f64_e32 v[4:5], v[206:207], v[2:3]
	v_fma_f64 v[32:33], v[204:205], v[2:3], -v[32:33]
	v_add_f64 v[24:25], v[24:25], v[4:5]
	scratch_load_dwordx4 v[2:5], off, s15
	s_add_i32 s15, s14, 0x190
	scratch_load_dwordx4 v[196:199], off, s15
	v_add_f64 v[22:23], v[22:23], v[32:33]
	s_add_i32 s15, s14, 0x1a0
	s_waitcnt vmcnt(1) lgkmcnt(0)
	v_mul_f64 v[32:33], v[210:211], v[4:5]
	v_mul_f64 v[4:5], v[208:209], v[4:5]
	v_fmac_f64_e32 v[4:5], v[210:211], v[2:3]
	v_fma_f64 v[32:33], v[208:209], v[2:3], -v[32:33]
	v_add_f64 v[24:25], v[24:25], v[4:5]
	ds_read_b128 v[2:5], v13 offset:1392
	v_add_f64 v[22:23], v[22:23], v[32:33]
	s_waitcnt vmcnt(0) lgkmcnt(0)
	v_mul_f64 v[32:33], v[4:5], v[198:199]
	v_fma_f64 v[32:33], v[2:3], v[196:197], -v[32:33]
	v_mul_f64 v[2:3], v[2:3], v[198:199]
	v_fmac_f64_e32 v[2:3], v[4:5], v[196:197]
	scratch_load_dwordx4 v[196:199], off, s15
	v_add_f64 v[24:25], v[24:25], v[2:3]
	ds_read_b128 v[2:5], v13 offset:1408
	v_add_f64 v[22:23], v[22:23], v[32:33]
	s_add_i32 s15, s14, 0x1b0
	s_addk_i32 s14, 0x1c0
	s_waitcnt vmcnt(0) lgkmcnt(0)
	v_mul_f64 v[32:33], v[4:5], v[198:199]
	v_fma_f64 v[32:33], v[2:3], v[196:197], -v[32:33]
	v_mul_f64 v[2:3], v[2:3], v[198:199]
	v_fmac_f64_e32 v[2:3], v[4:5], v[196:197]
	scratch_load_dwordx4 v[196:199], off, s15
	v_add_f64 v[24:25], v[24:25], v[2:3]
	ds_read_b128 v[2:5], v13 offset:1424
	v_add_f64 v[22:23], v[22:23], v[32:33]
	s_waitcnt vmcnt(0) lgkmcnt(0)
	v_mul_f64 v[32:33], v[4:5], v[198:199]
	v_fma_f64 v[32:33], v[2:3], v[196:197], -v[32:33]
	v_mul_f64 v[2:3], v[2:3], v[198:199]
	v_fmac_f64_e32 v[2:3], v[4:5], v[196:197]
	scratch_load_dwordx4 v[196:199], off, s14
	v_add_f64 v[24:25], v[24:25], v[2:3]
	ds_read_b128 v[2:5], v13 offset:1440
	v_add_f64 v[22:23], v[22:23], v[32:33]
	s_add_i32 s14, s13, 8
	v_cmp_eq_u32_e32 vcc, s14, v7
	s_add_i32 s13, s13, 29
	s_or_b64 s[10:11], vcc, s[10:11]
	s_waitcnt vmcnt(0) lgkmcnt(0)
	v_mul_f64 v[32:33], v[4:5], v[198:199]
	v_mul_f64 v[138:139], v[2:3], v[198:199]
	v_fma_f64 v[32:33], v[2:3], v[196:197], -v[32:33]
	v_fmac_f64_e32 v[138:139], v[4:5], v[196:197]
	v_add_f64 v[2:3], v[22:23], v[32:33]
	v_add_f64 v[4:5], v[24:25], v[138:139]
	v_mov_b32_e32 v196, s13
	s_mov_b32 s13, s14
	s_andn2_b64 exec, exec, s[10:11]
	s_cbranch_execnz .LBB61_557
; %bb.558:
	s_or_b64 exec, exec, s[10:11]
.LBB61_559:
	s_or_b64 exec, exec, s[2:3]
	v_and_b32_e32 v6, 7, v6
	v_cmp_ne_u32_e32 vcc, 0, v6
	s_and_saveexec_b64 s[2:3], vcc
	s_cbranch_execz .LBB61_563
; %bb.560:
	v_lshlrev_b32_e32 v13, 4, v196
	v_add_u32_e32 v7, 0x3e0, v13
	v_add_u32_e32 v195, 0, v13
	s_mov_b64 s[10:11], 0
.LBB61_561:                             ; =>This Inner Loop Header: Depth=1
	scratch_load_dwordx4 v[196:199], v195, off
	ds_read_b128 v[200:203], v7
	v_add_u32_e32 v6, -1, v6
	v_cmp_eq_u32_e32 vcc, 0, v6
	v_add_u32_e32 v7, 16, v7
	v_add_u32_e32 v195, 16, v195
	s_or_b64 s[10:11], vcc, s[10:11]
	s_waitcnt vmcnt(0) lgkmcnt(0)
	v_mul_f64 v[22:23], v[202:203], v[198:199]
	v_mul_f64 v[24:25], v[200:201], v[198:199]
	v_fma_f64 v[22:23], v[200:201], v[196:197], -v[22:23]
	v_fmac_f64_e32 v[24:25], v[202:203], v[196:197]
	v_add_f64 v[2:3], v[2:3], v[22:23]
	v_add_f64 v[4:5], v[4:5], v[24:25]
	s_andn2_b64 exec, exec, s[10:11]
	s_cbranch_execnz .LBB61_561
; %bb.562:
	s_or_b64 exec, exec, s[10:11]
.LBB61_563:
	s_or_b64 exec, exec, s[2:3]
.LBB61_564:
	s_or_b64 exec, exec, s[8:9]
	v_mov_b32_e32 v6, 0
	ds_read_b128 v[196:199], v6 offset:320
	s_waitcnt lgkmcnt(0)
	v_mul_f64 v[6:7], v[4:5], v[198:199]
	v_mul_f64 v[200:201], v[2:3], v[198:199]
	v_fma_f64 v[198:199], v[2:3], v[196:197], -v[6:7]
	v_fmac_f64_e32 v[200:201], v[4:5], v[196:197]
	scratch_store_dwordx4 off, v[198:201], off offset:320
.LBB61_565:
	s_or_b64 exec, exec, s[4:5]
	scratch_load_dwordx4 v[2:5], v176, off
	v_cmp_lt_u32_e64 s[2:3], 19, v0
	s_waitcnt vmcnt(0)
	ds_write_b128 v9, v[2:5]
	s_waitcnt lgkmcnt(0)
	; wave barrier
	s_waitcnt lgkmcnt(0)
	s_and_saveexec_b64 s[4:5], s[2:3]
	s_cbranch_execz .LBB61_579
; %bb.566:
	ds_read_b128 v[2:5], v9
	s_andn2_b64 vcc, exec, s[6:7]
	s_cbranch_vccnz .LBB61_568
; %bb.567:
	scratch_load_dwordx4 v[196:199], v8, off
	s_waitcnt vmcnt(0) lgkmcnt(0)
	v_mul_f64 v[22:23], v[2:3], v[198:199]
	v_mul_f64 v[6:7], v[4:5], v[198:199]
	v_fmac_f64_e32 v[22:23], v[4:5], v[196:197]
	v_fma_f64 v[2:3], v[2:3], v[196:197], -v[6:7]
	v_mov_b64_e32 v[4:5], v[22:23]
.LBB61_568:
	s_and_saveexec_b64 s[8:9], s[0:1]
	s_cbranch_execz .LBB61_578
; %bb.569:
	v_subrev_u32_e32 v7, 21, v0
	v_subrev_u32_e32 v6, 20, v0
	v_cmp_lt_u32_e32 vcc, 6, v7
	v_mov_b32_e32 v196, 20
	s_and_saveexec_b64 s[0:1], vcc
	s_cbranch_execz .LBB61_573
; %bb.570:
	v_and_b32_e32 v7, -8, v6
	s_mov_b32 s12, 0
	s_mov_b64 s[10:11], 0
	v_mov_b32_e32 v195, 0
	s_mov_b32 s13, 0
.LBB61_571:                             ; =>This Inner Loop Header: Depth=1
	v_readfirstlane_b32 s14, v195
	s_add_i32 s14, s14, s12
	s_add_i32 s15, s14, 0x140
	v_mov_b32_e32 v13, s12
	ds_read_b128 v[196:199], v13 offset:1312
	ds_read_b128 v[200:203], v13 offset:1328
	;; [unrolled: 1-line block ×4, first 2 shown]
	scratch_load_dwordx4 v[212:215], off, s15
	s_add_i32 s15, s14, 0x150
	s_addk_i32 s12, 0x80
	s_waitcnt vmcnt(0) lgkmcnt(3)
	v_mul_f64 v[22:23], v[198:199], v[214:215]
	v_mul_f64 v[24:25], v[196:197], v[214:215]
	v_fma_f64 v[22:23], v[196:197], v[212:213], -v[22:23]
	v_fmac_f64_e32 v[24:25], v[198:199], v[212:213]
	v_add_f64 v[22:23], v[2:3], v[22:23]
	v_add_f64 v[24:25], v[4:5], v[24:25]
	scratch_load_dwordx4 v[2:5], off, s15
	s_add_i32 s15, s14, 0x160
	s_waitcnt vmcnt(0) lgkmcnt(2)
	v_mul_f64 v[32:33], v[202:203], v[4:5]
	v_mul_f64 v[4:5], v[200:201], v[4:5]
	v_fmac_f64_e32 v[4:5], v[202:203], v[2:3]
	v_fma_f64 v[32:33], v[200:201], v[2:3], -v[32:33]
	v_add_f64 v[24:25], v[24:25], v[4:5]
	scratch_load_dwordx4 v[2:5], off, s15
	v_add_f64 v[22:23], v[22:23], v[32:33]
	s_add_i32 s15, s14, 0x170
	s_waitcnt vmcnt(0) lgkmcnt(1)
	v_mul_f64 v[32:33], v[206:207], v[4:5]
	v_mul_f64 v[4:5], v[204:205], v[4:5]
	v_fmac_f64_e32 v[4:5], v[206:207], v[2:3]
	v_fma_f64 v[32:33], v[204:205], v[2:3], -v[32:33]
	v_add_f64 v[24:25], v[24:25], v[4:5]
	scratch_load_dwordx4 v[2:5], off, s15
	s_add_i32 s15, s14, 0x180
	scratch_load_dwordx4 v[196:199], off, s15
	v_add_f64 v[22:23], v[22:23], v[32:33]
	s_add_i32 s15, s14, 0x190
	s_waitcnt vmcnt(1) lgkmcnt(0)
	v_mul_f64 v[32:33], v[210:211], v[4:5]
	v_mul_f64 v[4:5], v[208:209], v[4:5]
	v_fmac_f64_e32 v[4:5], v[210:211], v[2:3]
	v_fma_f64 v[32:33], v[208:209], v[2:3], -v[32:33]
	v_add_f64 v[24:25], v[24:25], v[4:5]
	ds_read_b128 v[2:5], v13 offset:1376
	v_add_f64 v[22:23], v[22:23], v[32:33]
	s_waitcnt vmcnt(0) lgkmcnt(0)
	v_mul_f64 v[32:33], v[4:5], v[198:199]
	v_fma_f64 v[32:33], v[2:3], v[196:197], -v[32:33]
	v_mul_f64 v[2:3], v[2:3], v[198:199]
	v_fmac_f64_e32 v[2:3], v[4:5], v[196:197]
	scratch_load_dwordx4 v[196:199], off, s15
	v_add_f64 v[24:25], v[24:25], v[2:3]
	ds_read_b128 v[2:5], v13 offset:1392
	v_add_f64 v[22:23], v[22:23], v[32:33]
	s_add_i32 s15, s14, 0x1a0
	s_addk_i32 s14, 0x1b0
	s_waitcnt vmcnt(0) lgkmcnt(0)
	v_mul_f64 v[32:33], v[4:5], v[198:199]
	v_fma_f64 v[32:33], v[2:3], v[196:197], -v[32:33]
	v_mul_f64 v[2:3], v[2:3], v[198:199]
	v_fmac_f64_e32 v[2:3], v[4:5], v[196:197]
	scratch_load_dwordx4 v[196:199], off, s15
	v_add_f64 v[24:25], v[24:25], v[2:3]
	ds_read_b128 v[2:5], v13 offset:1408
	v_add_f64 v[22:23], v[22:23], v[32:33]
	s_waitcnt vmcnt(0) lgkmcnt(0)
	v_mul_f64 v[32:33], v[4:5], v[198:199]
	v_fma_f64 v[32:33], v[2:3], v[196:197], -v[32:33]
	v_mul_f64 v[2:3], v[2:3], v[198:199]
	v_fmac_f64_e32 v[2:3], v[4:5], v[196:197]
	scratch_load_dwordx4 v[196:199], off, s14
	v_add_f64 v[24:25], v[24:25], v[2:3]
	ds_read_b128 v[2:5], v13 offset:1424
	v_add_f64 v[22:23], v[22:23], v[32:33]
	s_add_i32 s14, s13, 8
	v_cmp_eq_u32_e32 vcc, s14, v7
	s_add_i32 s13, s13, 28
	s_or_b64 s[10:11], vcc, s[10:11]
	s_waitcnt vmcnt(0) lgkmcnt(0)
	v_mul_f64 v[32:33], v[4:5], v[198:199]
	v_mul_f64 v[138:139], v[2:3], v[198:199]
	v_fma_f64 v[32:33], v[2:3], v[196:197], -v[32:33]
	v_fmac_f64_e32 v[138:139], v[4:5], v[196:197]
	v_add_f64 v[2:3], v[22:23], v[32:33]
	v_add_f64 v[4:5], v[24:25], v[138:139]
	v_mov_b32_e32 v196, s13
	s_mov_b32 s13, s14
	s_andn2_b64 exec, exec, s[10:11]
	s_cbranch_execnz .LBB61_571
; %bb.572:
	s_or_b64 exec, exec, s[10:11]
.LBB61_573:
	s_or_b64 exec, exec, s[0:1]
	v_and_b32_e32 v6, 7, v6
	v_cmp_ne_u32_e32 vcc, 0, v6
	s_and_saveexec_b64 s[0:1], vcc
	s_cbranch_execz .LBB61_577
; %bb.574:
	v_lshlrev_b32_e32 v13, 4, v196
	v_add_u32_e32 v7, 0x3e0, v13
	v_add_u32_e32 v195, 0, v13
	s_mov_b64 s[10:11], 0
.LBB61_575:                             ; =>This Inner Loop Header: Depth=1
	scratch_load_dwordx4 v[196:199], v195, off
	ds_read_b128 v[200:203], v7
	v_add_u32_e32 v6, -1, v6
	v_cmp_eq_u32_e32 vcc, 0, v6
	v_add_u32_e32 v7, 16, v7
	v_add_u32_e32 v195, 16, v195
	s_or_b64 s[10:11], vcc, s[10:11]
	s_waitcnt vmcnt(0) lgkmcnt(0)
	v_mul_f64 v[22:23], v[202:203], v[198:199]
	v_mul_f64 v[24:25], v[200:201], v[198:199]
	v_fma_f64 v[22:23], v[200:201], v[196:197], -v[22:23]
	v_fmac_f64_e32 v[24:25], v[202:203], v[196:197]
	v_add_f64 v[2:3], v[2:3], v[22:23]
	v_add_f64 v[4:5], v[4:5], v[24:25]
	s_andn2_b64 exec, exec, s[10:11]
	s_cbranch_execnz .LBB61_575
; %bb.576:
	s_or_b64 exec, exec, s[10:11]
.LBB61_577:
	s_or_b64 exec, exec, s[0:1]
.LBB61_578:
	s_or_b64 exec, exec, s[8:9]
	v_mov_b32_e32 v6, 0
	ds_read_b128 v[196:199], v6 offset:304
	s_waitcnt lgkmcnt(0)
	v_mul_f64 v[6:7], v[4:5], v[198:199]
	v_mul_f64 v[200:201], v[2:3], v[198:199]
	v_fma_f64 v[198:199], v[2:3], v[196:197], -v[6:7]
	v_fmac_f64_e32 v[200:201], v[4:5], v[196:197]
	scratch_store_dwordx4 off, v[198:201], off offset:304
.LBB61_579:
	s_or_b64 exec, exec, s[4:5]
	scratch_load_dwordx4 v[2:5], v177, off
	v_cmp_lt_u32_e64 s[0:1], 18, v0
	s_waitcnt vmcnt(0)
	ds_write_b128 v9, v[2:5]
	s_waitcnt lgkmcnt(0)
	; wave barrier
	s_waitcnt lgkmcnt(0)
	s_and_saveexec_b64 s[4:5], s[0:1]
	s_cbranch_execz .LBB61_593
; %bb.580:
	ds_read_b128 v[2:5], v9
	s_andn2_b64 vcc, exec, s[6:7]
	s_cbranch_vccnz .LBB61_582
; %bb.581:
	scratch_load_dwordx4 v[196:199], v8, off
	s_waitcnt vmcnt(0) lgkmcnt(0)
	v_mul_f64 v[22:23], v[2:3], v[198:199]
	v_mul_f64 v[6:7], v[4:5], v[198:199]
	v_fmac_f64_e32 v[22:23], v[4:5], v[196:197]
	v_fma_f64 v[2:3], v[2:3], v[196:197], -v[6:7]
	v_mov_b64_e32 v[4:5], v[22:23]
.LBB61_582:
	s_and_saveexec_b64 s[8:9], s[2:3]
	s_cbranch_execz .LBB61_592
; %bb.583:
	v_subrev_u32_e32 v7, 20, v0
	v_subrev_u32_e32 v6, 19, v0
	v_cmp_lt_u32_e32 vcc, 6, v7
	v_mov_b32_e32 v196, 19
	s_and_saveexec_b64 s[2:3], vcc
	s_cbranch_execz .LBB61_587
; %bb.584:
	v_and_b32_e32 v7, -8, v6
	s_mov_b32 s12, 0
	s_mov_b64 s[10:11], 0
	v_mov_b32_e32 v195, 0
	s_mov_b32 s13, 0
.LBB61_585:                             ; =>This Inner Loop Header: Depth=1
	v_readfirstlane_b32 s14, v195
	s_add_i32 s14, s14, s12
	s_add_i32 s15, s14, 0x130
	v_mov_b32_e32 v13, s12
	ds_read_b128 v[196:199], v13 offset:1296
	ds_read_b128 v[200:203], v13 offset:1312
	;; [unrolled: 1-line block ×4, first 2 shown]
	scratch_load_dwordx4 v[212:215], off, s15
	s_add_i32 s15, s14, 0x140
	s_addk_i32 s12, 0x80
	s_waitcnt vmcnt(0) lgkmcnt(3)
	v_mul_f64 v[22:23], v[198:199], v[214:215]
	v_mul_f64 v[24:25], v[196:197], v[214:215]
	v_fma_f64 v[22:23], v[196:197], v[212:213], -v[22:23]
	v_fmac_f64_e32 v[24:25], v[198:199], v[212:213]
	v_add_f64 v[22:23], v[2:3], v[22:23]
	v_add_f64 v[24:25], v[4:5], v[24:25]
	scratch_load_dwordx4 v[2:5], off, s15
	s_add_i32 s15, s14, 0x150
	s_waitcnt vmcnt(0) lgkmcnt(2)
	v_mul_f64 v[32:33], v[202:203], v[4:5]
	v_mul_f64 v[4:5], v[200:201], v[4:5]
	v_fmac_f64_e32 v[4:5], v[202:203], v[2:3]
	v_fma_f64 v[32:33], v[200:201], v[2:3], -v[32:33]
	v_add_f64 v[24:25], v[24:25], v[4:5]
	scratch_load_dwordx4 v[2:5], off, s15
	v_add_f64 v[22:23], v[22:23], v[32:33]
	s_add_i32 s15, s14, 0x160
	s_waitcnt vmcnt(0) lgkmcnt(1)
	v_mul_f64 v[32:33], v[206:207], v[4:5]
	v_mul_f64 v[4:5], v[204:205], v[4:5]
	v_fmac_f64_e32 v[4:5], v[206:207], v[2:3]
	v_fma_f64 v[32:33], v[204:205], v[2:3], -v[32:33]
	v_add_f64 v[24:25], v[24:25], v[4:5]
	scratch_load_dwordx4 v[2:5], off, s15
	s_add_i32 s15, s14, 0x170
	scratch_load_dwordx4 v[196:199], off, s15
	v_add_f64 v[22:23], v[22:23], v[32:33]
	s_add_i32 s15, s14, 0x180
	s_waitcnt vmcnt(1) lgkmcnt(0)
	v_mul_f64 v[32:33], v[210:211], v[4:5]
	v_mul_f64 v[4:5], v[208:209], v[4:5]
	v_fmac_f64_e32 v[4:5], v[210:211], v[2:3]
	v_fma_f64 v[32:33], v[208:209], v[2:3], -v[32:33]
	v_add_f64 v[24:25], v[24:25], v[4:5]
	ds_read_b128 v[2:5], v13 offset:1360
	v_add_f64 v[22:23], v[22:23], v[32:33]
	s_waitcnt vmcnt(0) lgkmcnt(0)
	v_mul_f64 v[32:33], v[4:5], v[198:199]
	v_fma_f64 v[32:33], v[2:3], v[196:197], -v[32:33]
	v_mul_f64 v[2:3], v[2:3], v[198:199]
	v_fmac_f64_e32 v[2:3], v[4:5], v[196:197]
	scratch_load_dwordx4 v[196:199], off, s15
	v_add_f64 v[24:25], v[24:25], v[2:3]
	ds_read_b128 v[2:5], v13 offset:1376
	v_add_f64 v[22:23], v[22:23], v[32:33]
	s_add_i32 s15, s14, 0x190
	s_addk_i32 s14, 0x1a0
	s_waitcnt vmcnt(0) lgkmcnt(0)
	v_mul_f64 v[32:33], v[4:5], v[198:199]
	v_fma_f64 v[32:33], v[2:3], v[196:197], -v[32:33]
	v_mul_f64 v[2:3], v[2:3], v[198:199]
	v_fmac_f64_e32 v[2:3], v[4:5], v[196:197]
	scratch_load_dwordx4 v[196:199], off, s15
	v_add_f64 v[24:25], v[24:25], v[2:3]
	ds_read_b128 v[2:5], v13 offset:1392
	v_add_f64 v[22:23], v[22:23], v[32:33]
	s_waitcnt vmcnt(0) lgkmcnt(0)
	v_mul_f64 v[32:33], v[4:5], v[198:199]
	v_fma_f64 v[32:33], v[2:3], v[196:197], -v[32:33]
	v_mul_f64 v[2:3], v[2:3], v[198:199]
	v_fmac_f64_e32 v[2:3], v[4:5], v[196:197]
	scratch_load_dwordx4 v[196:199], off, s14
	v_add_f64 v[24:25], v[24:25], v[2:3]
	ds_read_b128 v[2:5], v13 offset:1408
	v_add_f64 v[22:23], v[22:23], v[32:33]
	s_add_i32 s14, s13, 8
	v_cmp_eq_u32_e32 vcc, s14, v7
	s_add_i32 s13, s13, 27
	s_or_b64 s[10:11], vcc, s[10:11]
	s_waitcnt vmcnt(0) lgkmcnt(0)
	v_mul_f64 v[32:33], v[4:5], v[198:199]
	v_mul_f64 v[138:139], v[2:3], v[198:199]
	v_fma_f64 v[32:33], v[2:3], v[196:197], -v[32:33]
	v_fmac_f64_e32 v[138:139], v[4:5], v[196:197]
	v_add_f64 v[2:3], v[22:23], v[32:33]
	v_add_f64 v[4:5], v[24:25], v[138:139]
	v_mov_b32_e32 v196, s13
	s_mov_b32 s13, s14
	s_andn2_b64 exec, exec, s[10:11]
	s_cbranch_execnz .LBB61_585
; %bb.586:
	s_or_b64 exec, exec, s[10:11]
.LBB61_587:
	s_or_b64 exec, exec, s[2:3]
	v_and_b32_e32 v6, 7, v6
	v_cmp_ne_u32_e32 vcc, 0, v6
	s_and_saveexec_b64 s[2:3], vcc
	s_cbranch_execz .LBB61_591
; %bb.588:
	v_lshlrev_b32_e32 v13, 4, v196
	v_add_u32_e32 v7, 0x3e0, v13
	v_add_u32_e32 v195, 0, v13
	s_mov_b64 s[10:11], 0
.LBB61_589:                             ; =>This Inner Loop Header: Depth=1
	scratch_load_dwordx4 v[196:199], v195, off
	ds_read_b128 v[200:203], v7
	v_add_u32_e32 v6, -1, v6
	v_cmp_eq_u32_e32 vcc, 0, v6
	v_add_u32_e32 v7, 16, v7
	v_add_u32_e32 v195, 16, v195
	s_or_b64 s[10:11], vcc, s[10:11]
	s_waitcnt vmcnt(0) lgkmcnt(0)
	v_mul_f64 v[22:23], v[202:203], v[198:199]
	v_mul_f64 v[24:25], v[200:201], v[198:199]
	v_fma_f64 v[22:23], v[200:201], v[196:197], -v[22:23]
	v_fmac_f64_e32 v[24:25], v[202:203], v[196:197]
	v_add_f64 v[2:3], v[2:3], v[22:23]
	v_add_f64 v[4:5], v[4:5], v[24:25]
	s_andn2_b64 exec, exec, s[10:11]
	s_cbranch_execnz .LBB61_589
; %bb.590:
	s_or_b64 exec, exec, s[10:11]
.LBB61_591:
	s_or_b64 exec, exec, s[2:3]
.LBB61_592:
	s_or_b64 exec, exec, s[8:9]
	v_mov_b32_e32 v6, 0
	ds_read_b128 v[196:199], v6 offset:288
	s_waitcnt lgkmcnt(0)
	v_mul_f64 v[6:7], v[4:5], v[198:199]
	v_mul_f64 v[200:201], v[2:3], v[198:199]
	v_fma_f64 v[198:199], v[2:3], v[196:197], -v[6:7]
	v_fmac_f64_e32 v[200:201], v[4:5], v[196:197]
	scratch_store_dwordx4 off, v[198:201], off offset:288
.LBB61_593:
	s_or_b64 exec, exec, s[4:5]
	scratch_load_dwordx4 v[2:5], v178, off
	v_cmp_lt_u32_e64 s[2:3], 17, v0
	s_waitcnt vmcnt(0)
	ds_write_b128 v9, v[2:5]
	s_waitcnt lgkmcnt(0)
	; wave barrier
	s_waitcnt lgkmcnt(0)
	s_and_saveexec_b64 s[4:5], s[2:3]
	s_cbranch_execz .LBB61_607
; %bb.594:
	ds_read_b128 v[2:5], v9
	s_andn2_b64 vcc, exec, s[6:7]
	s_cbranch_vccnz .LBB61_596
; %bb.595:
	scratch_load_dwordx4 v[196:199], v8, off
	s_waitcnt vmcnt(0) lgkmcnt(0)
	v_mul_f64 v[22:23], v[2:3], v[198:199]
	v_mul_f64 v[6:7], v[4:5], v[198:199]
	v_fmac_f64_e32 v[22:23], v[4:5], v[196:197]
	v_fma_f64 v[2:3], v[2:3], v[196:197], -v[6:7]
	v_mov_b64_e32 v[4:5], v[22:23]
.LBB61_596:
	s_and_saveexec_b64 s[8:9], s[0:1]
	s_cbranch_execz .LBB61_606
; %bb.597:
	v_subrev_u32_e32 v7, 19, v0
	v_subrev_u32_e32 v6, 18, v0
	v_cmp_lt_u32_e32 vcc, 6, v7
	v_mov_b32_e32 v196, 18
	s_and_saveexec_b64 s[0:1], vcc
	s_cbranch_execz .LBB61_601
; %bb.598:
	v_and_b32_e32 v7, -8, v6
	s_mov_b32 s12, 0
	s_mov_b64 s[10:11], 0
	v_mov_b32_e32 v195, 0
	s_mov_b32 s13, 0
.LBB61_599:                             ; =>This Inner Loop Header: Depth=1
	v_readfirstlane_b32 s14, v195
	s_add_i32 s14, s14, s12
	s_add_i32 s15, s14, 0x120
	v_mov_b32_e32 v13, s12
	ds_read_b128 v[196:199], v13 offset:1280
	ds_read_b128 v[200:203], v13 offset:1296
	;; [unrolled: 1-line block ×4, first 2 shown]
	scratch_load_dwordx4 v[212:215], off, s15
	s_add_i32 s15, s14, 0x130
	s_addk_i32 s12, 0x80
	s_waitcnt vmcnt(0) lgkmcnt(3)
	v_mul_f64 v[22:23], v[198:199], v[214:215]
	v_mul_f64 v[24:25], v[196:197], v[214:215]
	v_fma_f64 v[22:23], v[196:197], v[212:213], -v[22:23]
	v_fmac_f64_e32 v[24:25], v[198:199], v[212:213]
	v_add_f64 v[22:23], v[2:3], v[22:23]
	v_add_f64 v[24:25], v[4:5], v[24:25]
	scratch_load_dwordx4 v[2:5], off, s15
	s_add_i32 s15, s14, 0x140
	s_waitcnt vmcnt(0) lgkmcnt(2)
	v_mul_f64 v[32:33], v[202:203], v[4:5]
	v_mul_f64 v[4:5], v[200:201], v[4:5]
	v_fmac_f64_e32 v[4:5], v[202:203], v[2:3]
	v_fma_f64 v[32:33], v[200:201], v[2:3], -v[32:33]
	v_add_f64 v[24:25], v[24:25], v[4:5]
	scratch_load_dwordx4 v[2:5], off, s15
	v_add_f64 v[22:23], v[22:23], v[32:33]
	s_add_i32 s15, s14, 0x150
	s_waitcnt vmcnt(0) lgkmcnt(1)
	v_mul_f64 v[32:33], v[206:207], v[4:5]
	v_mul_f64 v[4:5], v[204:205], v[4:5]
	v_fmac_f64_e32 v[4:5], v[206:207], v[2:3]
	v_fma_f64 v[32:33], v[204:205], v[2:3], -v[32:33]
	v_add_f64 v[24:25], v[24:25], v[4:5]
	scratch_load_dwordx4 v[2:5], off, s15
	s_add_i32 s15, s14, 0x160
	scratch_load_dwordx4 v[196:199], off, s15
	v_add_f64 v[22:23], v[22:23], v[32:33]
	s_add_i32 s15, s14, 0x170
	s_waitcnt vmcnt(1) lgkmcnt(0)
	v_mul_f64 v[32:33], v[210:211], v[4:5]
	v_mul_f64 v[4:5], v[208:209], v[4:5]
	v_fmac_f64_e32 v[4:5], v[210:211], v[2:3]
	v_fma_f64 v[32:33], v[208:209], v[2:3], -v[32:33]
	v_add_f64 v[24:25], v[24:25], v[4:5]
	ds_read_b128 v[2:5], v13 offset:1344
	v_add_f64 v[22:23], v[22:23], v[32:33]
	s_waitcnt vmcnt(0) lgkmcnt(0)
	v_mul_f64 v[32:33], v[4:5], v[198:199]
	v_fma_f64 v[32:33], v[2:3], v[196:197], -v[32:33]
	v_mul_f64 v[2:3], v[2:3], v[198:199]
	v_fmac_f64_e32 v[2:3], v[4:5], v[196:197]
	scratch_load_dwordx4 v[196:199], off, s15
	v_add_f64 v[24:25], v[24:25], v[2:3]
	ds_read_b128 v[2:5], v13 offset:1360
	v_add_f64 v[22:23], v[22:23], v[32:33]
	s_add_i32 s15, s14, 0x180
	s_addk_i32 s14, 0x190
	s_waitcnt vmcnt(0) lgkmcnt(0)
	v_mul_f64 v[32:33], v[4:5], v[198:199]
	v_fma_f64 v[32:33], v[2:3], v[196:197], -v[32:33]
	v_mul_f64 v[2:3], v[2:3], v[198:199]
	v_fmac_f64_e32 v[2:3], v[4:5], v[196:197]
	scratch_load_dwordx4 v[196:199], off, s15
	v_add_f64 v[24:25], v[24:25], v[2:3]
	ds_read_b128 v[2:5], v13 offset:1376
	v_add_f64 v[22:23], v[22:23], v[32:33]
	s_waitcnt vmcnt(0) lgkmcnt(0)
	v_mul_f64 v[32:33], v[4:5], v[198:199]
	v_fma_f64 v[32:33], v[2:3], v[196:197], -v[32:33]
	v_mul_f64 v[2:3], v[2:3], v[198:199]
	v_fmac_f64_e32 v[2:3], v[4:5], v[196:197]
	scratch_load_dwordx4 v[196:199], off, s14
	v_add_f64 v[24:25], v[24:25], v[2:3]
	ds_read_b128 v[2:5], v13 offset:1392
	v_add_f64 v[22:23], v[22:23], v[32:33]
	s_add_i32 s14, s13, 8
	v_cmp_eq_u32_e32 vcc, s14, v7
	s_add_i32 s13, s13, 26
	s_or_b64 s[10:11], vcc, s[10:11]
	s_waitcnt vmcnt(0) lgkmcnt(0)
	v_mul_f64 v[32:33], v[4:5], v[198:199]
	v_mul_f64 v[138:139], v[2:3], v[198:199]
	v_fma_f64 v[32:33], v[2:3], v[196:197], -v[32:33]
	v_fmac_f64_e32 v[138:139], v[4:5], v[196:197]
	v_add_f64 v[2:3], v[22:23], v[32:33]
	v_add_f64 v[4:5], v[24:25], v[138:139]
	v_mov_b32_e32 v196, s13
	s_mov_b32 s13, s14
	s_andn2_b64 exec, exec, s[10:11]
	s_cbranch_execnz .LBB61_599
; %bb.600:
	s_or_b64 exec, exec, s[10:11]
.LBB61_601:
	s_or_b64 exec, exec, s[0:1]
	v_and_b32_e32 v6, 7, v6
	v_cmp_ne_u32_e32 vcc, 0, v6
	s_and_saveexec_b64 s[0:1], vcc
	s_cbranch_execz .LBB61_605
; %bb.602:
	v_lshlrev_b32_e32 v13, 4, v196
	v_add_u32_e32 v7, 0x3e0, v13
	v_add_u32_e32 v195, 0, v13
	s_mov_b64 s[10:11], 0
.LBB61_603:                             ; =>This Inner Loop Header: Depth=1
	scratch_load_dwordx4 v[196:199], v195, off
	ds_read_b128 v[200:203], v7
	v_add_u32_e32 v6, -1, v6
	v_cmp_eq_u32_e32 vcc, 0, v6
	v_add_u32_e32 v7, 16, v7
	v_add_u32_e32 v195, 16, v195
	s_or_b64 s[10:11], vcc, s[10:11]
	s_waitcnt vmcnt(0) lgkmcnt(0)
	v_mul_f64 v[22:23], v[202:203], v[198:199]
	v_mul_f64 v[24:25], v[200:201], v[198:199]
	v_fma_f64 v[22:23], v[200:201], v[196:197], -v[22:23]
	v_fmac_f64_e32 v[24:25], v[202:203], v[196:197]
	v_add_f64 v[2:3], v[2:3], v[22:23]
	v_add_f64 v[4:5], v[4:5], v[24:25]
	s_andn2_b64 exec, exec, s[10:11]
	s_cbranch_execnz .LBB61_603
; %bb.604:
	s_or_b64 exec, exec, s[10:11]
.LBB61_605:
	s_or_b64 exec, exec, s[0:1]
.LBB61_606:
	s_or_b64 exec, exec, s[8:9]
	v_mov_b32_e32 v6, 0
	ds_read_b128 v[196:199], v6 offset:272
	s_waitcnt lgkmcnt(0)
	v_mul_f64 v[6:7], v[4:5], v[198:199]
	v_mul_f64 v[200:201], v[2:3], v[198:199]
	v_fma_f64 v[198:199], v[2:3], v[196:197], -v[6:7]
	v_fmac_f64_e32 v[200:201], v[4:5], v[196:197]
	scratch_store_dwordx4 off, v[198:201], off offset:272
.LBB61_607:
	s_or_b64 exec, exec, s[4:5]
	scratch_load_dwordx4 v[2:5], v179, off
	v_cmp_lt_u32_e64 s[0:1], 16, v0
	s_waitcnt vmcnt(0)
	ds_write_b128 v9, v[2:5]
	s_waitcnt lgkmcnt(0)
	; wave barrier
	s_waitcnt lgkmcnt(0)
	s_and_saveexec_b64 s[4:5], s[0:1]
	s_cbranch_execz .LBB61_621
; %bb.608:
	ds_read_b128 v[2:5], v9
	s_andn2_b64 vcc, exec, s[6:7]
	s_cbranch_vccnz .LBB61_610
; %bb.609:
	scratch_load_dwordx4 v[196:199], v8, off
	s_waitcnt vmcnt(0) lgkmcnt(0)
	v_mul_f64 v[22:23], v[2:3], v[198:199]
	v_mul_f64 v[6:7], v[4:5], v[198:199]
	v_fmac_f64_e32 v[22:23], v[4:5], v[196:197]
	v_fma_f64 v[2:3], v[2:3], v[196:197], -v[6:7]
	v_mov_b64_e32 v[4:5], v[22:23]
.LBB61_610:
	s_and_saveexec_b64 s[8:9], s[2:3]
	s_cbranch_execz .LBB61_620
; %bb.611:
	v_subrev_u32_e32 v7, 18, v0
	v_subrev_u32_e32 v6, 17, v0
	v_cmp_lt_u32_e32 vcc, 6, v7
	v_mov_b32_e32 v196, 17
	s_and_saveexec_b64 s[2:3], vcc
	s_cbranch_execz .LBB61_615
; %bb.612:
	v_and_b32_e32 v7, -8, v6
	s_mov_b32 s12, 0
	s_mov_b64 s[10:11], 0
	v_mov_b32_e32 v195, 0
	s_mov_b32 s13, 0
.LBB61_613:                             ; =>This Inner Loop Header: Depth=1
	v_readfirstlane_b32 s14, v195
	s_add_i32 s14, s14, s12
	s_add_i32 s15, s14, 0x110
	v_mov_b32_e32 v13, s12
	ds_read_b128 v[196:199], v13 offset:1264
	ds_read_b128 v[200:203], v13 offset:1280
	;; [unrolled: 1-line block ×4, first 2 shown]
	scratch_load_dwordx4 v[212:215], off, s15
	s_add_i32 s15, s14, 0x120
	s_addk_i32 s12, 0x80
	s_waitcnt vmcnt(0) lgkmcnt(3)
	v_mul_f64 v[22:23], v[198:199], v[214:215]
	v_mul_f64 v[24:25], v[196:197], v[214:215]
	v_fma_f64 v[22:23], v[196:197], v[212:213], -v[22:23]
	v_fmac_f64_e32 v[24:25], v[198:199], v[212:213]
	v_add_f64 v[22:23], v[2:3], v[22:23]
	v_add_f64 v[24:25], v[4:5], v[24:25]
	scratch_load_dwordx4 v[2:5], off, s15
	s_add_i32 s15, s14, 0x130
	s_waitcnt vmcnt(0) lgkmcnt(2)
	v_mul_f64 v[32:33], v[202:203], v[4:5]
	v_mul_f64 v[4:5], v[200:201], v[4:5]
	v_fmac_f64_e32 v[4:5], v[202:203], v[2:3]
	v_fma_f64 v[32:33], v[200:201], v[2:3], -v[32:33]
	v_add_f64 v[24:25], v[24:25], v[4:5]
	scratch_load_dwordx4 v[2:5], off, s15
	v_add_f64 v[22:23], v[22:23], v[32:33]
	s_add_i32 s15, s14, 0x140
	s_waitcnt vmcnt(0) lgkmcnt(1)
	v_mul_f64 v[32:33], v[206:207], v[4:5]
	v_mul_f64 v[4:5], v[204:205], v[4:5]
	v_fmac_f64_e32 v[4:5], v[206:207], v[2:3]
	v_fma_f64 v[32:33], v[204:205], v[2:3], -v[32:33]
	v_add_f64 v[24:25], v[24:25], v[4:5]
	scratch_load_dwordx4 v[2:5], off, s15
	s_add_i32 s15, s14, 0x150
	scratch_load_dwordx4 v[196:199], off, s15
	v_add_f64 v[22:23], v[22:23], v[32:33]
	s_add_i32 s15, s14, 0x160
	s_waitcnt vmcnt(1) lgkmcnt(0)
	v_mul_f64 v[32:33], v[210:211], v[4:5]
	v_mul_f64 v[4:5], v[208:209], v[4:5]
	v_fmac_f64_e32 v[4:5], v[210:211], v[2:3]
	v_fma_f64 v[32:33], v[208:209], v[2:3], -v[32:33]
	v_add_f64 v[24:25], v[24:25], v[4:5]
	ds_read_b128 v[2:5], v13 offset:1328
	v_add_f64 v[22:23], v[22:23], v[32:33]
	s_waitcnt vmcnt(0) lgkmcnt(0)
	v_mul_f64 v[32:33], v[4:5], v[198:199]
	v_fma_f64 v[32:33], v[2:3], v[196:197], -v[32:33]
	v_mul_f64 v[2:3], v[2:3], v[198:199]
	v_fmac_f64_e32 v[2:3], v[4:5], v[196:197]
	scratch_load_dwordx4 v[196:199], off, s15
	v_add_f64 v[24:25], v[24:25], v[2:3]
	ds_read_b128 v[2:5], v13 offset:1344
	v_add_f64 v[22:23], v[22:23], v[32:33]
	s_add_i32 s15, s14, 0x170
	s_addk_i32 s14, 0x180
	s_waitcnt vmcnt(0) lgkmcnt(0)
	v_mul_f64 v[32:33], v[4:5], v[198:199]
	v_fma_f64 v[32:33], v[2:3], v[196:197], -v[32:33]
	v_mul_f64 v[2:3], v[2:3], v[198:199]
	v_fmac_f64_e32 v[2:3], v[4:5], v[196:197]
	scratch_load_dwordx4 v[196:199], off, s15
	v_add_f64 v[24:25], v[24:25], v[2:3]
	ds_read_b128 v[2:5], v13 offset:1360
	v_add_f64 v[22:23], v[22:23], v[32:33]
	s_waitcnt vmcnt(0) lgkmcnt(0)
	v_mul_f64 v[32:33], v[4:5], v[198:199]
	v_fma_f64 v[32:33], v[2:3], v[196:197], -v[32:33]
	v_mul_f64 v[2:3], v[2:3], v[198:199]
	v_fmac_f64_e32 v[2:3], v[4:5], v[196:197]
	scratch_load_dwordx4 v[196:199], off, s14
	v_add_f64 v[24:25], v[24:25], v[2:3]
	ds_read_b128 v[2:5], v13 offset:1376
	v_add_f64 v[22:23], v[22:23], v[32:33]
	s_add_i32 s14, s13, 8
	v_cmp_eq_u32_e32 vcc, s14, v7
	s_add_i32 s13, s13, 25
	s_or_b64 s[10:11], vcc, s[10:11]
	s_waitcnt vmcnt(0) lgkmcnt(0)
	v_mul_f64 v[32:33], v[4:5], v[198:199]
	v_mul_f64 v[138:139], v[2:3], v[198:199]
	v_fma_f64 v[32:33], v[2:3], v[196:197], -v[32:33]
	v_fmac_f64_e32 v[138:139], v[4:5], v[196:197]
	v_add_f64 v[2:3], v[22:23], v[32:33]
	v_add_f64 v[4:5], v[24:25], v[138:139]
	v_mov_b32_e32 v196, s13
	s_mov_b32 s13, s14
	s_andn2_b64 exec, exec, s[10:11]
	s_cbranch_execnz .LBB61_613
; %bb.614:
	s_or_b64 exec, exec, s[10:11]
.LBB61_615:
	s_or_b64 exec, exec, s[2:3]
	v_and_b32_e32 v6, 7, v6
	v_cmp_ne_u32_e32 vcc, 0, v6
	s_and_saveexec_b64 s[2:3], vcc
	s_cbranch_execz .LBB61_619
; %bb.616:
	v_lshlrev_b32_e32 v13, 4, v196
	v_add_u32_e32 v7, 0x3e0, v13
	v_add_u32_e32 v195, 0, v13
	s_mov_b64 s[10:11], 0
.LBB61_617:                             ; =>This Inner Loop Header: Depth=1
	scratch_load_dwordx4 v[196:199], v195, off
	ds_read_b128 v[200:203], v7
	v_add_u32_e32 v6, -1, v6
	v_cmp_eq_u32_e32 vcc, 0, v6
	v_add_u32_e32 v7, 16, v7
	v_add_u32_e32 v195, 16, v195
	s_or_b64 s[10:11], vcc, s[10:11]
	s_waitcnt vmcnt(0) lgkmcnt(0)
	v_mul_f64 v[22:23], v[202:203], v[198:199]
	v_mul_f64 v[24:25], v[200:201], v[198:199]
	v_fma_f64 v[22:23], v[200:201], v[196:197], -v[22:23]
	v_fmac_f64_e32 v[24:25], v[202:203], v[196:197]
	v_add_f64 v[2:3], v[2:3], v[22:23]
	v_add_f64 v[4:5], v[4:5], v[24:25]
	s_andn2_b64 exec, exec, s[10:11]
	s_cbranch_execnz .LBB61_617
; %bb.618:
	s_or_b64 exec, exec, s[10:11]
.LBB61_619:
	s_or_b64 exec, exec, s[2:3]
.LBB61_620:
	s_or_b64 exec, exec, s[8:9]
	v_mov_b32_e32 v6, 0
	ds_read_b128 v[196:199], v6 offset:256
	s_waitcnt lgkmcnt(0)
	v_mul_f64 v[6:7], v[4:5], v[198:199]
	v_mul_f64 v[200:201], v[2:3], v[198:199]
	v_fma_f64 v[198:199], v[2:3], v[196:197], -v[6:7]
	v_fmac_f64_e32 v[200:201], v[4:5], v[196:197]
	scratch_store_dwordx4 off, v[198:201], off offset:256
.LBB61_621:
	s_or_b64 exec, exec, s[4:5]
	scratch_load_dwordx4 v[2:5], v180, off
	v_cmp_lt_u32_e64 s[2:3], 15, v0
	s_waitcnt vmcnt(0)
	ds_write_b128 v9, v[2:5]
	s_waitcnt lgkmcnt(0)
	; wave barrier
	s_waitcnt lgkmcnt(0)
	s_and_saveexec_b64 s[4:5], s[2:3]
	s_cbranch_execz .LBB61_635
; %bb.622:
	ds_read_b128 v[2:5], v9
	s_andn2_b64 vcc, exec, s[6:7]
	s_cbranch_vccnz .LBB61_624
; %bb.623:
	scratch_load_dwordx4 v[196:199], v8, off
	s_waitcnt vmcnt(0) lgkmcnt(0)
	v_mul_f64 v[22:23], v[2:3], v[198:199]
	v_mul_f64 v[6:7], v[4:5], v[198:199]
	v_fmac_f64_e32 v[22:23], v[4:5], v[196:197]
	v_fma_f64 v[2:3], v[2:3], v[196:197], -v[6:7]
	v_mov_b64_e32 v[4:5], v[22:23]
.LBB61_624:
	s_and_saveexec_b64 s[8:9], s[0:1]
	s_cbranch_execz .LBB61_634
; %bb.625:
	v_subrev_u32_e32 v6, 17, v0
	v_cmp_lt_u32_e32 vcc, 6, v6
	v_mov_b32_e32 v6, 16
	s_and_saveexec_b64 s[0:1], vcc
	s_cbranch_execz .LBB61_629
; %bb.626:
	v_and_b32_e32 v6, 56, v0
	s_mov_b32 s12, 16
	s_mov_b32 s13, 0
	s_mov_b64 s[10:11], 0
	v_mov_b32_e32 v7, 0
.LBB61_627:                             ; =>This Inner Loop Header: Depth=1
	s_nop 0
	v_readfirstlane_b32 s14, v7
	s_add_i32 s14, s14, s13
	s_add_i32 s15, s14, 0x100
	v_mov_b32_e32 v13, s13
	ds_read_b128 v[196:199], v13 offset:1248
	ds_read_b128 v[200:203], v13 offset:1264
	ds_read_b128 v[204:207], v13 offset:1280
	ds_read_b128 v[208:211], v13 offset:1296
	scratch_load_dwordx4 v[212:215], off, s15
	s_add_i32 s15, s14, 0x110
	s_add_i32 s12, s12, 8
	s_addk_i32 s13, 0x80
	v_cmp_eq_u32_e32 vcc, s12, v6
	s_waitcnt vmcnt(0) lgkmcnt(3)
	v_mul_f64 v[22:23], v[198:199], v[214:215]
	v_mul_f64 v[24:25], v[196:197], v[214:215]
	v_fma_f64 v[22:23], v[196:197], v[212:213], -v[22:23]
	v_fmac_f64_e32 v[24:25], v[198:199], v[212:213]
	v_add_f64 v[22:23], v[2:3], v[22:23]
	v_add_f64 v[24:25], v[4:5], v[24:25]
	scratch_load_dwordx4 v[2:5], off, s15
	s_add_i32 s15, s14, 0x120
	s_waitcnt vmcnt(0) lgkmcnt(2)
	v_mul_f64 v[32:33], v[202:203], v[4:5]
	v_mul_f64 v[4:5], v[200:201], v[4:5]
	v_fmac_f64_e32 v[4:5], v[202:203], v[2:3]
	v_fma_f64 v[32:33], v[200:201], v[2:3], -v[32:33]
	v_add_f64 v[24:25], v[24:25], v[4:5]
	scratch_load_dwordx4 v[2:5], off, s15
	v_add_f64 v[22:23], v[22:23], v[32:33]
	s_add_i32 s15, s14, 0x130
	s_waitcnt vmcnt(0) lgkmcnt(1)
	v_mul_f64 v[32:33], v[206:207], v[4:5]
	v_mul_f64 v[4:5], v[204:205], v[4:5]
	v_fmac_f64_e32 v[4:5], v[206:207], v[2:3]
	v_fma_f64 v[32:33], v[204:205], v[2:3], -v[32:33]
	v_add_f64 v[24:25], v[24:25], v[4:5]
	scratch_load_dwordx4 v[2:5], off, s15
	s_add_i32 s15, s14, 0x140
	scratch_load_dwordx4 v[196:199], off, s15
	v_add_f64 v[22:23], v[22:23], v[32:33]
	s_add_i32 s15, s14, 0x150
	s_waitcnt vmcnt(1) lgkmcnt(0)
	v_mul_f64 v[32:33], v[210:211], v[4:5]
	v_mul_f64 v[4:5], v[208:209], v[4:5]
	v_fmac_f64_e32 v[4:5], v[210:211], v[2:3]
	v_fma_f64 v[32:33], v[208:209], v[2:3], -v[32:33]
	v_add_f64 v[24:25], v[24:25], v[4:5]
	ds_read_b128 v[2:5], v13 offset:1312
	v_add_f64 v[22:23], v[22:23], v[32:33]
	s_waitcnt vmcnt(0) lgkmcnt(0)
	v_mul_f64 v[32:33], v[4:5], v[198:199]
	v_fma_f64 v[32:33], v[2:3], v[196:197], -v[32:33]
	v_mul_f64 v[2:3], v[2:3], v[198:199]
	v_fmac_f64_e32 v[2:3], v[4:5], v[196:197]
	scratch_load_dwordx4 v[196:199], off, s15
	v_add_f64 v[24:25], v[24:25], v[2:3]
	ds_read_b128 v[2:5], v13 offset:1328
	v_add_f64 v[22:23], v[22:23], v[32:33]
	s_add_i32 s15, s14, 0x160
	s_addk_i32 s14, 0x170
	s_or_b64 s[10:11], vcc, s[10:11]
	s_waitcnt vmcnt(0) lgkmcnt(0)
	v_mul_f64 v[32:33], v[4:5], v[198:199]
	v_fma_f64 v[32:33], v[2:3], v[196:197], -v[32:33]
	v_mul_f64 v[2:3], v[2:3], v[198:199]
	v_fmac_f64_e32 v[2:3], v[4:5], v[196:197]
	scratch_load_dwordx4 v[196:199], off, s15
	v_add_f64 v[24:25], v[24:25], v[2:3]
	ds_read_b128 v[2:5], v13 offset:1344
	v_add_f64 v[22:23], v[22:23], v[32:33]
	s_waitcnt vmcnt(0) lgkmcnt(0)
	v_mul_f64 v[32:33], v[4:5], v[198:199]
	v_fma_f64 v[32:33], v[2:3], v[196:197], -v[32:33]
	v_mul_f64 v[2:3], v[2:3], v[198:199]
	v_fmac_f64_e32 v[2:3], v[4:5], v[196:197]
	scratch_load_dwordx4 v[196:199], off, s14
	v_add_f64 v[24:25], v[24:25], v[2:3]
	ds_read_b128 v[2:5], v13 offset:1360
	v_add_f64 v[22:23], v[22:23], v[32:33]
	s_waitcnt vmcnt(0) lgkmcnt(0)
	v_mul_f64 v[32:33], v[4:5], v[198:199]
	v_mul_f64 v[138:139], v[2:3], v[198:199]
	v_fma_f64 v[32:33], v[2:3], v[196:197], -v[32:33]
	v_fmac_f64_e32 v[138:139], v[4:5], v[196:197]
	v_add_f64 v[2:3], v[22:23], v[32:33]
	v_add_f64 v[4:5], v[24:25], v[138:139]
	s_andn2_b64 exec, exec, s[10:11]
	s_cbranch_execnz .LBB61_627
; %bb.628:
	s_or_b64 exec, exec, s[10:11]
.LBB61_629:
	s_or_b64 exec, exec, s[0:1]
	v_and_b32_e32 v7, 7, v0
	v_cmp_ne_u32_e32 vcc, 0, v7
	s_and_saveexec_b64 s[0:1], vcc
	s_cbranch_execz .LBB61_633
; %bb.630:
	v_lshlrev_b32_e32 v13, 4, v6
	v_add_u32_e32 v6, 0x3e0, v13
	v_add_u32_e32 v195, 0, v13
	s_mov_b64 s[10:11], 0
.LBB61_631:                             ; =>This Inner Loop Header: Depth=1
	scratch_load_dwordx4 v[196:199], v195, off
	ds_read_b128 v[200:203], v6
	v_add_u32_e32 v7, -1, v7
	v_cmp_eq_u32_e32 vcc, 0, v7
	v_add_u32_e32 v6, 16, v6
	v_add_u32_e32 v195, 16, v195
	s_or_b64 s[10:11], vcc, s[10:11]
	s_waitcnt vmcnt(0) lgkmcnt(0)
	v_mul_f64 v[22:23], v[202:203], v[198:199]
	v_mul_f64 v[24:25], v[200:201], v[198:199]
	v_fma_f64 v[22:23], v[200:201], v[196:197], -v[22:23]
	v_fmac_f64_e32 v[24:25], v[202:203], v[196:197]
	v_add_f64 v[2:3], v[2:3], v[22:23]
	v_add_f64 v[4:5], v[4:5], v[24:25]
	s_andn2_b64 exec, exec, s[10:11]
	s_cbranch_execnz .LBB61_631
; %bb.632:
	s_or_b64 exec, exec, s[10:11]
.LBB61_633:
	s_or_b64 exec, exec, s[0:1]
.LBB61_634:
	s_or_b64 exec, exec, s[8:9]
	v_mov_b32_e32 v6, 0
	ds_read_b128 v[196:199], v6 offset:240
	s_waitcnt lgkmcnt(0)
	v_mul_f64 v[6:7], v[4:5], v[198:199]
	v_mul_f64 v[200:201], v[2:3], v[198:199]
	v_fma_f64 v[198:199], v[2:3], v[196:197], -v[6:7]
	v_fmac_f64_e32 v[200:201], v[4:5], v[196:197]
	scratch_store_dwordx4 off, v[198:201], off offset:240
.LBB61_635:
	s_or_b64 exec, exec, s[4:5]
	scratch_load_dwordx4 v[2:5], v181, off
	v_cmp_lt_u32_e64 s[0:1], 14, v0
	s_waitcnt vmcnt(0)
	ds_write_b128 v9, v[2:5]
	s_waitcnt lgkmcnt(0)
	; wave barrier
	s_waitcnt lgkmcnt(0)
	s_and_saveexec_b64 s[4:5], s[0:1]
	s_cbranch_execz .LBB61_649
; %bb.636:
	ds_read_b128 v[2:5], v9
	s_andn2_b64 vcc, exec, s[6:7]
	s_cbranch_vccnz .LBB61_638
; %bb.637:
	scratch_load_dwordx4 v[196:199], v8, off
	s_waitcnt vmcnt(0) lgkmcnt(0)
	v_mul_f64 v[22:23], v[2:3], v[198:199]
	v_mul_f64 v[6:7], v[4:5], v[198:199]
	v_fmac_f64_e32 v[22:23], v[4:5], v[196:197]
	v_fma_f64 v[2:3], v[2:3], v[196:197], -v[6:7]
	v_mov_b64_e32 v[4:5], v[22:23]
.LBB61_638:
	s_and_saveexec_b64 s[8:9], s[2:3]
	s_cbranch_execz .LBB61_648
; %bb.639:
	v_add_u32_e32 v7, -16, v0
	v_add_u32_e32 v6, -15, v0
	v_cmp_lt_u32_e32 vcc, 6, v7
	v_mov_b32_e32 v196, 15
	s_and_saveexec_b64 s[2:3], vcc
	s_cbranch_execz .LBB61_643
; %bb.640:
	v_and_b32_e32 v7, -8, v6
	s_mov_b32 s12, 0
	s_mov_b64 s[10:11], 0
	v_mov_b32_e32 v195, 0
	s_mov_b32 s13, 0
.LBB61_641:                             ; =>This Inner Loop Header: Depth=1
	v_readfirstlane_b32 s14, v195
	s_add_i32 s14, s14, s12
	s_add_i32 s15, s14, 0xf0
	v_mov_b32_e32 v13, s12
	ds_read_b128 v[196:199], v13 offset:1232
	ds_read_b128 v[200:203], v13 offset:1248
	;; [unrolled: 1-line block ×4, first 2 shown]
	scratch_load_dwordx4 v[212:215], off, s15
	s_add_i32 s15, s14, 0x100
	s_addk_i32 s12, 0x80
	s_waitcnt vmcnt(0) lgkmcnt(3)
	v_mul_f64 v[22:23], v[198:199], v[214:215]
	v_mul_f64 v[24:25], v[196:197], v[214:215]
	v_fma_f64 v[22:23], v[196:197], v[212:213], -v[22:23]
	v_fmac_f64_e32 v[24:25], v[198:199], v[212:213]
	v_add_f64 v[22:23], v[2:3], v[22:23]
	v_add_f64 v[24:25], v[4:5], v[24:25]
	scratch_load_dwordx4 v[2:5], off, s15
	s_add_i32 s15, s14, 0x110
	s_waitcnt vmcnt(0) lgkmcnt(2)
	v_mul_f64 v[32:33], v[202:203], v[4:5]
	v_mul_f64 v[4:5], v[200:201], v[4:5]
	v_fmac_f64_e32 v[4:5], v[202:203], v[2:3]
	v_fma_f64 v[32:33], v[200:201], v[2:3], -v[32:33]
	v_add_f64 v[24:25], v[24:25], v[4:5]
	scratch_load_dwordx4 v[2:5], off, s15
	v_add_f64 v[22:23], v[22:23], v[32:33]
	s_add_i32 s15, s14, 0x120
	s_waitcnt vmcnt(0) lgkmcnt(1)
	v_mul_f64 v[32:33], v[206:207], v[4:5]
	v_mul_f64 v[4:5], v[204:205], v[4:5]
	v_fmac_f64_e32 v[4:5], v[206:207], v[2:3]
	v_fma_f64 v[32:33], v[204:205], v[2:3], -v[32:33]
	v_add_f64 v[24:25], v[24:25], v[4:5]
	scratch_load_dwordx4 v[2:5], off, s15
	s_add_i32 s15, s14, 0x130
	scratch_load_dwordx4 v[196:199], off, s15
	v_add_f64 v[22:23], v[22:23], v[32:33]
	s_add_i32 s15, s14, 0x140
	s_waitcnt vmcnt(1) lgkmcnt(0)
	v_mul_f64 v[32:33], v[210:211], v[4:5]
	v_mul_f64 v[4:5], v[208:209], v[4:5]
	v_fmac_f64_e32 v[4:5], v[210:211], v[2:3]
	v_fma_f64 v[32:33], v[208:209], v[2:3], -v[32:33]
	v_add_f64 v[24:25], v[24:25], v[4:5]
	ds_read_b128 v[2:5], v13 offset:1296
	v_add_f64 v[22:23], v[22:23], v[32:33]
	s_waitcnt vmcnt(0) lgkmcnt(0)
	v_mul_f64 v[32:33], v[4:5], v[198:199]
	v_fma_f64 v[32:33], v[2:3], v[196:197], -v[32:33]
	v_mul_f64 v[2:3], v[2:3], v[198:199]
	v_fmac_f64_e32 v[2:3], v[4:5], v[196:197]
	scratch_load_dwordx4 v[196:199], off, s15
	v_add_f64 v[24:25], v[24:25], v[2:3]
	ds_read_b128 v[2:5], v13 offset:1312
	v_add_f64 v[22:23], v[22:23], v[32:33]
	s_add_i32 s15, s14, 0x150
	s_addk_i32 s14, 0x160
	s_waitcnt vmcnt(0) lgkmcnt(0)
	v_mul_f64 v[32:33], v[4:5], v[198:199]
	v_fma_f64 v[32:33], v[2:3], v[196:197], -v[32:33]
	v_mul_f64 v[2:3], v[2:3], v[198:199]
	v_fmac_f64_e32 v[2:3], v[4:5], v[196:197]
	scratch_load_dwordx4 v[196:199], off, s15
	v_add_f64 v[24:25], v[24:25], v[2:3]
	ds_read_b128 v[2:5], v13 offset:1328
	v_add_f64 v[22:23], v[22:23], v[32:33]
	s_waitcnt vmcnt(0) lgkmcnt(0)
	v_mul_f64 v[32:33], v[4:5], v[198:199]
	v_fma_f64 v[32:33], v[2:3], v[196:197], -v[32:33]
	v_mul_f64 v[2:3], v[2:3], v[198:199]
	v_fmac_f64_e32 v[2:3], v[4:5], v[196:197]
	scratch_load_dwordx4 v[196:199], off, s14
	v_add_f64 v[24:25], v[24:25], v[2:3]
	ds_read_b128 v[2:5], v13 offset:1344
	v_add_f64 v[22:23], v[22:23], v[32:33]
	s_add_i32 s14, s13, 8
	v_cmp_eq_u32_e32 vcc, s14, v7
	s_add_i32 s13, s13, 23
	s_or_b64 s[10:11], vcc, s[10:11]
	s_waitcnt vmcnt(0) lgkmcnt(0)
	v_mul_f64 v[32:33], v[4:5], v[198:199]
	v_mul_f64 v[138:139], v[2:3], v[198:199]
	v_fma_f64 v[32:33], v[2:3], v[196:197], -v[32:33]
	v_fmac_f64_e32 v[138:139], v[4:5], v[196:197]
	v_add_f64 v[2:3], v[22:23], v[32:33]
	v_add_f64 v[4:5], v[24:25], v[138:139]
	v_mov_b32_e32 v196, s13
	s_mov_b32 s13, s14
	s_andn2_b64 exec, exec, s[10:11]
	s_cbranch_execnz .LBB61_641
; %bb.642:
	s_or_b64 exec, exec, s[10:11]
.LBB61_643:
	s_or_b64 exec, exec, s[2:3]
	v_and_b32_e32 v6, 7, v6
	v_cmp_ne_u32_e32 vcc, 0, v6
	s_and_saveexec_b64 s[2:3], vcc
	s_cbranch_execz .LBB61_647
; %bb.644:
	v_lshlrev_b32_e32 v13, 4, v196
	v_add_u32_e32 v7, 0x3e0, v13
	v_add_u32_e32 v195, 0, v13
	s_mov_b64 s[10:11], 0
.LBB61_645:                             ; =>This Inner Loop Header: Depth=1
	scratch_load_dwordx4 v[196:199], v195, off
	ds_read_b128 v[200:203], v7
	v_add_u32_e32 v6, -1, v6
	v_cmp_eq_u32_e32 vcc, 0, v6
	v_add_u32_e32 v7, 16, v7
	v_add_u32_e32 v195, 16, v195
	s_or_b64 s[10:11], vcc, s[10:11]
	s_waitcnt vmcnt(0) lgkmcnt(0)
	v_mul_f64 v[22:23], v[202:203], v[198:199]
	v_mul_f64 v[24:25], v[200:201], v[198:199]
	v_fma_f64 v[22:23], v[200:201], v[196:197], -v[22:23]
	v_fmac_f64_e32 v[24:25], v[202:203], v[196:197]
	v_add_f64 v[2:3], v[2:3], v[22:23]
	v_add_f64 v[4:5], v[4:5], v[24:25]
	s_andn2_b64 exec, exec, s[10:11]
	s_cbranch_execnz .LBB61_645
; %bb.646:
	s_or_b64 exec, exec, s[10:11]
.LBB61_647:
	s_or_b64 exec, exec, s[2:3]
.LBB61_648:
	s_or_b64 exec, exec, s[8:9]
	v_mov_b32_e32 v6, 0
	ds_read_b128 v[196:199], v6 offset:224
	s_waitcnt lgkmcnt(0)
	v_mul_f64 v[6:7], v[4:5], v[198:199]
	v_mul_f64 v[200:201], v[2:3], v[198:199]
	v_fma_f64 v[198:199], v[2:3], v[196:197], -v[6:7]
	v_fmac_f64_e32 v[200:201], v[4:5], v[196:197]
	scratch_store_dwordx4 off, v[198:201], off offset:224
.LBB61_649:
	s_or_b64 exec, exec, s[4:5]
	scratch_load_dwordx4 v[2:5], v182, off
	v_cmp_lt_u32_e64 s[2:3], 13, v0
	s_waitcnt vmcnt(0)
	ds_write_b128 v9, v[2:5]
	s_waitcnt lgkmcnt(0)
	; wave barrier
	s_waitcnt lgkmcnt(0)
	s_and_saveexec_b64 s[4:5], s[2:3]
	s_cbranch_execz .LBB61_663
; %bb.650:
	ds_read_b128 v[2:5], v9
	s_andn2_b64 vcc, exec, s[6:7]
	s_cbranch_vccnz .LBB61_652
; %bb.651:
	scratch_load_dwordx4 v[196:199], v8, off
	s_waitcnt vmcnt(0) lgkmcnt(0)
	v_mul_f64 v[22:23], v[2:3], v[198:199]
	v_mul_f64 v[6:7], v[4:5], v[198:199]
	v_fmac_f64_e32 v[22:23], v[4:5], v[196:197]
	v_fma_f64 v[2:3], v[2:3], v[196:197], -v[6:7]
	v_mov_b64_e32 v[4:5], v[22:23]
.LBB61_652:
	s_and_saveexec_b64 s[8:9], s[0:1]
	s_cbranch_execz .LBB61_662
; %bb.653:
	v_add_u32_e32 v7, -15, v0
	v_add_u32_e32 v6, -14, v0
	v_cmp_lt_u32_e32 vcc, 6, v7
	v_mov_b32_e32 v196, 14
	s_and_saveexec_b64 s[0:1], vcc
	s_cbranch_execz .LBB61_657
; %bb.654:
	v_and_b32_e32 v7, -8, v6
	s_mov_b32 s12, 0
	s_mov_b64 s[10:11], 0
	v_mov_b32_e32 v195, 0
	s_mov_b32 s13, 0
.LBB61_655:                             ; =>This Inner Loop Header: Depth=1
	v_readfirstlane_b32 s14, v195
	s_add_i32 s14, s14, s12
	s_add_i32 s15, s14, 0xe0
	v_mov_b32_e32 v13, s12
	ds_read_b128 v[196:199], v13 offset:1216
	ds_read_b128 v[200:203], v13 offset:1232
	ds_read_b128 v[204:207], v13 offset:1248
	ds_read_b128 v[208:211], v13 offset:1264
	scratch_load_dwordx4 v[212:215], off, s15
	s_add_i32 s15, s14, 0xf0
	s_addk_i32 s12, 0x80
	s_waitcnt vmcnt(0) lgkmcnt(3)
	v_mul_f64 v[22:23], v[198:199], v[214:215]
	v_mul_f64 v[24:25], v[196:197], v[214:215]
	v_fma_f64 v[22:23], v[196:197], v[212:213], -v[22:23]
	v_fmac_f64_e32 v[24:25], v[198:199], v[212:213]
	v_add_f64 v[22:23], v[2:3], v[22:23]
	v_add_f64 v[24:25], v[4:5], v[24:25]
	scratch_load_dwordx4 v[2:5], off, s15
	s_add_i32 s15, s14, 0x100
	s_waitcnt vmcnt(0) lgkmcnt(2)
	v_mul_f64 v[32:33], v[202:203], v[4:5]
	v_mul_f64 v[4:5], v[200:201], v[4:5]
	v_fmac_f64_e32 v[4:5], v[202:203], v[2:3]
	v_fma_f64 v[32:33], v[200:201], v[2:3], -v[32:33]
	v_add_f64 v[24:25], v[24:25], v[4:5]
	scratch_load_dwordx4 v[2:5], off, s15
	v_add_f64 v[22:23], v[22:23], v[32:33]
	s_add_i32 s15, s14, 0x110
	s_waitcnt vmcnt(0) lgkmcnt(1)
	v_mul_f64 v[32:33], v[206:207], v[4:5]
	v_mul_f64 v[4:5], v[204:205], v[4:5]
	v_fmac_f64_e32 v[4:5], v[206:207], v[2:3]
	v_fma_f64 v[32:33], v[204:205], v[2:3], -v[32:33]
	v_add_f64 v[24:25], v[24:25], v[4:5]
	scratch_load_dwordx4 v[2:5], off, s15
	s_add_i32 s15, s14, 0x120
	scratch_load_dwordx4 v[196:199], off, s15
	v_add_f64 v[22:23], v[22:23], v[32:33]
	s_add_i32 s15, s14, 0x130
	s_waitcnt vmcnt(1) lgkmcnt(0)
	v_mul_f64 v[32:33], v[210:211], v[4:5]
	v_mul_f64 v[4:5], v[208:209], v[4:5]
	v_fmac_f64_e32 v[4:5], v[210:211], v[2:3]
	v_fma_f64 v[32:33], v[208:209], v[2:3], -v[32:33]
	v_add_f64 v[24:25], v[24:25], v[4:5]
	ds_read_b128 v[2:5], v13 offset:1280
	v_add_f64 v[22:23], v[22:23], v[32:33]
	s_waitcnt vmcnt(0) lgkmcnt(0)
	v_mul_f64 v[32:33], v[4:5], v[198:199]
	v_fma_f64 v[32:33], v[2:3], v[196:197], -v[32:33]
	v_mul_f64 v[2:3], v[2:3], v[198:199]
	v_fmac_f64_e32 v[2:3], v[4:5], v[196:197]
	scratch_load_dwordx4 v[196:199], off, s15
	v_add_f64 v[24:25], v[24:25], v[2:3]
	ds_read_b128 v[2:5], v13 offset:1296
	v_add_f64 v[22:23], v[22:23], v[32:33]
	s_add_i32 s15, s14, 0x140
	s_addk_i32 s14, 0x150
	s_waitcnt vmcnt(0) lgkmcnt(0)
	v_mul_f64 v[32:33], v[4:5], v[198:199]
	v_fma_f64 v[32:33], v[2:3], v[196:197], -v[32:33]
	v_mul_f64 v[2:3], v[2:3], v[198:199]
	v_fmac_f64_e32 v[2:3], v[4:5], v[196:197]
	scratch_load_dwordx4 v[196:199], off, s15
	v_add_f64 v[24:25], v[24:25], v[2:3]
	ds_read_b128 v[2:5], v13 offset:1312
	v_add_f64 v[22:23], v[22:23], v[32:33]
	s_waitcnt vmcnt(0) lgkmcnt(0)
	v_mul_f64 v[32:33], v[4:5], v[198:199]
	v_fma_f64 v[32:33], v[2:3], v[196:197], -v[32:33]
	v_mul_f64 v[2:3], v[2:3], v[198:199]
	v_fmac_f64_e32 v[2:3], v[4:5], v[196:197]
	scratch_load_dwordx4 v[196:199], off, s14
	v_add_f64 v[24:25], v[24:25], v[2:3]
	ds_read_b128 v[2:5], v13 offset:1328
	v_add_f64 v[22:23], v[22:23], v[32:33]
	s_add_i32 s14, s13, 8
	v_cmp_eq_u32_e32 vcc, s14, v7
	s_add_i32 s13, s13, 22
	s_or_b64 s[10:11], vcc, s[10:11]
	s_waitcnt vmcnt(0) lgkmcnt(0)
	v_mul_f64 v[32:33], v[4:5], v[198:199]
	v_mul_f64 v[138:139], v[2:3], v[198:199]
	v_fma_f64 v[32:33], v[2:3], v[196:197], -v[32:33]
	v_fmac_f64_e32 v[138:139], v[4:5], v[196:197]
	v_add_f64 v[2:3], v[22:23], v[32:33]
	v_add_f64 v[4:5], v[24:25], v[138:139]
	v_mov_b32_e32 v196, s13
	s_mov_b32 s13, s14
	s_andn2_b64 exec, exec, s[10:11]
	s_cbranch_execnz .LBB61_655
; %bb.656:
	s_or_b64 exec, exec, s[10:11]
.LBB61_657:
	s_or_b64 exec, exec, s[0:1]
	v_and_b32_e32 v6, 7, v6
	v_cmp_ne_u32_e32 vcc, 0, v6
	s_and_saveexec_b64 s[0:1], vcc
	s_cbranch_execz .LBB61_661
; %bb.658:
	v_lshlrev_b32_e32 v13, 4, v196
	v_add_u32_e32 v7, 0x3e0, v13
	v_add_u32_e32 v195, 0, v13
	s_mov_b64 s[10:11], 0
.LBB61_659:                             ; =>This Inner Loop Header: Depth=1
	scratch_load_dwordx4 v[196:199], v195, off
	ds_read_b128 v[200:203], v7
	v_add_u32_e32 v6, -1, v6
	v_cmp_eq_u32_e32 vcc, 0, v6
	v_add_u32_e32 v7, 16, v7
	v_add_u32_e32 v195, 16, v195
	s_or_b64 s[10:11], vcc, s[10:11]
	s_waitcnt vmcnt(0) lgkmcnt(0)
	v_mul_f64 v[22:23], v[202:203], v[198:199]
	v_mul_f64 v[24:25], v[200:201], v[198:199]
	v_fma_f64 v[22:23], v[200:201], v[196:197], -v[22:23]
	v_fmac_f64_e32 v[24:25], v[202:203], v[196:197]
	v_add_f64 v[2:3], v[2:3], v[22:23]
	v_add_f64 v[4:5], v[4:5], v[24:25]
	s_andn2_b64 exec, exec, s[10:11]
	s_cbranch_execnz .LBB61_659
; %bb.660:
	s_or_b64 exec, exec, s[10:11]
.LBB61_661:
	s_or_b64 exec, exec, s[0:1]
.LBB61_662:
	s_or_b64 exec, exec, s[8:9]
	v_mov_b32_e32 v6, 0
	ds_read_b128 v[196:199], v6 offset:208
	s_waitcnt lgkmcnt(0)
	v_mul_f64 v[6:7], v[4:5], v[198:199]
	v_mul_f64 v[200:201], v[2:3], v[198:199]
	v_fma_f64 v[198:199], v[2:3], v[196:197], -v[6:7]
	v_fmac_f64_e32 v[200:201], v[4:5], v[196:197]
	scratch_store_dwordx4 off, v[198:201], off offset:208
.LBB61_663:
	s_or_b64 exec, exec, s[4:5]
	scratch_load_dwordx4 v[2:5], v183, off
	v_cmp_lt_u32_e64 s[0:1], 12, v0
	s_waitcnt vmcnt(0)
	ds_write_b128 v9, v[2:5]
	s_waitcnt lgkmcnt(0)
	; wave barrier
	s_waitcnt lgkmcnt(0)
	s_and_saveexec_b64 s[4:5], s[0:1]
	s_cbranch_execz .LBB61_677
; %bb.664:
	ds_read_b128 v[2:5], v9
	s_andn2_b64 vcc, exec, s[6:7]
	s_cbranch_vccnz .LBB61_666
; %bb.665:
	scratch_load_dwordx4 v[196:199], v8, off
	s_waitcnt vmcnt(0) lgkmcnt(0)
	v_mul_f64 v[22:23], v[2:3], v[198:199]
	v_mul_f64 v[6:7], v[4:5], v[198:199]
	v_fmac_f64_e32 v[22:23], v[4:5], v[196:197]
	v_fma_f64 v[2:3], v[2:3], v[196:197], -v[6:7]
	v_mov_b64_e32 v[4:5], v[22:23]
.LBB61_666:
	s_and_saveexec_b64 s[8:9], s[2:3]
	s_cbranch_execz .LBB61_676
; %bb.667:
	v_add_u32_e32 v7, -14, v0
	v_add_u32_e32 v6, -13, v0
	v_cmp_lt_u32_e32 vcc, 6, v7
	v_mov_b32_e32 v196, 13
	s_and_saveexec_b64 s[2:3], vcc
	s_cbranch_execz .LBB61_671
; %bb.668:
	v_and_b32_e32 v7, -8, v6
	s_mov_b32 s12, 0
	s_mov_b64 s[10:11], 0
	v_mov_b32_e32 v195, 0
	s_mov_b32 s13, 0
.LBB61_669:                             ; =>This Inner Loop Header: Depth=1
	v_readfirstlane_b32 s14, v195
	s_add_i32 s14, s14, s12
	s_add_i32 s15, s14, 0xd0
	v_mov_b32_e32 v13, s12
	ds_read_b128 v[196:199], v13 offset:1200
	ds_read_b128 v[200:203], v13 offset:1216
	;; [unrolled: 1-line block ×4, first 2 shown]
	scratch_load_dwordx4 v[212:215], off, s15
	s_add_i32 s15, s14, 0xe0
	s_addk_i32 s12, 0x80
	s_waitcnt vmcnt(0) lgkmcnt(3)
	v_mul_f64 v[22:23], v[198:199], v[214:215]
	v_mul_f64 v[24:25], v[196:197], v[214:215]
	v_fma_f64 v[22:23], v[196:197], v[212:213], -v[22:23]
	v_fmac_f64_e32 v[24:25], v[198:199], v[212:213]
	v_add_f64 v[22:23], v[2:3], v[22:23]
	v_add_f64 v[24:25], v[4:5], v[24:25]
	scratch_load_dwordx4 v[2:5], off, s15
	s_add_i32 s15, s14, 0xf0
	s_waitcnt vmcnt(0) lgkmcnt(2)
	v_mul_f64 v[32:33], v[202:203], v[4:5]
	v_mul_f64 v[4:5], v[200:201], v[4:5]
	v_fmac_f64_e32 v[4:5], v[202:203], v[2:3]
	v_fma_f64 v[32:33], v[200:201], v[2:3], -v[32:33]
	v_add_f64 v[24:25], v[24:25], v[4:5]
	scratch_load_dwordx4 v[2:5], off, s15
	v_add_f64 v[22:23], v[22:23], v[32:33]
	s_add_i32 s15, s14, 0x100
	s_waitcnt vmcnt(0) lgkmcnt(1)
	v_mul_f64 v[32:33], v[206:207], v[4:5]
	v_mul_f64 v[4:5], v[204:205], v[4:5]
	v_fmac_f64_e32 v[4:5], v[206:207], v[2:3]
	v_fma_f64 v[32:33], v[204:205], v[2:3], -v[32:33]
	v_add_f64 v[24:25], v[24:25], v[4:5]
	scratch_load_dwordx4 v[2:5], off, s15
	s_add_i32 s15, s14, 0x110
	scratch_load_dwordx4 v[196:199], off, s15
	v_add_f64 v[22:23], v[22:23], v[32:33]
	s_add_i32 s15, s14, 0x120
	s_waitcnt vmcnt(1) lgkmcnt(0)
	v_mul_f64 v[32:33], v[210:211], v[4:5]
	v_mul_f64 v[4:5], v[208:209], v[4:5]
	v_fmac_f64_e32 v[4:5], v[210:211], v[2:3]
	v_fma_f64 v[32:33], v[208:209], v[2:3], -v[32:33]
	v_add_f64 v[24:25], v[24:25], v[4:5]
	ds_read_b128 v[2:5], v13 offset:1264
	v_add_f64 v[22:23], v[22:23], v[32:33]
	s_waitcnt vmcnt(0) lgkmcnt(0)
	v_mul_f64 v[32:33], v[4:5], v[198:199]
	v_fma_f64 v[32:33], v[2:3], v[196:197], -v[32:33]
	v_mul_f64 v[2:3], v[2:3], v[198:199]
	v_fmac_f64_e32 v[2:3], v[4:5], v[196:197]
	scratch_load_dwordx4 v[196:199], off, s15
	v_add_f64 v[24:25], v[24:25], v[2:3]
	ds_read_b128 v[2:5], v13 offset:1280
	v_add_f64 v[22:23], v[22:23], v[32:33]
	s_add_i32 s15, s14, 0x130
	s_addk_i32 s14, 0x140
	s_waitcnt vmcnt(0) lgkmcnt(0)
	v_mul_f64 v[32:33], v[4:5], v[198:199]
	v_fma_f64 v[32:33], v[2:3], v[196:197], -v[32:33]
	v_mul_f64 v[2:3], v[2:3], v[198:199]
	v_fmac_f64_e32 v[2:3], v[4:5], v[196:197]
	scratch_load_dwordx4 v[196:199], off, s15
	v_add_f64 v[24:25], v[24:25], v[2:3]
	ds_read_b128 v[2:5], v13 offset:1296
	v_add_f64 v[22:23], v[22:23], v[32:33]
	s_waitcnt vmcnt(0) lgkmcnt(0)
	v_mul_f64 v[32:33], v[4:5], v[198:199]
	v_fma_f64 v[32:33], v[2:3], v[196:197], -v[32:33]
	v_mul_f64 v[2:3], v[2:3], v[198:199]
	v_fmac_f64_e32 v[2:3], v[4:5], v[196:197]
	scratch_load_dwordx4 v[196:199], off, s14
	v_add_f64 v[24:25], v[24:25], v[2:3]
	ds_read_b128 v[2:5], v13 offset:1312
	v_add_f64 v[22:23], v[22:23], v[32:33]
	s_add_i32 s14, s13, 8
	v_cmp_eq_u32_e32 vcc, s14, v7
	s_add_i32 s13, s13, 21
	s_or_b64 s[10:11], vcc, s[10:11]
	s_waitcnt vmcnt(0) lgkmcnt(0)
	v_mul_f64 v[32:33], v[4:5], v[198:199]
	v_mul_f64 v[138:139], v[2:3], v[198:199]
	v_fma_f64 v[32:33], v[2:3], v[196:197], -v[32:33]
	v_fmac_f64_e32 v[138:139], v[4:5], v[196:197]
	v_add_f64 v[2:3], v[22:23], v[32:33]
	v_add_f64 v[4:5], v[24:25], v[138:139]
	v_mov_b32_e32 v196, s13
	s_mov_b32 s13, s14
	s_andn2_b64 exec, exec, s[10:11]
	s_cbranch_execnz .LBB61_669
; %bb.670:
	s_or_b64 exec, exec, s[10:11]
.LBB61_671:
	s_or_b64 exec, exec, s[2:3]
	v_and_b32_e32 v6, 7, v6
	v_cmp_ne_u32_e32 vcc, 0, v6
	s_and_saveexec_b64 s[2:3], vcc
	s_cbranch_execz .LBB61_675
; %bb.672:
	v_lshlrev_b32_e32 v13, 4, v196
	v_add_u32_e32 v7, 0x3e0, v13
	v_add_u32_e32 v195, 0, v13
	s_mov_b64 s[10:11], 0
.LBB61_673:                             ; =>This Inner Loop Header: Depth=1
	scratch_load_dwordx4 v[196:199], v195, off
	ds_read_b128 v[200:203], v7
	v_add_u32_e32 v6, -1, v6
	v_cmp_eq_u32_e32 vcc, 0, v6
	v_add_u32_e32 v7, 16, v7
	v_add_u32_e32 v195, 16, v195
	s_or_b64 s[10:11], vcc, s[10:11]
	s_waitcnt vmcnt(0) lgkmcnt(0)
	v_mul_f64 v[22:23], v[202:203], v[198:199]
	v_mul_f64 v[24:25], v[200:201], v[198:199]
	v_fma_f64 v[22:23], v[200:201], v[196:197], -v[22:23]
	v_fmac_f64_e32 v[24:25], v[202:203], v[196:197]
	v_add_f64 v[2:3], v[2:3], v[22:23]
	v_add_f64 v[4:5], v[4:5], v[24:25]
	s_andn2_b64 exec, exec, s[10:11]
	s_cbranch_execnz .LBB61_673
; %bb.674:
	s_or_b64 exec, exec, s[10:11]
.LBB61_675:
	s_or_b64 exec, exec, s[2:3]
.LBB61_676:
	s_or_b64 exec, exec, s[8:9]
	v_mov_b32_e32 v6, 0
	ds_read_b128 v[196:199], v6 offset:192
	s_waitcnt lgkmcnt(0)
	v_mul_f64 v[6:7], v[4:5], v[198:199]
	v_mul_f64 v[200:201], v[2:3], v[198:199]
	v_fma_f64 v[198:199], v[2:3], v[196:197], -v[6:7]
	v_fmac_f64_e32 v[200:201], v[4:5], v[196:197]
	scratch_store_dwordx4 off, v[198:201], off offset:192
.LBB61_677:
	s_or_b64 exec, exec, s[4:5]
	scratch_load_dwordx4 v[2:5], v184, off
	v_cmp_lt_u32_e64 s[2:3], 11, v0
	s_waitcnt vmcnt(0)
	ds_write_b128 v9, v[2:5]
	s_waitcnt lgkmcnt(0)
	; wave barrier
	s_waitcnt lgkmcnt(0)
	s_and_saveexec_b64 s[4:5], s[2:3]
	s_cbranch_execz .LBB61_691
; %bb.678:
	ds_read_b128 v[2:5], v9
	s_andn2_b64 vcc, exec, s[6:7]
	s_cbranch_vccnz .LBB61_680
; %bb.679:
	scratch_load_dwordx4 v[196:199], v8, off
	s_waitcnt vmcnt(0) lgkmcnt(0)
	v_mul_f64 v[22:23], v[2:3], v[198:199]
	v_mul_f64 v[6:7], v[4:5], v[198:199]
	v_fmac_f64_e32 v[22:23], v[4:5], v[196:197]
	v_fma_f64 v[2:3], v[2:3], v[196:197], -v[6:7]
	v_mov_b64_e32 v[4:5], v[22:23]
.LBB61_680:
	s_and_saveexec_b64 s[8:9], s[0:1]
	s_cbranch_execz .LBB61_690
; %bb.681:
	v_add_u32_e32 v7, -13, v0
	v_add_u32_e32 v6, -12, v0
	v_cmp_lt_u32_e32 vcc, 6, v7
	v_mov_b32_e32 v196, 12
	s_and_saveexec_b64 s[0:1], vcc
	s_cbranch_execz .LBB61_685
; %bb.682:
	v_and_b32_e32 v7, -8, v6
	s_mov_b32 s12, 0
	s_mov_b64 s[10:11], 0
	v_mov_b32_e32 v195, 0
	s_mov_b32 s13, 0
.LBB61_683:                             ; =>This Inner Loop Header: Depth=1
	v_readfirstlane_b32 s14, v195
	s_add_i32 s14, s14, s12
	s_add_i32 s15, s14, 0xc0
	v_mov_b32_e32 v13, s12
	ds_read_b128 v[196:199], v13 offset:1184
	ds_read_b128 v[200:203], v13 offset:1200
	ds_read_b128 v[204:207], v13 offset:1216
	ds_read_b128 v[208:211], v13 offset:1232
	scratch_load_dwordx4 v[212:215], off, s15
	s_add_i32 s15, s14, 0xd0
	s_addk_i32 s12, 0x80
	s_waitcnt vmcnt(0) lgkmcnt(3)
	v_mul_f64 v[22:23], v[198:199], v[214:215]
	v_mul_f64 v[24:25], v[196:197], v[214:215]
	v_fma_f64 v[22:23], v[196:197], v[212:213], -v[22:23]
	v_fmac_f64_e32 v[24:25], v[198:199], v[212:213]
	v_add_f64 v[22:23], v[2:3], v[22:23]
	v_add_f64 v[24:25], v[4:5], v[24:25]
	scratch_load_dwordx4 v[2:5], off, s15
	s_add_i32 s15, s14, 0xe0
	s_waitcnt vmcnt(0) lgkmcnt(2)
	v_mul_f64 v[32:33], v[202:203], v[4:5]
	v_mul_f64 v[4:5], v[200:201], v[4:5]
	v_fmac_f64_e32 v[4:5], v[202:203], v[2:3]
	v_fma_f64 v[32:33], v[200:201], v[2:3], -v[32:33]
	v_add_f64 v[24:25], v[24:25], v[4:5]
	scratch_load_dwordx4 v[2:5], off, s15
	v_add_f64 v[22:23], v[22:23], v[32:33]
	s_add_i32 s15, s14, 0xf0
	s_waitcnt vmcnt(0) lgkmcnt(1)
	v_mul_f64 v[32:33], v[206:207], v[4:5]
	v_mul_f64 v[4:5], v[204:205], v[4:5]
	v_fmac_f64_e32 v[4:5], v[206:207], v[2:3]
	v_fma_f64 v[32:33], v[204:205], v[2:3], -v[32:33]
	v_add_f64 v[24:25], v[24:25], v[4:5]
	scratch_load_dwordx4 v[2:5], off, s15
	s_add_i32 s15, s14, 0x100
	scratch_load_dwordx4 v[196:199], off, s15
	v_add_f64 v[22:23], v[22:23], v[32:33]
	s_add_i32 s15, s14, 0x110
	s_waitcnt vmcnt(1) lgkmcnt(0)
	v_mul_f64 v[32:33], v[210:211], v[4:5]
	v_mul_f64 v[4:5], v[208:209], v[4:5]
	v_fmac_f64_e32 v[4:5], v[210:211], v[2:3]
	v_fma_f64 v[32:33], v[208:209], v[2:3], -v[32:33]
	v_add_f64 v[24:25], v[24:25], v[4:5]
	ds_read_b128 v[2:5], v13 offset:1248
	v_add_f64 v[22:23], v[22:23], v[32:33]
	s_waitcnt vmcnt(0) lgkmcnt(0)
	v_mul_f64 v[32:33], v[4:5], v[198:199]
	v_fma_f64 v[32:33], v[2:3], v[196:197], -v[32:33]
	v_mul_f64 v[2:3], v[2:3], v[198:199]
	v_fmac_f64_e32 v[2:3], v[4:5], v[196:197]
	scratch_load_dwordx4 v[196:199], off, s15
	v_add_f64 v[24:25], v[24:25], v[2:3]
	ds_read_b128 v[2:5], v13 offset:1264
	v_add_f64 v[22:23], v[22:23], v[32:33]
	s_add_i32 s15, s14, 0x120
	s_addk_i32 s14, 0x130
	s_waitcnt vmcnt(0) lgkmcnt(0)
	v_mul_f64 v[32:33], v[4:5], v[198:199]
	v_fma_f64 v[32:33], v[2:3], v[196:197], -v[32:33]
	v_mul_f64 v[2:3], v[2:3], v[198:199]
	v_fmac_f64_e32 v[2:3], v[4:5], v[196:197]
	scratch_load_dwordx4 v[196:199], off, s15
	v_add_f64 v[24:25], v[24:25], v[2:3]
	ds_read_b128 v[2:5], v13 offset:1280
	v_add_f64 v[22:23], v[22:23], v[32:33]
	s_waitcnt vmcnt(0) lgkmcnt(0)
	v_mul_f64 v[32:33], v[4:5], v[198:199]
	v_fma_f64 v[32:33], v[2:3], v[196:197], -v[32:33]
	v_mul_f64 v[2:3], v[2:3], v[198:199]
	v_fmac_f64_e32 v[2:3], v[4:5], v[196:197]
	scratch_load_dwordx4 v[196:199], off, s14
	v_add_f64 v[24:25], v[24:25], v[2:3]
	ds_read_b128 v[2:5], v13 offset:1296
	v_add_f64 v[22:23], v[22:23], v[32:33]
	s_add_i32 s14, s13, 8
	v_cmp_eq_u32_e32 vcc, s14, v7
	s_add_i32 s13, s13, 20
	s_or_b64 s[10:11], vcc, s[10:11]
	s_waitcnt vmcnt(0) lgkmcnt(0)
	v_mul_f64 v[32:33], v[4:5], v[198:199]
	v_mul_f64 v[138:139], v[2:3], v[198:199]
	v_fma_f64 v[32:33], v[2:3], v[196:197], -v[32:33]
	v_fmac_f64_e32 v[138:139], v[4:5], v[196:197]
	v_add_f64 v[2:3], v[22:23], v[32:33]
	v_add_f64 v[4:5], v[24:25], v[138:139]
	v_mov_b32_e32 v196, s13
	s_mov_b32 s13, s14
	s_andn2_b64 exec, exec, s[10:11]
	s_cbranch_execnz .LBB61_683
; %bb.684:
	s_or_b64 exec, exec, s[10:11]
.LBB61_685:
	s_or_b64 exec, exec, s[0:1]
	v_and_b32_e32 v6, 7, v6
	v_cmp_ne_u32_e32 vcc, 0, v6
	s_and_saveexec_b64 s[0:1], vcc
	s_cbranch_execz .LBB61_689
; %bb.686:
	v_lshlrev_b32_e32 v13, 4, v196
	v_add_u32_e32 v7, 0x3e0, v13
	v_add_u32_e32 v195, 0, v13
	s_mov_b64 s[10:11], 0
.LBB61_687:                             ; =>This Inner Loop Header: Depth=1
	scratch_load_dwordx4 v[196:199], v195, off
	ds_read_b128 v[200:203], v7
	v_add_u32_e32 v6, -1, v6
	v_cmp_eq_u32_e32 vcc, 0, v6
	v_add_u32_e32 v7, 16, v7
	v_add_u32_e32 v195, 16, v195
	s_or_b64 s[10:11], vcc, s[10:11]
	s_waitcnt vmcnt(0) lgkmcnt(0)
	v_mul_f64 v[22:23], v[202:203], v[198:199]
	v_mul_f64 v[24:25], v[200:201], v[198:199]
	v_fma_f64 v[22:23], v[200:201], v[196:197], -v[22:23]
	v_fmac_f64_e32 v[24:25], v[202:203], v[196:197]
	v_add_f64 v[2:3], v[2:3], v[22:23]
	v_add_f64 v[4:5], v[4:5], v[24:25]
	s_andn2_b64 exec, exec, s[10:11]
	s_cbranch_execnz .LBB61_687
; %bb.688:
	s_or_b64 exec, exec, s[10:11]
.LBB61_689:
	s_or_b64 exec, exec, s[0:1]
.LBB61_690:
	s_or_b64 exec, exec, s[8:9]
	v_mov_b32_e32 v6, 0
	ds_read_b128 v[196:199], v6 offset:176
	s_waitcnt lgkmcnt(0)
	v_mul_f64 v[6:7], v[4:5], v[198:199]
	v_mul_f64 v[200:201], v[2:3], v[198:199]
	v_fma_f64 v[198:199], v[2:3], v[196:197], -v[6:7]
	v_fmac_f64_e32 v[200:201], v[4:5], v[196:197]
	scratch_store_dwordx4 off, v[198:201], off offset:176
.LBB61_691:
	s_or_b64 exec, exec, s[4:5]
	scratch_load_dwordx4 v[2:5], v185, off
	v_cmp_lt_u32_e64 s[0:1], 10, v0
	s_waitcnt vmcnt(0)
	ds_write_b128 v9, v[2:5]
	s_waitcnt lgkmcnt(0)
	; wave barrier
	s_waitcnt lgkmcnt(0)
	s_and_saveexec_b64 s[4:5], s[0:1]
	s_cbranch_execz .LBB61_705
; %bb.692:
	ds_read_b128 v[2:5], v9
	s_andn2_b64 vcc, exec, s[6:7]
	s_cbranch_vccnz .LBB61_694
; %bb.693:
	scratch_load_dwordx4 v[196:199], v8, off
	s_waitcnt vmcnt(0) lgkmcnt(0)
	v_mul_f64 v[22:23], v[2:3], v[198:199]
	v_mul_f64 v[6:7], v[4:5], v[198:199]
	v_fmac_f64_e32 v[22:23], v[4:5], v[196:197]
	v_fma_f64 v[2:3], v[2:3], v[196:197], -v[6:7]
	v_mov_b64_e32 v[4:5], v[22:23]
.LBB61_694:
	s_and_saveexec_b64 s[8:9], s[2:3]
	s_cbranch_execz .LBB61_704
; %bb.695:
	v_add_u32_e32 v7, -12, v0
	v_add_u32_e32 v6, -11, v0
	v_cmp_lt_u32_e32 vcc, 6, v7
	v_mov_b32_e32 v196, 11
	s_and_saveexec_b64 s[2:3], vcc
	s_cbranch_execz .LBB61_699
; %bb.696:
	v_and_b32_e32 v7, -8, v6
	s_mov_b32 s12, 0
	s_mov_b64 s[10:11], 0
	v_mov_b32_e32 v195, 0
	s_mov_b32 s13, 0
.LBB61_697:                             ; =>This Inner Loop Header: Depth=1
	v_readfirstlane_b32 s14, v195
	s_add_i32 s14, s14, s12
	s_add_i32 s15, s14, 0xb0
	v_mov_b32_e32 v13, s12
	ds_read_b128 v[196:199], v13 offset:1168
	ds_read_b128 v[200:203], v13 offset:1184
	;; [unrolled: 1-line block ×4, first 2 shown]
	scratch_load_dwordx4 v[212:215], off, s15
	s_add_i32 s15, s14, 0xc0
	s_addk_i32 s12, 0x80
	s_waitcnt vmcnt(0) lgkmcnt(3)
	v_mul_f64 v[22:23], v[198:199], v[214:215]
	v_mul_f64 v[24:25], v[196:197], v[214:215]
	v_fma_f64 v[22:23], v[196:197], v[212:213], -v[22:23]
	v_fmac_f64_e32 v[24:25], v[198:199], v[212:213]
	v_add_f64 v[22:23], v[2:3], v[22:23]
	v_add_f64 v[24:25], v[4:5], v[24:25]
	scratch_load_dwordx4 v[2:5], off, s15
	s_add_i32 s15, s14, 0xd0
	s_waitcnt vmcnt(0) lgkmcnt(2)
	v_mul_f64 v[32:33], v[202:203], v[4:5]
	v_mul_f64 v[4:5], v[200:201], v[4:5]
	v_fmac_f64_e32 v[4:5], v[202:203], v[2:3]
	v_fma_f64 v[32:33], v[200:201], v[2:3], -v[32:33]
	v_add_f64 v[24:25], v[24:25], v[4:5]
	scratch_load_dwordx4 v[2:5], off, s15
	v_add_f64 v[22:23], v[22:23], v[32:33]
	s_add_i32 s15, s14, 0xe0
	s_waitcnt vmcnt(0) lgkmcnt(1)
	v_mul_f64 v[32:33], v[206:207], v[4:5]
	v_mul_f64 v[4:5], v[204:205], v[4:5]
	v_fmac_f64_e32 v[4:5], v[206:207], v[2:3]
	v_fma_f64 v[32:33], v[204:205], v[2:3], -v[32:33]
	v_add_f64 v[24:25], v[24:25], v[4:5]
	scratch_load_dwordx4 v[2:5], off, s15
	s_add_i32 s15, s14, 0xf0
	scratch_load_dwordx4 v[196:199], off, s15
	v_add_f64 v[22:23], v[22:23], v[32:33]
	s_add_i32 s15, s14, 0x100
	s_waitcnt vmcnt(1) lgkmcnt(0)
	v_mul_f64 v[32:33], v[210:211], v[4:5]
	v_mul_f64 v[4:5], v[208:209], v[4:5]
	v_fmac_f64_e32 v[4:5], v[210:211], v[2:3]
	v_fma_f64 v[32:33], v[208:209], v[2:3], -v[32:33]
	v_add_f64 v[24:25], v[24:25], v[4:5]
	ds_read_b128 v[2:5], v13 offset:1232
	v_add_f64 v[22:23], v[22:23], v[32:33]
	s_waitcnt vmcnt(0) lgkmcnt(0)
	v_mul_f64 v[32:33], v[4:5], v[198:199]
	v_fma_f64 v[32:33], v[2:3], v[196:197], -v[32:33]
	v_mul_f64 v[2:3], v[2:3], v[198:199]
	v_fmac_f64_e32 v[2:3], v[4:5], v[196:197]
	scratch_load_dwordx4 v[196:199], off, s15
	v_add_f64 v[24:25], v[24:25], v[2:3]
	ds_read_b128 v[2:5], v13 offset:1248
	v_add_f64 v[22:23], v[22:23], v[32:33]
	s_add_i32 s15, s14, 0x110
	s_addk_i32 s14, 0x120
	s_waitcnt vmcnt(0) lgkmcnt(0)
	v_mul_f64 v[32:33], v[4:5], v[198:199]
	v_fma_f64 v[32:33], v[2:3], v[196:197], -v[32:33]
	v_mul_f64 v[2:3], v[2:3], v[198:199]
	v_fmac_f64_e32 v[2:3], v[4:5], v[196:197]
	scratch_load_dwordx4 v[196:199], off, s15
	v_add_f64 v[24:25], v[24:25], v[2:3]
	ds_read_b128 v[2:5], v13 offset:1264
	v_add_f64 v[22:23], v[22:23], v[32:33]
	s_waitcnt vmcnt(0) lgkmcnt(0)
	v_mul_f64 v[32:33], v[4:5], v[198:199]
	v_fma_f64 v[32:33], v[2:3], v[196:197], -v[32:33]
	v_mul_f64 v[2:3], v[2:3], v[198:199]
	v_fmac_f64_e32 v[2:3], v[4:5], v[196:197]
	scratch_load_dwordx4 v[196:199], off, s14
	v_add_f64 v[24:25], v[24:25], v[2:3]
	ds_read_b128 v[2:5], v13 offset:1280
	v_add_f64 v[22:23], v[22:23], v[32:33]
	s_add_i32 s14, s13, 8
	v_cmp_eq_u32_e32 vcc, s14, v7
	s_add_i32 s13, s13, 19
	s_or_b64 s[10:11], vcc, s[10:11]
	s_waitcnt vmcnt(0) lgkmcnt(0)
	v_mul_f64 v[32:33], v[4:5], v[198:199]
	v_mul_f64 v[138:139], v[2:3], v[198:199]
	v_fma_f64 v[32:33], v[2:3], v[196:197], -v[32:33]
	v_fmac_f64_e32 v[138:139], v[4:5], v[196:197]
	v_add_f64 v[2:3], v[22:23], v[32:33]
	v_add_f64 v[4:5], v[24:25], v[138:139]
	v_mov_b32_e32 v196, s13
	s_mov_b32 s13, s14
	s_andn2_b64 exec, exec, s[10:11]
	s_cbranch_execnz .LBB61_697
; %bb.698:
	s_or_b64 exec, exec, s[10:11]
.LBB61_699:
	s_or_b64 exec, exec, s[2:3]
	v_and_b32_e32 v6, 7, v6
	v_cmp_ne_u32_e32 vcc, 0, v6
	s_and_saveexec_b64 s[2:3], vcc
	s_cbranch_execz .LBB61_703
; %bb.700:
	v_lshlrev_b32_e32 v13, 4, v196
	v_add_u32_e32 v7, 0x3e0, v13
	v_add_u32_e32 v195, 0, v13
	s_mov_b64 s[10:11], 0
.LBB61_701:                             ; =>This Inner Loop Header: Depth=1
	scratch_load_dwordx4 v[196:199], v195, off
	ds_read_b128 v[200:203], v7
	v_add_u32_e32 v6, -1, v6
	v_cmp_eq_u32_e32 vcc, 0, v6
	v_add_u32_e32 v7, 16, v7
	v_add_u32_e32 v195, 16, v195
	s_or_b64 s[10:11], vcc, s[10:11]
	s_waitcnt vmcnt(0) lgkmcnt(0)
	v_mul_f64 v[22:23], v[202:203], v[198:199]
	v_mul_f64 v[24:25], v[200:201], v[198:199]
	v_fma_f64 v[22:23], v[200:201], v[196:197], -v[22:23]
	v_fmac_f64_e32 v[24:25], v[202:203], v[196:197]
	v_add_f64 v[2:3], v[2:3], v[22:23]
	v_add_f64 v[4:5], v[4:5], v[24:25]
	s_andn2_b64 exec, exec, s[10:11]
	s_cbranch_execnz .LBB61_701
; %bb.702:
	s_or_b64 exec, exec, s[10:11]
.LBB61_703:
	s_or_b64 exec, exec, s[2:3]
.LBB61_704:
	s_or_b64 exec, exec, s[8:9]
	v_mov_b32_e32 v6, 0
	ds_read_b128 v[196:199], v6 offset:160
	s_waitcnt lgkmcnt(0)
	v_mul_f64 v[6:7], v[4:5], v[198:199]
	v_mul_f64 v[200:201], v[2:3], v[198:199]
	v_fma_f64 v[198:199], v[2:3], v[196:197], -v[6:7]
	v_fmac_f64_e32 v[200:201], v[4:5], v[196:197]
	scratch_store_dwordx4 off, v[198:201], off offset:160
.LBB61_705:
	s_or_b64 exec, exec, s[4:5]
	scratch_load_dwordx4 v[2:5], v186, off
	v_cmp_lt_u32_e64 s[2:3], 9, v0
	s_waitcnt vmcnt(0)
	ds_write_b128 v9, v[2:5]
	s_waitcnt lgkmcnt(0)
	; wave barrier
	s_waitcnt lgkmcnt(0)
	s_and_saveexec_b64 s[4:5], s[2:3]
	s_cbranch_execz .LBB61_719
; %bb.706:
	ds_read_b128 v[2:5], v9
	s_andn2_b64 vcc, exec, s[6:7]
	s_cbranch_vccnz .LBB61_708
; %bb.707:
	scratch_load_dwordx4 v[196:199], v8, off
	s_waitcnt vmcnt(0) lgkmcnt(0)
	v_mul_f64 v[22:23], v[2:3], v[198:199]
	v_mul_f64 v[6:7], v[4:5], v[198:199]
	v_fmac_f64_e32 v[22:23], v[4:5], v[196:197]
	v_fma_f64 v[2:3], v[2:3], v[196:197], -v[6:7]
	v_mov_b64_e32 v[4:5], v[22:23]
.LBB61_708:
	s_and_saveexec_b64 s[8:9], s[0:1]
	s_cbranch_execz .LBB61_718
; %bb.709:
	v_add_u32_e32 v7, -11, v0
	v_add_u32_e32 v6, -10, v0
	v_cmp_lt_u32_e32 vcc, 6, v7
	v_mov_b32_e32 v196, 10
	s_and_saveexec_b64 s[0:1], vcc
	s_cbranch_execz .LBB61_713
; %bb.710:
	v_and_b32_e32 v7, -8, v6
	s_mov_b32 s12, 0
	s_mov_b64 s[10:11], 0
	v_mov_b32_e32 v195, 0
	s_mov_b32 s13, 0
.LBB61_711:                             ; =>This Inner Loop Header: Depth=1
	v_readfirstlane_b32 s14, v195
	s_add_i32 s14, s14, s12
	s_add_i32 s15, s14, 0xa0
	v_mov_b32_e32 v13, s12
	ds_read_b128 v[196:199], v13 offset:1152
	ds_read_b128 v[200:203], v13 offset:1168
	;; [unrolled: 1-line block ×4, first 2 shown]
	scratch_load_dwordx4 v[212:215], off, s15
	s_add_i32 s15, s14, 0xb0
	s_addk_i32 s12, 0x80
	s_waitcnt vmcnt(0) lgkmcnt(3)
	v_mul_f64 v[22:23], v[198:199], v[214:215]
	v_mul_f64 v[24:25], v[196:197], v[214:215]
	v_fma_f64 v[22:23], v[196:197], v[212:213], -v[22:23]
	v_fmac_f64_e32 v[24:25], v[198:199], v[212:213]
	v_add_f64 v[22:23], v[2:3], v[22:23]
	v_add_f64 v[24:25], v[4:5], v[24:25]
	scratch_load_dwordx4 v[2:5], off, s15
	s_add_i32 s15, s14, 0xc0
	s_waitcnt vmcnt(0) lgkmcnt(2)
	v_mul_f64 v[32:33], v[202:203], v[4:5]
	v_mul_f64 v[4:5], v[200:201], v[4:5]
	v_fmac_f64_e32 v[4:5], v[202:203], v[2:3]
	v_fma_f64 v[32:33], v[200:201], v[2:3], -v[32:33]
	v_add_f64 v[24:25], v[24:25], v[4:5]
	scratch_load_dwordx4 v[2:5], off, s15
	v_add_f64 v[22:23], v[22:23], v[32:33]
	s_add_i32 s15, s14, 0xd0
	s_waitcnt vmcnt(0) lgkmcnt(1)
	v_mul_f64 v[32:33], v[206:207], v[4:5]
	v_mul_f64 v[4:5], v[204:205], v[4:5]
	v_fmac_f64_e32 v[4:5], v[206:207], v[2:3]
	v_fma_f64 v[32:33], v[204:205], v[2:3], -v[32:33]
	v_add_f64 v[24:25], v[24:25], v[4:5]
	scratch_load_dwordx4 v[2:5], off, s15
	s_add_i32 s15, s14, 0xe0
	scratch_load_dwordx4 v[196:199], off, s15
	v_add_f64 v[22:23], v[22:23], v[32:33]
	s_add_i32 s15, s14, 0xf0
	s_waitcnt vmcnt(1) lgkmcnt(0)
	v_mul_f64 v[32:33], v[210:211], v[4:5]
	v_mul_f64 v[4:5], v[208:209], v[4:5]
	v_fmac_f64_e32 v[4:5], v[210:211], v[2:3]
	v_fma_f64 v[32:33], v[208:209], v[2:3], -v[32:33]
	v_add_f64 v[24:25], v[24:25], v[4:5]
	ds_read_b128 v[2:5], v13 offset:1216
	v_add_f64 v[22:23], v[22:23], v[32:33]
	s_waitcnt vmcnt(0) lgkmcnt(0)
	v_mul_f64 v[32:33], v[4:5], v[198:199]
	v_fma_f64 v[32:33], v[2:3], v[196:197], -v[32:33]
	v_mul_f64 v[2:3], v[2:3], v[198:199]
	v_fmac_f64_e32 v[2:3], v[4:5], v[196:197]
	scratch_load_dwordx4 v[196:199], off, s15
	v_add_f64 v[24:25], v[24:25], v[2:3]
	ds_read_b128 v[2:5], v13 offset:1232
	v_add_f64 v[22:23], v[22:23], v[32:33]
	s_add_i32 s15, s14, 0x100
	s_addk_i32 s14, 0x110
	s_waitcnt vmcnt(0) lgkmcnt(0)
	v_mul_f64 v[32:33], v[4:5], v[198:199]
	v_fma_f64 v[32:33], v[2:3], v[196:197], -v[32:33]
	v_mul_f64 v[2:3], v[2:3], v[198:199]
	v_fmac_f64_e32 v[2:3], v[4:5], v[196:197]
	scratch_load_dwordx4 v[196:199], off, s15
	v_add_f64 v[24:25], v[24:25], v[2:3]
	ds_read_b128 v[2:5], v13 offset:1248
	v_add_f64 v[22:23], v[22:23], v[32:33]
	s_waitcnt vmcnt(0) lgkmcnt(0)
	v_mul_f64 v[32:33], v[4:5], v[198:199]
	v_fma_f64 v[32:33], v[2:3], v[196:197], -v[32:33]
	v_mul_f64 v[2:3], v[2:3], v[198:199]
	v_fmac_f64_e32 v[2:3], v[4:5], v[196:197]
	scratch_load_dwordx4 v[196:199], off, s14
	v_add_f64 v[24:25], v[24:25], v[2:3]
	ds_read_b128 v[2:5], v13 offset:1264
	v_add_f64 v[22:23], v[22:23], v[32:33]
	s_add_i32 s14, s13, 8
	v_cmp_eq_u32_e32 vcc, s14, v7
	s_add_i32 s13, s13, 18
	s_or_b64 s[10:11], vcc, s[10:11]
	s_waitcnt vmcnt(0) lgkmcnt(0)
	v_mul_f64 v[32:33], v[4:5], v[198:199]
	v_mul_f64 v[138:139], v[2:3], v[198:199]
	v_fma_f64 v[32:33], v[2:3], v[196:197], -v[32:33]
	v_fmac_f64_e32 v[138:139], v[4:5], v[196:197]
	v_add_f64 v[2:3], v[22:23], v[32:33]
	v_add_f64 v[4:5], v[24:25], v[138:139]
	v_mov_b32_e32 v196, s13
	s_mov_b32 s13, s14
	s_andn2_b64 exec, exec, s[10:11]
	s_cbranch_execnz .LBB61_711
; %bb.712:
	s_or_b64 exec, exec, s[10:11]
.LBB61_713:
	s_or_b64 exec, exec, s[0:1]
	v_and_b32_e32 v6, 7, v6
	v_cmp_ne_u32_e32 vcc, 0, v6
	s_and_saveexec_b64 s[0:1], vcc
	s_cbranch_execz .LBB61_717
; %bb.714:
	v_lshlrev_b32_e32 v13, 4, v196
	v_add_u32_e32 v7, 0x3e0, v13
	v_add_u32_e32 v195, 0, v13
	s_mov_b64 s[10:11], 0
.LBB61_715:                             ; =>This Inner Loop Header: Depth=1
	scratch_load_dwordx4 v[196:199], v195, off
	ds_read_b128 v[200:203], v7
	v_add_u32_e32 v6, -1, v6
	v_cmp_eq_u32_e32 vcc, 0, v6
	v_add_u32_e32 v7, 16, v7
	v_add_u32_e32 v195, 16, v195
	s_or_b64 s[10:11], vcc, s[10:11]
	s_waitcnt vmcnt(0) lgkmcnt(0)
	v_mul_f64 v[22:23], v[202:203], v[198:199]
	v_mul_f64 v[24:25], v[200:201], v[198:199]
	v_fma_f64 v[22:23], v[200:201], v[196:197], -v[22:23]
	v_fmac_f64_e32 v[24:25], v[202:203], v[196:197]
	v_add_f64 v[2:3], v[2:3], v[22:23]
	v_add_f64 v[4:5], v[4:5], v[24:25]
	s_andn2_b64 exec, exec, s[10:11]
	s_cbranch_execnz .LBB61_715
; %bb.716:
	s_or_b64 exec, exec, s[10:11]
.LBB61_717:
	s_or_b64 exec, exec, s[0:1]
.LBB61_718:
	s_or_b64 exec, exec, s[8:9]
	v_mov_b32_e32 v6, 0
	ds_read_b128 v[196:199], v6 offset:144
	s_waitcnt lgkmcnt(0)
	v_mul_f64 v[6:7], v[4:5], v[198:199]
	v_mul_f64 v[200:201], v[2:3], v[198:199]
	v_fma_f64 v[198:199], v[2:3], v[196:197], -v[6:7]
	v_fmac_f64_e32 v[200:201], v[4:5], v[196:197]
	scratch_store_dwordx4 off, v[198:201], off offset:144
.LBB61_719:
	s_or_b64 exec, exec, s[4:5]
	scratch_load_dwordx4 v[2:5], v187, off
	v_cmp_lt_u32_e64 s[0:1], 8, v0
	s_waitcnt vmcnt(0)
	ds_write_b128 v9, v[2:5]
	s_waitcnt lgkmcnt(0)
	; wave barrier
	s_waitcnt lgkmcnt(0)
	s_and_saveexec_b64 s[4:5], s[0:1]
	s_cbranch_execz .LBB61_733
; %bb.720:
	ds_read_b128 v[2:5], v9
	s_andn2_b64 vcc, exec, s[6:7]
	s_cbranch_vccnz .LBB61_722
; %bb.721:
	scratch_load_dwordx4 v[196:199], v8, off
	s_waitcnt vmcnt(0) lgkmcnt(0)
	v_mul_f64 v[22:23], v[2:3], v[198:199]
	v_mul_f64 v[6:7], v[4:5], v[198:199]
	v_fmac_f64_e32 v[22:23], v[4:5], v[196:197]
	v_fma_f64 v[2:3], v[2:3], v[196:197], -v[6:7]
	v_mov_b64_e32 v[4:5], v[22:23]
.LBB61_722:
	s_and_saveexec_b64 s[8:9], s[2:3]
	s_cbranch_execz .LBB61_732
; %bb.723:
	v_add_u32_e32 v7, -10, v0
	v_add_u32_e32 v6, -9, v0
	v_cmp_lt_u32_e32 vcc, 6, v7
	v_mov_b32_e32 v196, 9
	s_and_saveexec_b64 s[2:3], vcc
	s_cbranch_execz .LBB61_727
; %bb.724:
	v_and_b32_e32 v7, -8, v6
	s_mov_b32 s12, 0
	s_mov_b64 s[10:11], 0
	v_mov_b32_e32 v195, 0
	s_mov_b32 s13, 0
.LBB61_725:                             ; =>This Inner Loop Header: Depth=1
	v_readfirstlane_b32 s14, v195
	s_add_i32 s14, s14, s12
	s_add_i32 s15, s14, 0x90
	v_mov_b32_e32 v13, s12
	ds_read_b128 v[196:199], v13 offset:1136
	ds_read_b128 v[200:203], v13 offset:1152
	;; [unrolled: 1-line block ×4, first 2 shown]
	scratch_load_dwordx4 v[212:215], off, s15
	s_add_i32 s15, s14, 0xa0
	s_addk_i32 s12, 0x80
	s_waitcnt vmcnt(0) lgkmcnt(3)
	v_mul_f64 v[22:23], v[198:199], v[214:215]
	v_mul_f64 v[24:25], v[196:197], v[214:215]
	v_fma_f64 v[22:23], v[196:197], v[212:213], -v[22:23]
	v_fmac_f64_e32 v[24:25], v[198:199], v[212:213]
	v_add_f64 v[22:23], v[2:3], v[22:23]
	v_add_f64 v[24:25], v[4:5], v[24:25]
	scratch_load_dwordx4 v[2:5], off, s15
	s_add_i32 s15, s14, 0xb0
	s_waitcnt vmcnt(0) lgkmcnt(2)
	v_mul_f64 v[32:33], v[202:203], v[4:5]
	v_mul_f64 v[4:5], v[200:201], v[4:5]
	v_fmac_f64_e32 v[4:5], v[202:203], v[2:3]
	v_fma_f64 v[32:33], v[200:201], v[2:3], -v[32:33]
	v_add_f64 v[24:25], v[24:25], v[4:5]
	scratch_load_dwordx4 v[2:5], off, s15
	v_add_f64 v[22:23], v[22:23], v[32:33]
	s_add_i32 s15, s14, 0xc0
	s_waitcnt vmcnt(0) lgkmcnt(1)
	v_mul_f64 v[32:33], v[206:207], v[4:5]
	v_mul_f64 v[4:5], v[204:205], v[4:5]
	v_fmac_f64_e32 v[4:5], v[206:207], v[2:3]
	v_fma_f64 v[32:33], v[204:205], v[2:3], -v[32:33]
	v_add_f64 v[24:25], v[24:25], v[4:5]
	scratch_load_dwordx4 v[2:5], off, s15
	s_add_i32 s15, s14, 0xd0
	scratch_load_dwordx4 v[196:199], off, s15
	v_add_f64 v[22:23], v[22:23], v[32:33]
	s_add_i32 s15, s14, 0xe0
	s_waitcnt vmcnt(1) lgkmcnt(0)
	v_mul_f64 v[32:33], v[210:211], v[4:5]
	v_mul_f64 v[4:5], v[208:209], v[4:5]
	v_fmac_f64_e32 v[4:5], v[210:211], v[2:3]
	v_fma_f64 v[32:33], v[208:209], v[2:3], -v[32:33]
	v_add_f64 v[24:25], v[24:25], v[4:5]
	ds_read_b128 v[2:5], v13 offset:1200
	v_add_f64 v[22:23], v[22:23], v[32:33]
	s_waitcnt vmcnt(0) lgkmcnt(0)
	v_mul_f64 v[32:33], v[4:5], v[198:199]
	v_fma_f64 v[32:33], v[2:3], v[196:197], -v[32:33]
	v_mul_f64 v[2:3], v[2:3], v[198:199]
	v_fmac_f64_e32 v[2:3], v[4:5], v[196:197]
	scratch_load_dwordx4 v[196:199], off, s15
	v_add_f64 v[24:25], v[24:25], v[2:3]
	ds_read_b128 v[2:5], v13 offset:1216
	v_add_f64 v[22:23], v[22:23], v[32:33]
	s_add_i32 s15, s14, 0xf0
	s_addk_i32 s14, 0x100
	s_waitcnt vmcnt(0) lgkmcnt(0)
	v_mul_f64 v[32:33], v[4:5], v[198:199]
	v_fma_f64 v[32:33], v[2:3], v[196:197], -v[32:33]
	v_mul_f64 v[2:3], v[2:3], v[198:199]
	v_fmac_f64_e32 v[2:3], v[4:5], v[196:197]
	scratch_load_dwordx4 v[196:199], off, s15
	v_add_f64 v[24:25], v[24:25], v[2:3]
	ds_read_b128 v[2:5], v13 offset:1232
	v_add_f64 v[22:23], v[22:23], v[32:33]
	s_waitcnt vmcnt(0) lgkmcnt(0)
	v_mul_f64 v[32:33], v[4:5], v[198:199]
	v_fma_f64 v[32:33], v[2:3], v[196:197], -v[32:33]
	v_mul_f64 v[2:3], v[2:3], v[198:199]
	v_fmac_f64_e32 v[2:3], v[4:5], v[196:197]
	scratch_load_dwordx4 v[196:199], off, s14
	v_add_f64 v[24:25], v[24:25], v[2:3]
	ds_read_b128 v[2:5], v13 offset:1248
	v_add_f64 v[22:23], v[22:23], v[32:33]
	s_add_i32 s14, s13, 8
	v_cmp_eq_u32_e32 vcc, s14, v7
	s_add_i32 s13, s13, 17
	s_or_b64 s[10:11], vcc, s[10:11]
	s_waitcnt vmcnt(0) lgkmcnt(0)
	v_mul_f64 v[32:33], v[4:5], v[198:199]
	v_mul_f64 v[138:139], v[2:3], v[198:199]
	v_fma_f64 v[32:33], v[2:3], v[196:197], -v[32:33]
	v_fmac_f64_e32 v[138:139], v[4:5], v[196:197]
	v_add_f64 v[2:3], v[22:23], v[32:33]
	v_add_f64 v[4:5], v[24:25], v[138:139]
	v_mov_b32_e32 v196, s13
	s_mov_b32 s13, s14
	s_andn2_b64 exec, exec, s[10:11]
	s_cbranch_execnz .LBB61_725
; %bb.726:
	s_or_b64 exec, exec, s[10:11]
.LBB61_727:
	s_or_b64 exec, exec, s[2:3]
	v_and_b32_e32 v6, 7, v6
	v_cmp_ne_u32_e32 vcc, 0, v6
	s_and_saveexec_b64 s[2:3], vcc
	s_cbranch_execz .LBB61_731
; %bb.728:
	v_lshlrev_b32_e32 v13, 4, v196
	v_add_u32_e32 v7, 0x3e0, v13
	v_add_u32_e32 v195, 0, v13
	s_mov_b64 s[10:11], 0
.LBB61_729:                             ; =>This Inner Loop Header: Depth=1
	scratch_load_dwordx4 v[196:199], v195, off
	ds_read_b128 v[200:203], v7
	v_add_u32_e32 v6, -1, v6
	v_cmp_eq_u32_e32 vcc, 0, v6
	v_add_u32_e32 v7, 16, v7
	v_add_u32_e32 v195, 16, v195
	s_or_b64 s[10:11], vcc, s[10:11]
	s_waitcnt vmcnt(0) lgkmcnt(0)
	v_mul_f64 v[22:23], v[202:203], v[198:199]
	v_mul_f64 v[24:25], v[200:201], v[198:199]
	v_fma_f64 v[22:23], v[200:201], v[196:197], -v[22:23]
	v_fmac_f64_e32 v[24:25], v[202:203], v[196:197]
	v_add_f64 v[2:3], v[2:3], v[22:23]
	v_add_f64 v[4:5], v[4:5], v[24:25]
	s_andn2_b64 exec, exec, s[10:11]
	s_cbranch_execnz .LBB61_729
; %bb.730:
	s_or_b64 exec, exec, s[10:11]
.LBB61_731:
	s_or_b64 exec, exec, s[2:3]
.LBB61_732:
	s_or_b64 exec, exec, s[8:9]
	v_mov_b32_e32 v6, 0
	ds_read_b128 v[196:199], v6 offset:128
	s_waitcnt lgkmcnt(0)
	v_mul_f64 v[6:7], v[4:5], v[198:199]
	v_mul_f64 v[200:201], v[2:3], v[198:199]
	v_fma_f64 v[198:199], v[2:3], v[196:197], -v[6:7]
	v_fmac_f64_e32 v[200:201], v[4:5], v[196:197]
	scratch_store_dwordx4 off, v[198:201], off offset:128
.LBB61_733:
	s_or_b64 exec, exec, s[4:5]
	scratch_load_dwordx4 v[2:5], v188, off
	v_cmp_lt_u32_e64 s[2:3], 7, v0
	s_waitcnt vmcnt(0)
	ds_write_b128 v9, v[2:5]
	s_waitcnt lgkmcnt(0)
	; wave barrier
	s_waitcnt lgkmcnt(0)
	s_and_saveexec_b64 s[4:5], s[2:3]
	s_cbranch_execz .LBB61_747
; %bb.734:
	ds_read_b128 v[2:5], v9
	s_andn2_b64 vcc, exec, s[6:7]
	s_cbranch_vccnz .LBB61_736
; %bb.735:
	scratch_load_dwordx4 v[196:199], v8, off
	s_waitcnt vmcnt(0) lgkmcnt(0)
	v_mul_f64 v[22:23], v[2:3], v[198:199]
	v_mul_f64 v[6:7], v[4:5], v[198:199]
	v_fmac_f64_e32 v[22:23], v[4:5], v[196:197]
	v_fma_f64 v[2:3], v[2:3], v[196:197], -v[6:7]
	v_mov_b64_e32 v[4:5], v[22:23]
.LBB61_736:
	s_and_saveexec_b64 s[8:9], s[0:1]
	s_cbranch_execz .LBB61_746
; %bb.737:
	v_add_u32_e32 v6, -9, v0
	v_cmp_lt_u32_e32 vcc, 6, v6
	v_mov_b32_e32 v6, 8
	s_and_saveexec_b64 s[0:1], vcc
	s_cbranch_execz .LBB61_741
; %bb.738:
	v_and_b32_e32 v6, 56, v0
	s_mov_b32 s12, 8
	s_mov_b32 s13, 0
	s_mov_b64 s[10:11], 0
	v_mov_b32_e32 v7, 0
.LBB61_739:                             ; =>This Inner Loop Header: Depth=1
	s_nop 0
	v_readfirstlane_b32 s14, v7
	s_add_i32 s14, s14, s13
	s_add_i32 s15, s14, 0x80
	v_mov_b32_e32 v13, s13
	ds_read_b128 v[196:199], v13 offset:1120
	ds_read_b128 v[200:203], v13 offset:1136
	ds_read_b128 v[204:207], v13 offset:1152
	ds_read_b128 v[208:211], v13 offset:1168
	scratch_load_dwordx4 v[212:215], off, s15
	s_add_i32 s15, s14, 0x90
	s_add_i32 s12, s12, 8
	s_addk_i32 s13, 0x80
	v_cmp_eq_u32_e32 vcc, s12, v6
	s_waitcnt vmcnt(0) lgkmcnt(3)
	v_mul_f64 v[22:23], v[198:199], v[214:215]
	v_mul_f64 v[24:25], v[196:197], v[214:215]
	v_fma_f64 v[22:23], v[196:197], v[212:213], -v[22:23]
	v_fmac_f64_e32 v[24:25], v[198:199], v[212:213]
	v_add_f64 v[22:23], v[2:3], v[22:23]
	v_add_f64 v[24:25], v[4:5], v[24:25]
	scratch_load_dwordx4 v[2:5], off, s15
	s_add_i32 s15, s14, 0xa0
	s_waitcnt vmcnt(0) lgkmcnt(2)
	v_mul_f64 v[32:33], v[202:203], v[4:5]
	v_mul_f64 v[4:5], v[200:201], v[4:5]
	v_fmac_f64_e32 v[4:5], v[202:203], v[2:3]
	v_fma_f64 v[32:33], v[200:201], v[2:3], -v[32:33]
	v_add_f64 v[24:25], v[24:25], v[4:5]
	scratch_load_dwordx4 v[2:5], off, s15
	v_add_f64 v[22:23], v[22:23], v[32:33]
	s_add_i32 s15, s14, 0xb0
	s_waitcnt vmcnt(0) lgkmcnt(1)
	v_mul_f64 v[32:33], v[206:207], v[4:5]
	v_mul_f64 v[4:5], v[204:205], v[4:5]
	v_fmac_f64_e32 v[4:5], v[206:207], v[2:3]
	v_fma_f64 v[32:33], v[204:205], v[2:3], -v[32:33]
	v_add_f64 v[24:25], v[24:25], v[4:5]
	scratch_load_dwordx4 v[2:5], off, s15
	s_add_i32 s15, s14, 0xc0
	scratch_load_dwordx4 v[196:199], off, s15
	v_add_f64 v[22:23], v[22:23], v[32:33]
	s_add_i32 s15, s14, 0xd0
	s_waitcnt vmcnt(1) lgkmcnt(0)
	v_mul_f64 v[32:33], v[210:211], v[4:5]
	v_mul_f64 v[4:5], v[208:209], v[4:5]
	v_fmac_f64_e32 v[4:5], v[210:211], v[2:3]
	v_fma_f64 v[32:33], v[208:209], v[2:3], -v[32:33]
	v_add_f64 v[24:25], v[24:25], v[4:5]
	ds_read_b128 v[2:5], v13 offset:1184
	v_add_f64 v[22:23], v[22:23], v[32:33]
	s_waitcnt vmcnt(0) lgkmcnt(0)
	v_mul_f64 v[32:33], v[4:5], v[198:199]
	v_fma_f64 v[32:33], v[2:3], v[196:197], -v[32:33]
	v_mul_f64 v[2:3], v[2:3], v[198:199]
	v_fmac_f64_e32 v[2:3], v[4:5], v[196:197]
	scratch_load_dwordx4 v[196:199], off, s15
	v_add_f64 v[24:25], v[24:25], v[2:3]
	ds_read_b128 v[2:5], v13 offset:1200
	v_add_f64 v[22:23], v[22:23], v[32:33]
	s_add_i32 s15, s14, 0xe0
	s_addk_i32 s14, 0xf0
	s_or_b64 s[10:11], vcc, s[10:11]
	s_waitcnt vmcnt(0) lgkmcnt(0)
	v_mul_f64 v[32:33], v[4:5], v[198:199]
	v_fma_f64 v[32:33], v[2:3], v[196:197], -v[32:33]
	v_mul_f64 v[2:3], v[2:3], v[198:199]
	v_fmac_f64_e32 v[2:3], v[4:5], v[196:197]
	scratch_load_dwordx4 v[196:199], off, s15
	v_add_f64 v[24:25], v[24:25], v[2:3]
	ds_read_b128 v[2:5], v13 offset:1216
	v_add_f64 v[22:23], v[22:23], v[32:33]
	s_waitcnt vmcnt(0) lgkmcnt(0)
	v_mul_f64 v[32:33], v[4:5], v[198:199]
	v_fma_f64 v[32:33], v[2:3], v[196:197], -v[32:33]
	v_mul_f64 v[2:3], v[2:3], v[198:199]
	v_fmac_f64_e32 v[2:3], v[4:5], v[196:197]
	scratch_load_dwordx4 v[196:199], off, s14
	v_add_f64 v[24:25], v[24:25], v[2:3]
	ds_read_b128 v[2:5], v13 offset:1232
	v_add_f64 v[22:23], v[22:23], v[32:33]
	s_waitcnt vmcnt(0) lgkmcnt(0)
	v_mul_f64 v[32:33], v[4:5], v[198:199]
	v_mul_f64 v[138:139], v[2:3], v[198:199]
	v_fma_f64 v[32:33], v[2:3], v[196:197], -v[32:33]
	v_fmac_f64_e32 v[138:139], v[4:5], v[196:197]
	v_add_f64 v[2:3], v[22:23], v[32:33]
	v_add_f64 v[4:5], v[24:25], v[138:139]
	s_andn2_b64 exec, exec, s[10:11]
	s_cbranch_execnz .LBB61_739
; %bb.740:
	s_or_b64 exec, exec, s[10:11]
.LBB61_741:
	s_or_b64 exec, exec, s[0:1]
	v_and_b32_e32 v7, 7, v0
	v_cmp_ne_u32_e32 vcc, 0, v7
	s_and_saveexec_b64 s[0:1], vcc
	s_cbranch_execz .LBB61_745
; %bb.742:
	v_lshlrev_b32_e32 v13, 4, v6
	v_add_u32_e32 v6, 0x3e0, v13
	v_add_u32_e32 v195, 0, v13
	s_mov_b64 s[10:11], 0
.LBB61_743:                             ; =>This Inner Loop Header: Depth=1
	scratch_load_dwordx4 v[196:199], v195, off
	ds_read_b128 v[200:203], v6
	v_add_u32_e32 v7, -1, v7
	v_cmp_eq_u32_e32 vcc, 0, v7
	v_add_u32_e32 v6, 16, v6
	v_add_u32_e32 v195, 16, v195
	s_or_b64 s[10:11], vcc, s[10:11]
	s_waitcnt vmcnt(0) lgkmcnt(0)
	v_mul_f64 v[22:23], v[202:203], v[198:199]
	v_mul_f64 v[24:25], v[200:201], v[198:199]
	v_fma_f64 v[22:23], v[200:201], v[196:197], -v[22:23]
	v_fmac_f64_e32 v[24:25], v[202:203], v[196:197]
	v_add_f64 v[2:3], v[2:3], v[22:23]
	v_add_f64 v[4:5], v[4:5], v[24:25]
	s_andn2_b64 exec, exec, s[10:11]
	s_cbranch_execnz .LBB61_743
; %bb.744:
	s_or_b64 exec, exec, s[10:11]
.LBB61_745:
	s_or_b64 exec, exec, s[0:1]
.LBB61_746:
	s_or_b64 exec, exec, s[8:9]
	v_mov_b32_e32 v6, 0
	ds_read_b128 v[196:199], v6 offset:112
	s_waitcnt lgkmcnt(0)
	v_mul_f64 v[6:7], v[4:5], v[198:199]
	v_mul_f64 v[200:201], v[2:3], v[198:199]
	v_fma_f64 v[198:199], v[2:3], v[196:197], -v[6:7]
	v_fmac_f64_e32 v[200:201], v[4:5], v[196:197]
	scratch_store_dwordx4 off, v[198:201], off offset:112
.LBB61_747:
	s_or_b64 exec, exec, s[4:5]
	scratch_load_dwordx4 v[2:5], v189, off
	v_cmp_lt_u32_e64 s[0:1], 6, v0
	s_waitcnt vmcnt(0)
	ds_write_b128 v9, v[2:5]
	s_waitcnt lgkmcnt(0)
	; wave barrier
	s_waitcnt lgkmcnt(0)
	s_and_saveexec_b64 s[4:5], s[0:1]
	s_cbranch_execz .LBB61_761
; %bb.748:
	ds_read_b128 v[2:5], v9
	s_andn2_b64 vcc, exec, s[6:7]
	s_cbranch_vccnz .LBB61_750
; %bb.749:
	scratch_load_dwordx4 v[196:199], v8, off
	s_waitcnt vmcnt(0) lgkmcnt(0)
	v_mul_f64 v[22:23], v[2:3], v[198:199]
	v_mul_f64 v[6:7], v[4:5], v[198:199]
	v_fmac_f64_e32 v[22:23], v[4:5], v[196:197]
	v_fma_f64 v[2:3], v[2:3], v[196:197], -v[6:7]
	v_mov_b64_e32 v[4:5], v[22:23]
.LBB61_750:
	s_and_saveexec_b64 s[8:9], s[2:3]
	s_cbranch_execz .LBB61_760
; %bb.751:
	v_add_u32_e32 v7, -8, v0
	v_add_u32_e32 v6, -7, v0
	v_cmp_lt_u32_e32 vcc, 6, v7
	v_mov_b32_e32 v196, 7
	s_and_saveexec_b64 s[2:3], vcc
	s_cbranch_execz .LBB61_755
; %bb.752:
	v_and_b32_e32 v7, -8, v6
	s_mov_b32 s12, 0
	s_mov_b64 s[10:11], 0
	v_mov_b32_e32 v195, 0
	s_mov_b32 s13, 0
.LBB61_753:                             ; =>This Inner Loop Header: Depth=1
	v_readfirstlane_b32 s14, v195
	s_add_i32 s14, s14, s12
	s_add_i32 s15, s14, 0x70
	v_mov_b32_e32 v13, s12
	ds_read_b128 v[196:199], v13 offset:1104
	ds_read_b128 v[200:203], v13 offset:1120
	;; [unrolled: 1-line block ×4, first 2 shown]
	scratch_load_dwordx4 v[212:215], off, s15
	s_add_i32 s15, s14, 0x80
	s_addk_i32 s12, 0x80
	s_waitcnt vmcnt(0) lgkmcnt(3)
	v_mul_f64 v[22:23], v[198:199], v[214:215]
	v_mul_f64 v[24:25], v[196:197], v[214:215]
	v_fma_f64 v[22:23], v[196:197], v[212:213], -v[22:23]
	v_fmac_f64_e32 v[24:25], v[198:199], v[212:213]
	v_add_f64 v[22:23], v[2:3], v[22:23]
	v_add_f64 v[24:25], v[4:5], v[24:25]
	scratch_load_dwordx4 v[2:5], off, s15
	s_add_i32 s15, s14, 0x90
	s_waitcnt vmcnt(0) lgkmcnt(2)
	v_mul_f64 v[32:33], v[202:203], v[4:5]
	v_mul_f64 v[4:5], v[200:201], v[4:5]
	v_fmac_f64_e32 v[4:5], v[202:203], v[2:3]
	v_fma_f64 v[32:33], v[200:201], v[2:3], -v[32:33]
	v_add_f64 v[24:25], v[24:25], v[4:5]
	scratch_load_dwordx4 v[2:5], off, s15
	v_add_f64 v[22:23], v[22:23], v[32:33]
	s_add_i32 s15, s14, 0xa0
	s_waitcnt vmcnt(0) lgkmcnt(1)
	v_mul_f64 v[32:33], v[206:207], v[4:5]
	v_mul_f64 v[4:5], v[204:205], v[4:5]
	v_fmac_f64_e32 v[4:5], v[206:207], v[2:3]
	v_fma_f64 v[32:33], v[204:205], v[2:3], -v[32:33]
	v_add_f64 v[24:25], v[24:25], v[4:5]
	scratch_load_dwordx4 v[2:5], off, s15
	s_add_i32 s15, s14, 0xb0
	scratch_load_dwordx4 v[196:199], off, s15
	v_add_f64 v[22:23], v[22:23], v[32:33]
	s_add_i32 s15, s14, 0xc0
	s_waitcnt vmcnt(1) lgkmcnt(0)
	v_mul_f64 v[32:33], v[210:211], v[4:5]
	v_mul_f64 v[4:5], v[208:209], v[4:5]
	v_fmac_f64_e32 v[4:5], v[210:211], v[2:3]
	v_fma_f64 v[32:33], v[208:209], v[2:3], -v[32:33]
	v_add_f64 v[24:25], v[24:25], v[4:5]
	ds_read_b128 v[2:5], v13 offset:1168
	v_add_f64 v[22:23], v[22:23], v[32:33]
	s_waitcnt vmcnt(0) lgkmcnt(0)
	v_mul_f64 v[32:33], v[4:5], v[198:199]
	v_fma_f64 v[32:33], v[2:3], v[196:197], -v[32:33]
	v_mul_f64 v[2:3], v[2:3], v[198:199]
	v_fmac_f64_e32 v[2:3], v[4:5], v[196:197]
	scratch_load_dwordx4 v[196:199], off, s15
	v_add_f64 v[24:25], v[24:25], v[2:3]
	ds_read_b128 v[2:5], v13 offset:1184
	v_add_f64 v[22:23], v[22:23], v[32:33]
	s_add_i32 s15, s14, 0xd0
	s_addk_i32 s14, 0xe0
	s_waitcnt vmcnt(0) lgkmcnt(0)
	v_mul_f64 v[32:33], v[4:5], v[198:199]
	v_fma_f64 v[32:33], v[2:3], v[196:197], -v[32:33]
	v_mul_f64 v[2:3], v[2:3], v[198:199]
	v_fmac_f64_e32 v[2:3], v[4:5], v[196:197]
	scratch_load_dwordx4 v[196:199], off, s15
	v_add_f64 v[24:25], v[24:25], v[2:3]
	ds_read_b128 v[2:5], v13 offset:1200
	v_add_f64 v[22:23], v[22:23], v[32:33]
	s_waitcnt vmcnt(0) lgkmcnt(0)
	v_mul_f64 v[32:33], v[4:5], v[198:199]
	v_fma_f64 v[32:33], v[2:3], v[196:197], -v[32:33]
	v_mul_f64 v[2:3], v[2:3], v[198:199]
	v_fmac_f64_e32 v[2:3], v[4:5], v[196:197]
	scratch_load_dwordx4 v[196:199], off, s14
	v_add_f64 v[24:25], v[24:25], v[2:3]
	ds_read_b128 v[2:5], v13 offset:1216
	v_add_f64 v[22:23], v[22:23], v[32:33]
	s_add_i32 s14, s13, 8
	v_cmp_eq_u32_e32 vcc, s14, v7
	s_add_i32 s13, s13, 15
	s_or_b64 s[10:11], vcc, s[10:11]
	s_waitcnt vmcnt(0) lgkmcnt(0)
	v_mul_f64 v[32:33], v[4:5], v[198:199]
	v_mul_f64 v[138:139], v[2:3], v[198:199]
	v_fma_f64 v[32:33], v[2:3], v[196:197], -v[32:33]
	v_fmac_f64_e32 v[138:139], v[4:5], v[196:197]
	v_add_f64 v[2:3], v[22:23], v[32:33]
	v_add_f64 v[4:5], v[24:25], v[138:139]
	v_mov_b32_e32 v196, s13
	s_mov_b32 s13, s14
	s_andn2_b64 exec, exec, s[10:11]
	s_cbranch_execnz .LBB61_753
; %bb.754:
	s_or_b64 exec, exec, s[10:11]
.LBB61_755:
	s_or_b64 exec, exec, s[2:3]
	v_and_b32_e32 v6, 7, v6
	v_cmp_ne_u32_e32 vcc, 0, v6
	s_and_saveexec_b64 s[2:3], vcc
	s_cbranch_execz .LBB61_759
; %bb.756:
	v_lshlrev_b32_e32 v13, 4, v196
	v_add_u32_e32 v7, 0x3e0, v13
	v_add_u32_e32 v195, 0, v13
	s_mov_b64 s[10:11], 0
.LBB61_757:                             ; =>This Inner Loop Header: Depth=1
	scratch_load_dwordx4 v[196:199], v195, off
	ds_read_b128 v[200:203], v7
	v_add_u32_e32 v6, -1, v6
	v_cmp_eq_u32_e32 vcc, 0, v6
	v_add_u32_e32 v7, 16, v7
	v_add_u32_e32 v195, 16, v195
	s_or_b64 s[10:11], vcc, s[10:11]
	s_waitcnt vmcnt(0) lgkmcnt(0)
	v_mul_f64 v[22:23], v[202:203], v[198:199]
	v_mul_f64 v[24:25], v[200:201], v[198:199]
	v_fma_f64 v[22:23], v[200:201], v[196:197], -v[22:23]
	v_fmac_f64_e32 v[24:25], v[202:203], v[196:197]
	v_add_f64 v[2:3], v[2:3], v[22:23]
	v_add_f64 v[4:5], v[4:5], v[24:25]
	s_andn2_b64 exec, exec, s[10:11]
	s_cbranch_execnz .LBB61_757
; %bb.758:
	s_or_b64 exec, exec, s[10:11]
.LBB61_759:
	s_or_b64 exec, exec, s[2:3]
.LBB61_760:
	s_or_b64 exec, exec, s[8:9]
	v_mov_b32_e32 v6, 0
	ds_read_b128 v[196:199], v6 offset:96
	s_waitcnt lgkmcnt(0)
	v_mul_f64 v[6:7], v[4:5], v[198:199]
	v_mul_f64 v[200:201], v[2:3], v[198:199]
	v_fma_f64 v[198:199], v[2:3], v[196:197], -v[6:7]
	v_fmac_f64_e32 v[200:201], v[4:5], v[196:197]
	scratch_store_dwordx4 off, v[198:201], off offset:96
.LBB61_761:
	s_or_b64 exec, exec, s[4:5]
	scratch_load_dwordx4 v[2:5], v190, off
	v_cmp_lt_u32_e64 s[2:3], 5, v0
	s_waitcnt vmcnt(0)
	ds_write_b128 v9, v[2:5]
	s_waitcnt lgkmcnt(0)
	; wave barrier
	s_waitcnt lgkmcnt(0)
	s_and_saveexec_b64 s[4:5], s[2:3]
	s_cbranch_execz .LBB61_775
; %bb.762:
	ds_read_b128 v[2:5], v9
	s_andn2_b64 vcc, exec, s[6:7]
	s_cbranch_vccnz .LBB61_764
; %bb.763:
	scratch_load_dwordx4 v[196:199], v8, off
	s_waitcnt vmcnt(0) lgkmcnt(0)
	v_mul_f64 v[22:23], v[2:3], v[198:199]
	v_mul_f64 v[6:7], v[4:5], v[198:199]
	v_fmac_f64_e32 v[22:23], v[4:5], v[196:197]
	v_fma_f64 v[2:3], v[2:3], v[196:197], -v[6:7]
	v_mov_b64_e32 v[4:5], v[22:23]
.LBB61_764:
	s_and_saveexec_b64 s[8:9], s[0:1]
	s_cbranch_execz .LBB61_774
; %bb.765:
	v_add_u32_e32 v7, -7, v0
	v_add_u32_e32 v6, -6, v0
	v_cmp_lt_u32_e32 vcc, 6, v7
	v_mov_b32_e32 v196, 6
	s_and_saveexec_b64 s[0:1], vcc
	s_cbranch_execz .LBB61_769
; %bb.766:
	v_and_b32_e32 v7, -8, v6
	s_mov_b32 s12, 0
	s_mov_b64 s[10:11], 0
	v_mov_b32_e32 v195, 0
	s_mov_b32 s13, 0
.LBB61_767:                             ; =>This Inner Loop Header: Depth=1
	v_readfirstlane_b32 s14, v195
	s_add_i32 s14, s14, s12
	s_add_i32 s15, s14, 0x60
	v_mov_b32_e32 v13, s12
	ds_read_b128 v[196:199], v13 offset:1088
	ds_read_b128 v[200:203], v13 offset:1104
	;; [unrolled: 1-line block ×4, first 2 shown]
	scratch_load_dwordx4 v[212:215], off, s15
	s_add_i32 s15, s14, 0x70
	s_addk_i32 s12, 0x80
	s_waitcnt vmcnt(0) lgkmcnt(3)
	v_mul_f64 v[22:23], v[198:199], v[214:215]
	v_mul_f64 v[24:25], v[196:197], v[214:215]
	v_fma_f64 v[22:23], v[196:197], v[212:213], -v[22:23]
	v_fmac_f64_e32 v[24:25], v[198:199], v[212:213]
	v_add_f64 v[22:23], v[2:3], v[22:23]
	v_add_f64 v[24:25], v[4:5], v[24:25]
	scratch_load_dwordx4 v[2:5], off, s15
	s_add_i32 s15, s14, 0x80
	s_waitcnt vmcnt(0) lgkmcnt(2)
	v_mul_f64 v[32:33], v[202:203], v[4:5]
	v_mul_f64 v[4:5], v[200:201], v[4:5]
	v_fmac_f64_e32 v[4:5], v[202:203], v[2:3]
	v_fma_f64 v[32:33], v[200:201], v[2:3], -v[32:33]
	v_add_f64 v[24:25], v[24:25], v[4:5]
	scratch_load_dwordx4 v[2:5], off, s15
	v_add_f64 v[22:23], v[22:23], v[32:33]
	s_add_i32 s15, s14, 0x90
	s_waitcnt vmcnt(0) lgkmcnt(1)
	v_mul_f64 v[32:33], v[206:207], v[4:5]
	v_mul_f64 v[4:5], v[204:205], v[4:5]
	v_fmac_f64_e32 v[4:5], v[206:207], v[2:3]
	v_fma_f64 v[32:33], v[204:205], v[2:3], -v[32:33]
	v_add_f64 v[24:25], v[24:25], v[4:5]
	scratch_load_dwordx4 v[2:5], off, s15
	s_add_i32 s15, s14, 0xa0
	scratch_load_dwordx4 v[196:199], off, s15
	v_add_f64 v[22:23], v[22:23], v[32:33]
	s_add_i32 s15, s14, 0xb0
	s_waitcnt vmcnt(1) lgkmcnt(0)
	v_mul_f64 v[32:33], v[210:211], v[4:5]
	v_mul_f64 v[4:5], v[208:209], v[4:5]
	v_fmac_f64_e32 v[4:5], v[210:211], v[2:3]
	v_fma_f64 v[32:33], v[208:209], v[2:3], -v[32:33]
	v_add_f64 v[24:25], v[24:25], v[4:5]
	ds_read_b128 v[2:5], v13 offset:1152
	v_add_f64 v[22:23], v[22:23], v[32:33]
	s_waitcnt vmcnt(0) lgkmcnt(0)
	v_mul_f64 v[32:33], v[4:5], v[198:199]
	v_fma_f64 v[32:33], v[2:3], v[196:197], -v[32:33]
	v_mul_f64 v[2:3], v[2:3], v[198:199]
	v_fmac_f64_e32 v[2:3], v[4:5], v[196:197]
	scratch_load_dwordx4 v[196:199], off, s15
	v_add_f64 v[24:25], v[24:25], v[2:3]
	ds_read_b128 v[2:5], v13 offset:1168
	v_add_f64 v[22:23], v[22:23], v[32:33]
	s_add_i32 s15, s14, 0xc0
	s_addk_i32 s14, 0xd0
	s_waitcnt vmcnt(0) lgkmcnt(0)
	v_mul_f64 v[32:33], v[4:5], v[198:199]
	v_fma_f64 v[32:33], v[2:3], v[196:197], -v[32:33]
	v_mul_f64 v[2:3], v[2:3], v[198:199]
	v_fmac_f64_e32 v[2:3], v[4:5], v[196:197]
	scratch_load_dwordx4 v[196:199], off, s15
	v_add_f64 v[24:25], v[24:25], v[2:3]
	ds_read_b128 v[2:5], v13 offset:1184
	v_add_f64 v[22:23], v[22:23], v[32:33]
	s_waitcnt vmcnt(0) lgkmcnt(0)
	v_mul_f64 v[32:33], v[4:5], v[198:199]
	v_fma_f64 v[32:33], v[2:3], v[196:197], -v[32:33]
	v_mul_f64 v[2:3], v[2:3], v[198:199]
	v_fmac_f64_e32 v[2:3], v[4:5], v[196:197]
	scratch_load_dwordx4 v[196:199], off, s14
	v_add_f64 v[24:25], v[24:25], v[2:3]
	ds_read_b128 v[2:5], v13 offset:1200
	v_add_f64 v[22:23], v[22:23], v[32:33]
	s_add_i32 s14, s13, 8
	v_cmp_eq_u32_e32 vcc, s14, v7
	s_add_i32 s13, s13, 14
	s_or_b64 s[10:11], vcc, s[10:11]
	s_waitcnt vmcnt(0) lgkmcnt(0)
	v_mul_f64 v[32:33], v[4:5], v[198:199]
	v_mul_f64 v[138:139], v[2:3], v[198:199]
	v_fma_f64 v[32:33], v[2:3], v[196:197], -v[32:33]
	v_fmac_f64_e32 v[138:139], v[4:5], v[196:197]
	v_add_f64 v[2:3], v[22:23], v[32:33]
	v_add_f64 v[4:5], v[24:25], v[138:139]
	v_mov_b32_e32 v196, s13
	s_mov_b32 s13, s14
	s_andn2_b64 exec, exec, s[10:11]
	s_cbranch_execnz .LBB61_767
; %bb.768:
	s_or_b64 exec, exec, s[10:11]
.LBB61_769:
	s_or_b64 exec, exec, s[0:1]
	v_and_b32_e32 v6, 7, v6
	v_cmp_ne_u32_e32 vcc, 0, v6
	s_and_saveexec_b64 s[0:1], vcc
	s_cbranch_execz .LBB61_773
; %bb.770:
	v_lshlrev_b32_e32 v13, 4, v196
	v_add_u32_e32 v7, 0x3e0, v13
	v_add_u32_e32 v195, 0, v13
	s_mov_b64 s[10:11], 0
.LBB61_771:                             ; =>This Inner Loop Header: Depth=1
	scratch_load_dwordx4 v[196:199], v195, off
	ds_read_b128 v[200:203], v7
	v_add_u32_e32 v6, -1, v6
	v_cmp_eq_u32_e32 vcc, 0, v6
	v_add_u32_e32 v7, 16, v7
	v_add_u32_e32 v195, 16, v195
	s_or_b64 s[10:11], vcc, s[10:11]
	s_waitcnt vmcnt(0) lgkmcnt(0)
	v_mul_f64 v[22:23], v[202:203], v[198:199]
	v_mul_f64 v[24:25], v[200:201], v[198:199]
	v_fma_f64 v[22:23], v[200:201], v[196:197], -v[22:23]
	v_fmac_f64_e32 v[24:25], v[202:203], v[196:197]
	v_add_f64 v[2:3], v[2:3], v[22:23]
	v_add_f64 v[4:5], v[4:5], v[24:25]
	s_andn2_b64 exec, exec, s[10:11]
	s_cbranch_execnz .LBB61_771
; %bb.772:
	s_or_b64 exec, exec, s[10:11]
.LBB61_773:
	s_or_b64 exec, exec, s[0:1]
.LBB61_774:
	s_or_b64 exec, exec, s[8:9]
	v_mov_b32_e32 v6, 0
	ds_read_b128 v[196:199], v6 offset:80
	s_waitcnt lgkmcnt(0)
	v_mul_f64 v[6:7], v[4:5], v[198:199]
	v_mul_f64 v[200:201], v[2:3], v[198:199]
	v_fma_f64 v[198:199], v[2:3], v[196:197], -v[6:7]
	v_fmac_f64_e32 v[200:201], v[4:5], v[196:197]
	scratch_store_dwordx4 off, v[198:201], off offset:80
.LBB61_775:
	s_or_b64 exec, exec, s[4:5]
	scratch_load_dwordx4 v[2:5], v191, off
	v_cmp_lt_u32_e64 s[0:1], 4, v0
	s_waitcnt vmcnt(0)
	ds_write_b128 v9, v[2:5]
	s_waitcnt lgkmcnt(0)
	; wave barrier
	s_waitcnt lgkmcnt(0)
	s_and_saveexec_b64 s[4:5], s[0:1]
	s_cbranch_execz .LBB61_789
; %bb.776:
	ds_read_b128 v[2:5], v9
	s_andn2_b64 vcc, exec, s[6:7]
	s_cbranch_vccnz .LBB61_778
; %bb.777:
	scratch_load_dwordx4 v[196:199], v8, off
	s_waitcnt vmcnt(0) lgkmcnt(0)
	v_mul_f64 v[22:23], v[2:3], v[198:199]
	v_mul_f64 v[6:7], v[4:5], v[198:199]
	v_fmac_f64_e32 v[22:23], v[4:5], v[196:197]
	v_fma_f64 v[2:3], v[2:3], v[196:197], -v[6:7]
	v_mov_b64_e32 v[4:5], v[22:23]
.LBB61_778:
	s_and_saveexec_b64 s[8:9], s[2:3]
	s_cbranch_execz .LBB61_788
; %bb.779:
	v_add_u32_e32 v7, -6, v0
	v_add_u32_e32 v6, -5, v0
	v_cmp_lt_u32_e32 vcc, 6, v7
	v_mov_b32_e32 v196, 5
	s_and_saveexec_b64 s[2:3], vcc
	s_cbranch_execz .LBB61_783
; %bb.780:
	v_and_b32_e32 v7, -8, v6
	s_mov_b32 s12, 0
	s_mov_b64 s[10:11], 0
	v_mov_b32_e32 v195, 0
	s_mov_b32 s13, 0
.LBB61_781:                             ; =>This Inner Loop Header: Depth=1
	v_readfirstlane_b32 s14, v195
	s_add_i32 s14, s14, s12
	s_add_i32 s15, s14, 0x50
	v_mov_b32_e32 v13, s12
	ds_read_b128 v[196:199], v13 offset:1072
	ds_read_b128 v[200:203], v13 offset:1088
	;; [unrolled: 1-line block ×4, first 2 shown]
	scratch_load_dwordx4 v[212:215], off, s15
	s_add_i32 s15, s14, 0x60
	s_addk_i32 s12, 0x80
	s_waitcnt vmcnt(0) lgkmcnt(3)
	v_mul_f64 v[22:23], v[198:199], v[214:215]
	v_mul_f64 v[24:25], v[196:197], v[214:215]
	v_fma_f64 v[22:23], v[196:197], v[212:213], -v[22:23]
	v_fmac_f64_e32 v[24:25], v[198:199], v[212:213]
	v_add_f64 v[22:23], v[2:3], v[22:23]
	v_add_f64 v[24:25], v[4:5], v[24:25]
	scratch_load_dwordx4 v[2:5], off, s15
	s_add_i32 s15, s14, 0x70
	s_waitcnt vmcnt(0) lgkmcnt(2)
	v_mul_f64 v[32:33], v[202:203], v[4:5]
	v_mul_f64 v[4:5], v[200:201], v[4:5]
	v_fmac_f64_e32 v[4:5], v[202:203], v[2:3]
	v_fma_f64 v[32:33], v[200:201], v[2:3], -v[32:33]
	v_add_f64 v[24:25], v[24:25], v[4:5]
	scratch_load_dwordx4 v[2:5], off, s15
	v_add_f64 v[22:23], v[22:23], v[32:33]
	s_add_i32 s15, s14, 0x80
	s_waitcnt vmcnt(0) lgkmcnt(1)
	v_mul_f64 v[32:33], v[206:207], v[4:5]
	v_mul_f64 v[4:5], v[204:205], v[4:5]
	v_fmac_f64_e32 v[4:5], v[206:207], v[2:3]
	v_fma_f64 v[32:33], v[204:205], v[2:3], -v[32:33]
	v_add_f64 v[24:25], v[24:25], v[4:5]
	scratch_load_dwordx4 v[2:5], off, s15
	s_add_i32 s15, s14, 0x90
	scratch_load_dwordx4 v[196:199], off, s15
	v_add_f64 v[22:23], v[22:23], v[32:33]
	s_add_i32 s15, s14, 0xa0
	s_waitcnt vmcnt(1) lgkmcnt(0)
	v_mul_f64 v[32:33], v[210:211], v[4:5]
	v_mul_f64 v[4:5], v[208:209], v[4:5]
	v_fmac_f64_e32 v[4:5], v[210:211], v[2:3]
	v_fma_f64 v[32:33], v[208:209], v[2:3], -v[32:33]
	v_add_f64 v[24:25], v[24:25], v[4:5]
	ds_read_b128 v[2:5], v13 offset:1136
	v_add_f64 v[22:23], v[22:23], v[32:33]
	s_waitcnt vmcnt(0) lgkmcnt(0)
	v_mul_f64 v[32:33], v[4:5], v[198:199]
	v_fma_f64 v[32:33], v[2:3], v[196:197], -v[32:33]
	v_mul_f64 v[2:3], v[2:3], v[198:199]
	v_fmac_f64_e32 v[2:3], v[4:5], v[196:197]
	scratch_load_dwordx4 v[196:199], off, s15
	v_add_f64 v[24:25], v[24:25], v[2:3]
	ds_read_b128 v[2:5], v13 offset:1152
	v_add_f64 v[22:23], v[22:23], v[32:33]
	s_add_i32 s15, s14, 0xb0
	s_addk_i32 s14, 0xc0
	s_waitcnt vmcnt(0) lgkmcnt(0)
	v_mul_f64 v[32:33], v[4:5], v[198:199]
	v_fma_f64 v[32:33], v[2:3], v[196:197], -v[32:33]
	v_mul_f64 v[2:3], v[2:3], v[198:199]
	v_fmac_f64_e32 v[2:3], v[4:5], v[196:197]
	scratch_load_dwordx4 v[196:199], off, s15
	v_add_f64 v[24:25], v[24:25], v[2:3]
	ds_read_b128 v[2:5], v13 offset:1168
	v_add_f64 v[22:23], v[22:23], v[32:33]
	s_waitcnt vmcnt(0) lgkmcnt(0)
	v_mul_f64 v[32:33], v[4:5], v[198:199]
	v_fma_f64 v[32:33], v[2:3], v[196:197], -v[32:33]
	v_mul_f64 v[2:3], v[2:3], v[198:199]
	v_fmac_f64_e32 v[2:3], v[4:5], v[196:197]
	scratch_load_dwordx4 v[196:199], off, s14
	v_add_f64 v[24:25], v[24:25], v[2:3]
	ds_read_b128 v[2:5], v13 offset:1184
	v_add_f64 v[22:23], v[22:23], v[32:33]
	s_add_i32 s14, s13, 8
	v_cmp_eq_u32_e32 vcc, s14, v7
	s_add_i32 s13, s13, 13
	s_or_b64 s[10:11], vcc, s[10:11]
	s_waitcnt vmcnt(0) lgkmcnt(0)
	v_mul_f64 v[32:33], v[4:5], v[198:199]
	v_mul_f64 v[138:139], v[2:3], v[198:199]
	v_fma_f64 v[32:33], v[2:3], v[196:197], -v[32:33]
	v_fmac_f64_e32 v[138:139], v[4:5], v[196:197]
	v_add_f64 v[2:3], v[22:23], v[32:33]
	v_add_f64 v[4:5], v[24:25], v[138:139]
	v_mov_b32_e32 v196, s13
	s_mov_b32 s13, s14
	s_andn2_b64 exec, exec, s[10:11]
	s_cbranch_execnz .LBB61_781
; %bb.782:
	s_or_b64 exec, exec, s[10:11]
.LBB61_783:
	s_or_b64 exec, exec, s[2:3]
	v_and_b32_e32 v6, 7, v6
	v_cmp_ne_u32_e32 vcc, 0, v6
	s_and_saveexec_b64 s[2:3], vcc
	s_cbranch_execz .LBB61_787
; %bb.784:
	v_lshlrev_b32_e32 v13, 4, v196
	v_add_u32_e32 v7, 0x3e0, v13
	v_add_u32_e32 v195, 0, v13
	s_mov_b64 s[10:11], 0
.LBB61_785:                             ; =>This Inner Loop Header: Depth=1
	scratch_load_dwordx4 v[196:199], v195, off
	ds_read_b128 v[200:203], v7
	v_add_u32_e32 v6, -1, v6
	v_cmp_eq_u32_e32 vcc, 0, v6
	v_add_u32_e32 v7, 16, v7
	v_add_u32_e32 v195, 16, v195
	s_or_b64 s[10:11], vcc, s[10:11]
	s_waitcnt vmcnt(0) lgkmcnt(0)
	v_mul_f64 v[22:23], v[202:203], v[198:199]
	v_mul_f64 v[24:25], v[200:201], v[198:199]
	v_fma_f64 v[22:23], v[200:201], v[196:197], -v[22:23]
	v_fmac_f64_e32 v[24:25], v[202:203], v[196:197]
	v_add_f64 v[2:3], v[2:3], v[22:23]
	v_add_f64 v[4:5], v[4:5], v[24:25]
	s_andn2_b64 exec, exec, s[10:11]
	s_cbranch_execnz .LBB61_785
; %bb.786:
	s_or_b64 exec, exec, s[10:11]
.LBB61_787:
	s_or_b64 exec, exec, s[2:3]
.LBB61_788:
	s_or_b64 exec, exec, s[8:9]
	v_mov_b32_e32 v6, 0
	ds_read_b128 v[196:199], v6 offset:64
	s_waitcnt lgkmcnt(0)
	v_mul_f64 v[6:7], v[4:5], v[198:199]
	v_mul_f64 v[200:201], v[2:3], v[198:199]
	v_fma_f64 v[198:199], v[2:3], v[196:197], -v[6:7]
	v_fmac_f64_e32 v[200:201], v[4:5], v[196:197]
	scratch_store_dwordx4 off, v[198:201], off offset:64
.LBB61_789:
	s_or_b64 exec, exec, s[4:5]
	scratch_load_dwordx4 v[2:5], v192, off
	v_cmp_lt_u32_e64 s[2:3], 3, v0
	s_waitcnt vmcnt(0)
	ds_write_b128 v9, v[2:5]
	s_waitcnt lgkmcnt(0)
	; wave barrier
	s_waitcnt lgkmcnt(0)
	s_and_saveexec_b64 s[4:5], s[2:3]
	s_cbranch_execz .LBB61_803
; %bb.790:
	ds_read_b128 v[2:5], v9
	s_andn2_b64 vcc, exec, s[6:7]
	s_cbranch_vccnz .LBB61_792
; %bb.791:
	scratch_load_dwordx4 v[196:199], v8, off
	s_waitcnt vmcnt(0) lgkmcnt(0)
	v_mul_f64 v[22:23], v[2:3], v[198:199]
	v_mul_f64 v[6:7], v[4:5], v[198:199]
	v_fmac_f64_e32 v[22:23], v[4:5], v[196:197]
	v_fma_f64 v[2:3], v[2:3], v[196:197], -v[6:7]
	v_mov_b64_e32 v[4:5], v[22:23]
.LBB61_792:
	s_and_saveexec_b64 s[8:9], s[0:1]
	s_cbranch_execz .LBB61_802
; %bb.793:
	v_add_u32_e32 v7, -5, v0
	v_add_u32_e32 v6, -4, v0
	v_cmp_lt_u32_e32 vcc, 6, v7
	v_mov_b32_e32 v196, 4
	s_and_saveexec_b64 s[0:1], vcc
	s_cbranch_execz .LBB61_797
; %bb.794:
	v_and_b32_e32 v7, -8, v6
	s_mov_b32 s12, 0
	s_mov_b64 s[10:11], 0
	v_mov_b32_e32 v195, 0
	s_mov_b32 s13, 0
.LBB61_795:                             ; =>This Inner Loop Header: Depth=1
	v_readfirstlane_b32 s14, v195
	s_add_i32 s14, s14, s12
	s_add_i32 s15, s14, 64
	v_mov_b32_e32 v13, s12
	ds_read_b128 v[196:199], v13 offset:1056
	ds_read_b128 v[200:203], v13 offset:1072
	;; [unrolled: 1-line block ×4, first 2 shown]
	scratch_load_dwordx4 v[212:215], off, s15
	s_add_i32 s15, s14, 0x50
	s_addk_i32 s12, 0x80
	s_waitcnt vmcnt(0) lgkmcnt(3)
	v_mul_f64 v[22:23], v[198:199], v[214:215]
	v_mul_f64 v[24:25], v[196:197], v[214:215]
	v_fma_f64 v[22:23], v[196:197], v[212:213], -v[22:23]
	v_fmac_f64_e32 v[24:25], v[198:199], v[212:213]
	v_add_f64 v[22:23], v[2:3], v[22:23]
	v_add_f64 v[24:25], v[4:5], v[24:25]
	scratch_load_dwordx4 v[2:5], off, s15
	s_add_i32 s15, s14, 0x60
	s_waitcnt vmcnt(0) lgkmcnt(2)
	v_mul_f64 v[32:33], v[202:203], v[4:5]
	v_mul_f64 v[4:5], v[200:201], v[4:5]
	v_fmac_f64_e32 v[4:5], v[202:203], v[2:3]
	v_fma_f64 v[32:33], v[200:201], v[2:3], -v[32:33]
	v_add_f64 v[24:25], v[24:25], v[4:5]
	scratch_load_dwordx4 v[2:5], off, s15
	v_add_f64 v[22:23], v[22:23], v[32:33]
	s_add_i32 s15, s14, 0x70
	s_waitcnt vmcnt(0) lgkmcnt(1)
	v_mul_f64 v[32:33], v[206:207], v[4:5]
	v_mul_f64 v[4:5], v[204:205], v[4:5]
	v_fmac_f64_e32 v[4:5], v[206:207], v[2:3]
	v_fma_f64 v[32:33], v[204:205], v[2:3], -v[32:33]
	v_add_f64 v[24:25], v[24:25], v[4:5]
	scratch_load_dwordx4 v[2:5], off, s15
	s_add_i32 s15, s14, 0x80
	scratch_load_dwordx4 v[196:199], off, s15
	v_add_f64 v[22:23], v[22:23], v[32:33]
	s_add_i32 s15, s14, 0x90
	s_waitcnt vmcnt(1) lgkmcnt(0)
	v_mul_f64 v[32:33], v[210:211], v[4:5]
	v_mul_f64 v[4:5], v[208:209], v[4:5]
	v_fmac_f64_e32 v[4:5], v[210:211], v[2:3]
	v_fma_f64 v[32:33], v[208:209], v[2:3], -v[32:33]
	v_add_f64 v[24:25], v[24:25], v[4:5]
	ds_read_b128 v[2:5], v13 offset:1120
	v_add_f64 v[22:23], v[22:23], v[32:33]
	s_waitcnt vmcnt(0) lgkmcnt(0)
	v_mul_f64 v[32:33], v[4:5], v[198:199]
	v_fma_f64 v[32:33], v[2:3], v[196:197], -v[32:33]
	v_mul_f64 v[2:3], v[2:3], v[198:199]
	v_fmac_f64_e32 v[2:3], v[4:5], v[196:197]
	scratch_load_dwordx4 v[196:199], off, s15
	v_add_f64 v[24:25], v[24:25], v[2:3]
	ds_read_b128 v[2:5], v13 offset:1136
	v_add_f64 v[22:23], v[22:23], v[32:33]
	s_add_i32 s15, s14, 0xa0
	s_addk_i32 s14, 0xb0
	s_waitcnt vmcnt(0) lgkmcnt(0)
	v_mul_f64 v[32:33], v[4:5], v[198:199]
	v_fma_f64 v[32:33], v[2:3], v[196:197], -v[32:33]
	v_mul_f64 v[2:3], v[2:3], v[198:199]
	v_fmac_f64_e32 v[2:3], v[4:5], v[196:197]
	scratch_load_dwordx4 v[196:199], off, s15
	v_add_f64 v[24:25], v[24:25], v[2:3]
	ds_read_b128 v[2:5], v13 offset:1152
	v_add_f64 v[22:23], v[22:23], v[32:33]
	s_waitcnt vmcnt(0) lgkmcnt(0)
	v_mul_f64 v[32:33], v[4:5], v[198:199]
	v_fma_f64 v[32:33], v[2:3], v[196:197], -v[32:33]
	v_mul_f64 v[2:3], v[2:3], v[198:199]
	v_fmac_f64_e32 v[2:3], v[4:5], v[196:197]
	scratch_load_dwordx4 v[196:199], off, s14
	v_add_f64 v[24:25], v[24:25], v[2:3]
	ds_read_b128 v[2:5], v13 offset:1168
	v_add_f64 v[22:23], v[22:23], v[32:33]
	s_add_i32 s14, s13, 8
	v_cmp_eq_u32_e32 vcc, s14, v7
	s_add_i32 s13, s13, 12
	s_or_b64 s[10:11], vcc, s[10:11]
	s_waitcnt vmcnt(0) lgkmcnt(0)
	v_mul_f64 v[32:33], v[4:5], v[198:199]
	v_mul_f64 v[138:139], v[2:3], v[198:199]
	v_fma_f64 v[32:33], v[2:3], v[196:197], -v[32:33]
	v_fmac_f64_e32 v[138:139], v[4:5], v[196:197]
	v_add_f64 v[2:3], v[22:23], v[32:33]
	v_add_f64 v[4:5], v[24:25], v[138:139]
	v_mov_b32_e32 v196, s13
	s_mov_b32 s13, s14
	s_andn2_b64 exec, exec, s[10:11]
	s_cbranch_execnz .LBB61_795
; %bb.796:
	s_or_b64 exec, exec, s[10:11]
.LBB61_797:
	s_or_b64 exec, exec, s[0:1]
	v_and_b32_e32 v6, 7, v6
	v_cmp_ne_u32_e32 vcc, 0, v6
	s_and_saveexec_b64 s[0:1], vcc
	s_cbranch_execz .LBB61_801
; %bb.798:
	v_lshlrev_b32_e32 v13, 4, v196
	v_add_u32_e32 v7, 0x3e0, v13
	v_add_u32_e32 v195, 0, v13
	s_mov_b64 s[10:11], 0
.LBB61_799:                             ; =>This Inner Loop Header: Depth=1
	scratch_load_dwordx4 v[196:199], v195, off
	ds_read_b128 v[200:203], v7
	v_add_u32_e32 v6, -1, v6
	v_cmp_eq_u32_e32 vcc, 0, v6
	v_add_u32_e32 v7, 16, v7
	v_add_u32_e32 v195, 16, v195
	s_or_b64 s[10:11], vcc, s[10:11]
	s_waitcnt vmcnt(0) lgkmcnt(0)
	v_mul_f64 v[22:23], v[202:203], v[198:199]
	v_mul_f64 v[24:25], v[200:201], v[198:199]
	v_fma_f64 v[22:23], v[200:201], v[196:197], -v[22:23]
	v_fmac_f64_e32 v[24:25], v[202:203], v[196:197]
	v_add_f64 v[2:3], v[2:3], v[22:23]
	v_add_f64 v[4:5], v[4:5], v[24:25]
	s_andn2_b64 exec, exec, s[10:11]
	s_cbranch_execnz .LBB61_799
; %bb.800:
	s_or_b64 exec, exec, s[10:11]
.LBB61_801:
	s_or_b64 exec, exec, s[0:1]
.LBB61_802:
	s_or_b64 exec, exec, s[8:9]
	v_mov_b32_e32 v6, 0
	ds_read_b128 v[196:199], v6 offset:48
	s_waitcnt lgkmcnt(0)
	v_mul_f64 v[6:7], v[4:5], v[198:199]
	v_mul_f64 v[200:201], v[2:3], v[198:199]
	v_fma_f64 v[198:199], v[2:3], v[196:197], -v[6:7]
	v_fmac_f64_e32 v[200:201], v[4:5], v[196:197]
	scratch_store_dwordx4 off, v[198:201], off offset:48
.LBB61_803:
	s_or_b64 exec, exec, s[4:5]
	scratch_load_dwordx4 v[2:5], v193, off
	v_cmp_lt_u32_e64 s[4:5], 2, v0
	s_waitcnt vmcnt(0)
	ds_write_b128 v9, v[2:5]
	s_waitcnt lgkmcnt(0)
	; wave barrier
	s_waitcnt lgkmcnt(0)
	s_and_saveexec_b64 s[0:1], s[4:5]
	s_cbranch_execz .LBB61_817
; %bb.804:
	ds_read_b128 v[2:5], v9
	s_andn2_b64 vcc, exec, s[6:7]
	s_cbranch_vccnz .LBB61_806
; %bb.805:
	scratch_load_dwordx4 v[196:199], v8, off
	s_waitcnt vmcnt(0) lgkmcnt(0)
	v_mul_f64 v[22:23], v[2:3], v[198:199]
	v_mul_f64 v[6:7], v[4:5], v[198:199]
	v_fmac_f64_e32 v[22:23], v[4:5], v[196:197]
	v_fma_f64 v[2:3], v[2:3], v[196:197], -v[6:7]
	v_mov_b64_e32 v[4:5], v[22:23]
.LBB61_806:
	s_and_saveexec_b64 s[8:9], s[2:3]
	s_cbranch_execz .LBB61_816
; %bb.807:
	v_add_u32_e32 v7, -4, v0
	v_add_u32_e32 v6, -3, v0
	v_cmp_lt_u32_e32 vcc, 6, v7
	v_mov_b32_e32 v196, 3
	s_and_saveexec_b64 s[2:3], vcc
	s_cbranch_execz .LBB61_811
; %bb.808:
	v_and_b32_e32 v7, -8, v6
	s_mov_b32 s12, 0
	s_mov_b64 s[10:11], 0
	v_mov_b32_e32 v195, 0
	s_mov_b32 s13, 0
.LBB61_809:                             ; =>This Inner Loop Header: Depth=1
	v_readfirstlane_b32 s14, v195
	s_add_i32 s14, s14, s12
	s_add_i32 s15, s14, 48
	v_mov_b32_e32 v13, s12
	ds_read_b128 v[196:199], v13 offset:1040
	ds_read_b128 v[200:203], v13 offset:1056
	;; [unrolled: 1-line block ×4, first 2 shown]
	scratch_load_dwordx4 v[212:215], off, s15
	s_add_i32 s15, s14, 64
	s_addk_i32 s12, 0x80
	s_waitcnt vmcnt(0) lgkmcnt(3)
	v_mul_f64 v[22:23], v[198:199], v[214:215]
	v_mul_f64 v[24:25], v[196:197], v[214:215]
	v_fma_f64 v[22:23], v[196:197], v[212:213], -v[22:23]
	v_fmac_f64_e32 v[24:25], v[198:199], v[212:213]
	v_add_f64 v[22:23], v[2:3], v[22:23]
	v_add_f64 v[24:25], v[4:5], v[24:25]
	scratch_load_dwordx4 v[2:5], off, s15
	s_add_i32 s15, s14, 0x50
	s_waitcnt vmcnt(0) lgkmcnt(2)
	v_mul_f64 v[32:33], v[202:203], v[4:5]
	v_mul_f64 v[4:5], v[200:201], v[4:5]
	v_fmac_f64_e32 v[4:5], v[202:203], v[2:3]
	v_fma_f64 v[32:33], v[200:201], v[2:3], -v[32:33]
	v_add_f64 v[24:25], v[24:25], v[4:5]
	scratch_load_dwordx4 v[2:5], off, s15
	v_add_f64 v[22:23], v[22:23], v[32:33]
	s_add_i32 s15, s14, 0x60
	s_waitcnt vmcnt(0) lgkmcnt(1)
	v_mul_f64 v[32:33], v[206:207], v[4:5]
	v_mul_f64 v[4:5], v[204:205], v[4:5]
	v_fmac_f64_e32 v[4:5], v[206:207], v[2:3]
	v_fma_f64 v[32:33], v[204:205], v[2:3], -v[32:33]
	v_add_f64 v[24:25], v[24:25], v[4:5]
	scratch_load_dwordx4 v[2:5], off, s15
	s_add_i32 s15, s14, 0x70
	scratch_load_dwordx4 v[196:199], off, s15
	v_add_f64 v[22:23], v[22:23], v[32:33]
	s_add_i32 s15, s14, 0x80
	s_waitcnt vmcnt(1) lgkmcnt(0)
	v_mul_f64 v[32:33], v[210:211], v[4:5]
	v_mul_f64 v[4:5], v[208:209], v[4:5]
	v_fmac_f64_e32 v[4:5], v[210:211], v[2:3]
	v_fma_f64 v[32:33], v[208:209], v[2:3], -v[32:33]
	v_add_f64 v[24:25], v[24:25], v[4:5]
	ds_read_b128 v[2:5], v13 offset:1104
	v_add_f64 v[22:23], v[22:23], v[32:33]
	s_waitcnt vmcnt(0) lgkmcnt(0)
	v_mul_f64 v[32:33], v[4:5], v[198:199]
	v_fma_f64 v[32:33], v[2:3], v[196:197], -v[32:33]
	v_mul_f64 v[2:3], v[2:3], v[198:199]
	v_fmac_f64_e32 v[2:3], v[4:5], v[196:197]
	scratch_load_dwordx4 v[196:199], off, s15
	v_add_f64 v[24:25], v[24:25], v[2:3]
	ds_read_b128 v[2:5], v13 offset:1120
	v_add_f64 v[22:23], v[22:23], v[32:33]
	s_add_i32 s15, s14, 0x90
	s_addk_i32 s14, 0xa0
	s_waitcnt vmcnt(0) lgkmcnt(0)
	v_mul_f64 v[32:33], v[4:5], v[198:199]
	v_fma_f64 v[32:33], v[2:3], v[196:197], -v[32:33]
	v_mul_f64 v[2:3], v[2:3], v[198:199]
	v_fmac_f64_e32 v[2:3], v[4:5], v[196:197]
	scratch_load_dwordx4 v[196:199], off, s15
	v_add_f64 v[24:25], v[24:25], v[2:3]
	ds_read_b128 v[2:5], v13 offset:1136
	v_add_f64 v[22:23], v[22:23], v[32:33]
	s_waitcnt vmcnt(0) lgkmcnt(0)
	v_mul_f64 v[32:33], v[4:5], v[198:199]
	v_fma_f64 v[32:33], v[2:3], v[196:197], -v[32:33]
	v_mul_f64 v[2:3], v[2:3], v[198:199]
	v_fmac_f64_e32 v[2:3], v[4:5], v[196:197]
	scratch_load_dwordx4 v[196:199], off, s14
	v_add_f64 v[24:25], v[24:25], v[2:3]
	ds_read_b128 v[2:5], v13 offset:1152
	v_add_f64 v[22:23], v[22:23], v[32:33]
	s_add_i32 s14, s13, 8
	v_cmp_eq_u32_e32 vcc, s14, v7
	s_add_i32 s13, s13, 11
	s_or_b64 s[10:11], vcc, s[10:11]
	s_waitcnt vmcnt(0) lgkmcnt(0)
	v_mul_f64 v[32:33], v[4:5], v[198:199]
	v_mul_f64 v[138:139], v[2:3], v[198:199]
	v_fma_f64 v[32:33], v[2:3], v[196:197], -v[32:33]
	v_fmac_f64_e32 v[138:139], v[4:5], v[196:197]
	v_add_f64 v[2:3], v[22:23], v[32:33]
	v_add_f64 v[4:5], v[24:25], v[138:139]
	v_mov_b32_e32 v196, s13
	s_mov_b32 s13, s14
	s_andn2_b64 exec, exec, s[10:11]
	s_cbranch_execnz .LBB61_809
; %bb.810:
	s_or_b64 exec, exec, s[10:11]
.LBB61_811:
	s_or_b64 exec, exec, s[2:3]
	v_and_b32_e32 v6, 7, v6
	v_cmp_ne_u32_e32 vcc, 0, v6
	s_and_saveexec_b64 s[2:3], vcc
	s_cbranch_execz .LBB61_815
; %bb.812:
	v_lshlrev_b32_e32 v13, 4, v196
	v_add_u32_e32 v7, 0x3e0, v13
	v_add_u32_e32 v195, 0, v13
	s_mov_b64 s[10:11], 0
.LBB61_813:                             ; =>This Inner Loop Header: Depth=1
	scratch_load_dwordx4 v[196:199], v195, off
	ds_read_b128 v[200:203], v7
	v_add_u32_e32 v6, -1, v6
	v_cmp_eq_u32_e32 vcc, 0, v6
	v_add_u32_e32 v7, 16, v7
	v_add_u32_e32 v195, 16, v195
	s_or_b64 s[10:11], vcc, s[10:11]
	s_waitcnt vmcnt(0) lgkmcnt(0)
	v_mul_f64 v[22:23], v[202:203], v[198:199]
	v_mul_f64 v[24:25], v[200:201], v[198:199]
	v_fma_f64 v[22:23], v[200:201], v[196:197], -v[22:23]
	v_fmac_f64_e32 v[24:25], v[202:203], v[196:197]
	v_add_f64 v[2:3], v[2:3], v[22:23]
	v_add_f64 v[4:5], v[4:5], v[24:25]
	s_andn2_b64 exec, exec, s[10:11]
	s_cbranch_execnz .LBB61_813
; %bb.814:
	s_or_b64 exec, exec, s[10:11]
.LBB61_815:
	s_or_b64 exec, exec, s[2:3]
.LBB61_816:
	s_or_b64 exec, exec, s[8:9]
	v_mov_b32_e32 v6, 0
	ds_read_b128 v[196:199], v6 offset:32
	s_waitcnt lgkmcnt(0)
	v_mul_f64 v[6:7], v[4:5], v[198:199]
	v_mul_f64 v[200:201], v[2:3], v[198:199]
	v_fma_f64 v[198:199], v[2:3], v[196:197], -v[6:7]
	v_fmac_f64_e32 v[200:201], v[4:5], v[196:197]
	scratch_store_dwordx4 off, v[198:201], off offset:32
.LBB61_817:
	s_or_b64 exec, exec, s[0:1]
	scratch_load_dwordx4 v[2:5], v194, off
	v_cmp_lt_u32_e64 s[0:1], 1, v0
	s_waitcnt vmcnt(0)
	ds_write_b128 v9, v[2:5]
	s_waitcnt lgkmcnt(0)
	; wave barrier
	s_waitcnt lgkmcnt(0)
	s_and_saveexec_b64 s[2:3], s[0:1]
	s_cbranch_execz .LBB61_831
; %bb.818:
	ds_read_b128 v[2:5], v9
	s_andn2_b64 vcc, exec, s[6:7]
	s_cbranch_vccnz .LBB61_820
; %bb.819:
	scratch_load_dwordx4 v[196:199], v8, off
	s_waitcnt vmcnt(0) lgkmcnt(0)
	v_mul_f64 v[22:23], v[2:3], v[198:199]
	v_mul_f64 v[6:7], v[4:5], v[198:199]
	v_fmac_f64_e32 v[22:23], v[4:5], v[196:197]
	v_fma_f64 v[2:3], v[2:3], v[196:197], -v[6:7]
	v_mov_b64_e32 v[4:5], v[22:23]
.LBB61_820:
	s_and_saveexec_b64 s[8:9], s[4:5]
	s_cbranch_execz .LBB61_830
; %bb.821:
	v_add_u32_e32 v7, -3, v0
	v_add_u32_e32 v6, -2, v0
	v_cmp_lt_u32_e32 vcc, 6, v7
	v_mov_b32_e32 v196, 2
	s_and_saveexec_b64 s[4:5], vcc
	s_cbranch_execz .LBB61_825
; %bb.822:
	v_and_b32_e32 v7, -8, v6
	s_mov_b32 s12, 0
	s_mov_b64 s[10:11], 0
	v_mov_b32_e32 v195, 0
	s_mov_b32 s13, 0
.LBB61_823:                             ; =>This Inner Loop Header: Depth=1
	v_readfirstlane_b32 s14, v195
	s_add_i32 s14, s14, s12
	s_add_i32 s15, s14, 32
	v_mov_b32_e32 v13, s12
	ds_read_b128 v[196:199], v13 offset:1024
	ds_read_b128 v[200:203], v13 offset:1040
	;; [unrolled: 1-line block ×4, first 2 shown]
	scratch_load_dwordx4 v[212:215], off, s15
	s_add_i32 s15, s14, 48
	s_addk_i32 s12, 0x80
	s_waitcnt vmcnt(0) lgkmcnt(3)
	v_mul_f64 v[22:23], v[198:199], v[214:215]
	v_mul_f64 v[24:25], v[196:197], v[214:215]
	v_fma_f64 v[22:23], v[196:197], v[212:213], -v[22:23]
	v_fmac_f64_e32 v[24:25], v[198:199], v[212:213]
	v_add_f64 v[22:23], v[2:3], v[22:23]
	v_add_f64 v[24:25], v[4:5], v[24:25]
	scratch_load_dwordx4 v[2:5], off, s15
	s_add_i32 s15, s14, 64
	s_waitcnt vmcnt(0) lgkmcnt(2)
	v_mul_f64 v[32:33], v[202:203], v[4:5]
	v_mul_f64 v[4:5], v[200:201], v[4:5]
	v_fmac_f64_e32 v[4:5], v[202:203], v[2:3]
	v_fma_f64 v[32:33], v[200:201], v[2:3], -v[32:33]
	v_add_f64 v[24:25], v[24:25], v[4:5]
	scratch_load_dwordx4 v[2:5], off, s15
	v_add_f64 v[22:23], v[22:23], v[32:33]
	s_add_i32 s15, s14, 0x50
	s_waitcnt vmcnt(0) lgkmcnt(1)
	v_mul_f64 v[32:33], v[206:207], v[4:5]
	v_mul_f64 v[4:5], v[204:205], v[4:5]
	v_fmac_f64_e32 v[4:5], v[206:207], v[2:3]
	v_fma_f64 v[32:33], v[204:205], v[2:3], -v[32:33]
	v_add_f64 v[24:25], v[24:25], v[4:5]
	scratch_load_dwordx4 v[2:5], off, s15
	s_add_i32 s15, s14, 0x60
	scratch_load_dwordx4 v[196:199], off, s15
	v_add_f64 v[22:23], v[22:23], v[32:33]
	s_add_i32 s15, s14, 0x70
	s_waitcnt vmcnt(1) lgkmcnt(0)
	v_mul_f64 v[32:33], v[210:211], v[4:5]
	v_mul_f64 v[4:5], v[208:209], v[4:5]
	v_fmac_f64_e32 v[4:5], v[210:211], v[2:3]
	v_fma_f64 v[32:33], v[208:209], v[2:3], -v[32:33]
	v_add_f64 v[24:25], v[24:25], v[4:5]
	ds_read_b128 v[2:5], v13 offset:1088
	v_add_f64 v[22:23], v[22:23], v[32:33]
	s_waitcnt vmcnt(0) lgkmcnt(0)
	v_mul_f64 v[32:33], v[4:5], v[198:199]
	v_fma_f64 v[32:33], v[2:3], v[196:197], -v[32:33]
	v_mul_f64 v[2:3], v[2:3], v[198:199]
	v_fmac_f64_e32 v[2:3], v[4:5], v[196:197]
	scratch_load_dwordx4 v[196:199], off, s15
	v_add_f64 v[24:25], v[24:25], v[2:3]
	ds_read_b128 v[2:5], v13 offset:1104
	v_add_f64 v[22:23], v[22:23], v[32:33]
	s_add_i32 s15, s14, 0x80
	s_addk_i32 s14, 0x90
	s_waitcnt vmcnt(0) lgkmcnt(0)
	v_mul_f64 v[32:33], v[4:5], v[198:199]
	v_fma_f64 v[32:33], v[2:3], v[196:197], -v[32:33]
	v_mul_f64 v[2:3], v[2:3], v[198:199]
	v_fmac_f64_e32 v[2:3], v[4:5], v[196:197]
	scratch_load_dwordx4 v[196:199], off, s15
	v_add_f64 v[24:25], v[24:25], v[2:3]
	ds_read_b128 v[2:5], v13 offset:1120
	v_add_f64 v[22:23], v[22:23], v[32:33]
	s_waitcnt vmcnt(0) lgkmcnt(0)
	v_mul_f64 v[32:33], v[4:5], v[198:199]
	v_fma_f64 v[32:33], v[2:3], v[196:197], -v[32:33]
	v_mul_f64 v[2:3], v[2:3], v[198:199]
	v_fmac_f64_e32 v[2:3], v[4:5], v[196:197]
	scratch_load_dwordx4 v[196:199], off, s14
	v_add_f64 v[24:25], v[24:25], v[2:3]
	ds_read_b128 v[2:5], v13 offset:1136
	v_add_f64 v[22:23], v[22:23], v[32:33]
	s_add_i32 s14, s13, 8
	v_cmp_eq_u32_e32 vcc, s14, v7
	s_add_i32 s13, s13, 10
	s_or_b64 s[10:11], vcc, s[10:11]
	s_waitcnt vmcnt(0) lgkmcnt(0)
	v_mul_f64 v[32:33], v[4:5], v[198:199]
	v_mul_f64 v[138:139], v[2:3], v[198:199]
	v_fma_f64 v[32:33], v[2:3], v[196:197], -v[32:33]
	v_fmac_f64_e32 v[138:139], v[4:5], v[196:197]
	v_add_f64 v[2:3], v[22:23], v[32:33]
	v_add_f64 v[4:5], v[24:25], v[138:139]
	v_mov_b32_e32 v196, s13
	s_mov_b32 s13, s14
	s_andn2_b64 exec, exec, s[10:11]
	s_cbranch_execnz .LBB61_823
; %bb.824:
	s_or_b64 exec, exec, s[10:11]
.LBB61_825:
	s_or_b64 exec, exec, s[4:5]
	v_and_b32_e32 v6, 7, v6
	v_cmp_ne_u32_e32 vcc, 0, v6
	s_and_saveexec_b64 s[4:5], vcc
	s_cbranch_execz .LBB61_829
; %bb.826:
	v_lshlrev_b32_e32 v13, 4, v196
	v_add_u32_e32 v7, 0x3e0, v13
	v_add_u32_e32 v195, 0, v13
	s_mov_b64 s[10:11], 0
.LBB61_827:                             ; =>This Inner Loop Header: Depth=1
	scratch_load_dwordx4 v[196:199], v195, off
	ds_read_b128 v[200:203], v7
	v_add_u32_e32 v6, -1, v6
	v_cmp_eq_u32_e32 vcc, 0, v6
	v_add_u32_e32 v7, 16, v7
	v_add_u32_e32 v195, 16, v195
	s_or_b64 s[10:11], vcc, s[10:11]
	s_waitcnt vmcnt(0) lgkmcnt(0)
	v_mul_f64 v[22:23], v[202:203], v[198:199]
	v_mul_f64 v[24:25], v[200:201], v[198:199]
	v_fma_f64 v[22:23], v[200:201], v[196:197], -v[22:23]
	v_fmac_f64_e32 v[24:25], v[202:203], v[196:197]
	v_add_f64 v[2:3], v[2:3], v[22:23]
	v_add_f64 v[4:5], v[4:5], v[24:25]
	s_andn2_b64 exec, exec, s[10:11]
	s_cbranch_execnz .LBB61_827
; %bb.828:
	s_or_b64 exec, exec, s[10:11]
.LBB61_829:
	s_or_b64 exec, exec, s[4:5]
.LBB61_830:
	s_or_b64 exec, exec, s[8:9]
	v_mov_b32_e32 v6, 0
	ds_read_b128 v[196:199], v6 offset:16
	s_waitcnt lgkmcnt(0)
	v_mul_f64 v[6:7], v[4:5], v[198:199]
	v_mul_f64 v[200:201], v[2:3], v[198:199]
	v_fma_f64 v[198:199], v[2:3], v[196:197], -v[6:7]
	v_fmac_f64_e32 v[200:201], v[4:5], v[196:197]
	scratch_store_dwordx4 off, v[198:201], off offset:16
.LBB61_831:
	s_or_b64 exec, exec, s[2:3]
	scratch_load_dwordx4 v[2:5], off, off
	v_cmp_ne_u32_e32 vcc, 0, v0
	s_mov_b64 s[2:3], 0
	s_mov_b64 s[10:11], 0
                                        ; implicit-def: $vgpr6_vgpr7
                                        ; implicit-def: $vgpr195
	s_waitcnt vmcnt(0)
	ds_write_b128 v9, v[2:5]
	s_waitcnt lgkmcnt(0)
	; wave barrier
	s_waitcnt lgkmcnt(0)
	s_and_saveexec_b64 s[4:5], vcc
	s_cbranch_execz .LBB61_845
; %bb.832:
	ds_read_b128 v[2:5], v9
	s_andn2_b64 vcc, exec, s[6:7]
	s_cbranch_vccnz .LBB61_834
; %bb.833:
	scratch_load_dwordx4 v[196:199], v8, off
	s_waitcnt vmcnt(0) lgkmcnt(0)
	v_mul_f64 v[22:23], v[2:3], v[198:199]
	v_mul_f64 v[6:7], v[4:5], v[198:199]
	v_fmac_f64_e32 v[22:23], v[4:5], v[196:197]
	v_fma_f64 v[2:3], v[2:3], v[196:197], -v[6:7]
	v_mov_b64_e32 v[4:5], v[22:23]
.LBB61_834:
	s_and_saveexec_b64 s[8:9], s[0:1]
	s_cbranch_execz .LBB61_844
; %bb.835:
	v_add_u32_e32 v7, -2, v0
	v_add_u32_e32 v6, -1, v0
	v_cmp_lt_u32_e32 vcc, 6, v7
	v_mov_b32_e32 v196, 1
	s_and_saveexec_b64 s[0:1], vcc
	s_cbranch_execz .LBB61_839
; %bb.836:
	v_and_b32_e32 v7, -8, v6
	s_mov_b32 s12, 0
	v_mov_b32_e32 v195, 0
	s_mov_b32 s13, 0
.LBB61_837:                             ; =>This Inner Loop Header: Depth=1
	v_readfirstlane_b32 s14, v195
	s_add_i32 s14, s14, s12
	s_add_i32 s15, s14, 16
	v_mov_b32_e32 v13, s12
	ds_read_b128 v[196:199], v13 offset:1008
	ds_read_b128 v[200:203], v13 offset:1024
	;; [unrolled: 1-line block ×4, first 2 shown]
	scratch_load_dwordx4 v[212:215], off, s15
	s_add_i32 s15, s14, 32
	s_addk_i32 s12, 0x80
	s_waitcnt vmcnt(0) lgkmcnt(3)
	v_mul_f64 v[22:23], v[198:199], v[214:215]
	v_mul_f64 v[24:25], v[196:197], v[214:215]
	v_fma_f64 v[22:23], v[196:197], v[212:213], -v[22:23]
	v_fmac_f64_e32 v[24:25], v[198:199], v[212:213]
	v_add_f64 v[22:23], v[2:3], v[22:23]
	v_add_f64 v[24:25], v[4:5], v[24:25]
	scratch_load_dwordx4 v[2:5], off, s15
	s_add_i32 s15, s14, 48
	s_waitcnt vmcnt(0) lgkmcnt(2)
	v_mul_f64 v[32:33], v[202:203], v[4:5]
	v_mul_f64 v[4:5], v[200:201], v[4:5]
	v_fmac_f64_e32 v[4:5], v[202:203], v[2:3]
	v_fma_f64 v[32:33], v[200:201], v[2:3], -v[32:33]
	v_add_f64 v[24:25], v[24:25], v[4:5]
	scratch_load_dwordx4 v[2:5], off, s15
	v_add_f64 v[22:23], v[22:23], v[32:33]
	s_add_i32 s15, s14, 64
	s_waitcnt vmcnt(0) lgkmcnt(1)
	v_mul_f64 v[32:33], v[206:207], v[4:5]
	v_mul_f64 v[4:5], v[204:205], v[4:5]
	v_fmac_f64_e32 v[4:5], v[206:207], v[2:3]
	v_fma_f64 v[32:33], v[204:205], v[2:3], -v[32:33]
	v_add_f64 v[24:25], v[24:25], v[4:5]
	scratch_load_dwordx4 v[2:5], off, s15
	s_add_i32 s15, s14, 0x50
	scratch_load_dwordx4 v[196:199], off, s15
	v_add_f64 v[22:23], v[22:23], v[32:33]
	s_add_i32 s15, s14, 0x60
	s_waitcnt vmcnt(1) lgkmcnt(0)
	v_mul_f64 v[32:33], v[210:211], v[4:5]
	v_mul_f64 v[4:5], v[208:209], v[4:5]
	v_fmac_f64_e32 v[4:5], v[210:211], v[2:3]
	v_fma_f64 v[32:33], v[208:209], v[2:3], -v[32:33]
	v_add_f64 v[24:25], v[24:25], v[4:5]
	ds_read_b128 v[2:5], v13 offset:1072
	v_add_f64 v[22:23], v[22:23], v[32:33]
	s_waitcnt vmcnt(0) lgkmcnt(0)
	v_mul_f64 v[32:33], v[4:5], v[198:199]
	v_fma_f64 v[32:33], v[2:3], v[196:197], -v[32:33]
	v_mul_f64 v[2:3], v[2:3], v[198:199]
	v_fmac_f64_e32 v[2:3], v[4:5], v[196:197]
	scratch_load_dwordx4 v[196:199], off, s15
	v_add_f64 v[24:25], v[24:25], v[2:3]
	ds_read_b128 v[2:5], v13 offset:1088
	v_add_f64 v[22:23], v[22:23], v[32:33]
	s_add_i32 s15, s14, 0x70
	s_addk_i32 s14, 0x80
	s_waitcnt vmcnt(0) lgkmcnt(0)
	v_mul_f64 v[32:33], v[4:5], v[198:199]
	v_fma_f64 v[32:33], v[2:3], v[196:197], -v[32:33]
	v_mul_f64 v[2:3], v[2:3], v[198:199]
	v_fmac_f64_e32 v[2:3], v[4:5], v[196:197]
	scratch_load_dwordx4 v[196:199], off, s15
	v_add_f64 v[24:25], v[24:25], v[2:3]
	ds_read_b128 v[2:5], v13 offset:1104
	v_add_f64 v[22:23], v[22:23], v[32:33]
	s_waitcnt vmcnt(0) lgkmcnt(0)
	v_mul_f64 v[32:33], v[4:5], v[198:199]
	v_fma_f64 v[32:33], v[2:3], v[196:197], -v[32:33]
	v_mul_f64 v[2:3], v[2:3], v[198:199]
	v_fmac_f64_e32 v[2:3], v[4:5], v[196:197]
	scratch_load_dwordx4 v[196:199], off, s14
	v_add_f64 v[24:25], v[24:25], v[2:3]
	ds_read_b128 v[2:5], v13 offset:1120
	v_add_f64 v[22:23], v[22:23], v[32:33]
	s_add_i32 s14, s13, 8
	v_cmp_eq_u32_e32 vcc, s14, v7
	s_add_i32 s13, s13, 9
	s_or_b64 s[10:11], vcc, s[10:11]
	s_waitcnt vmcnt(0) lgkmcnt(0)
	v_mul_f64 v[32:33], v[4:5], v[198:199]
	v_mul_f64 v[138:139], v[2:3], v[198:199]
	v_fma_f64 v[32:33], v[2:3], v[196:197], -v[32:33]
	v_fmac_f64_e32 v[138:139], v[4:5], v[196:197]
	v_add_f64 v[2:3], v[22:23], v[32:33]
	v_add_f64 v[4:5], v[24:25], v[138:139]
	v_mov_b32_e32 v196, s13
	s_mov_b32 s13, s14
	s_andn2_b64 exec, exec, s[10:11]
	s_cbranch_execnz .LBB61_837
; %bb.838:
	s_or_b64 exec, exec, s[10:11]
.LBB61_839:
	s_or_b64 exec, exec, s[0:1]
	v_and_b32_e32 v6, 7, v6
	v_cmp_ne_u32_e32 vcc, 0, v6
	s_and_saveexec_b64 s[0:1], vcc
	s_cbranch_execz .LBB61_843
; %bb.840:
	v_lshlrev_b32_e32 v13, 4, v196
	v_add_u32_e32 v7, 0x3e0, v13
	v_add_u32_e32 v195, 0, v13
	s_mov_b64 s[10:11], 0
.LBB61_841:                             ; =>This Inner Loop Header: Depth=1
	scratch_load_dwordx4 v[196:199], v195, off
	ds_read_b128 v[200:203], v7
	v_add_u32_e32 v6, -1, v6
	v_cmp_eq_u32_e32 vcc, 0, v6
	v_add_u32_e32 v7, 16, v7
	v_add_u32_e32 v195, 16, v195
	s_or_b64 s[10:11], vcc, s[10:11]
	s_waitcnt vmcnt(0) lgkmcnt(0)
	v_mul_f64 v[22:23], v[202:203], v[198:199]
	v_mul_f64 v[24:25], v[200:201], v[198:199]
	v_fma_f64 v[22:23], v[200:201], v[196:197], -v[22:23]
	v_fmac_f64_e32 v[24:25], v[202:203], v[196:197]
	v_add_f64 v[2:3], v[2:3], v[22:23]
	v_add_f64 v[4:5], v[4:5], v[24:25]
	s_andn2_b64 exec, exec, s[10:11]
	s_cbranch_execnz .LBB61_841
; %bb.842:
	s_or_b64 exec, exec, s[10:11]
.LBB61_843:
	s_or_b64 exec, exec, s[0:1]
.LBB61_844:
	s_or_b64 exec, exec, s[8:9]
	v_mov_b32_e32 v6, 0
	ds_read_b128 v[196:199], v6
	v_mov_b32_e32 v6, 0
	v_or_b32_e32 v195, 8, v6
	s_mov_b64 s[10:11], exec
	s_waitcnt lgkmcnt(0)
	v_mul_f64 v[22:23], v[4:5], v[198:199]
	v_mul_f64 v[6:7], v[2:3], v[198:199]
	v_fma_f64 v[2:3], v[2:3], v[196:197], -v[22:23]
	v_fmac_f64_e32 v[6:7], v[4:5], v[196:197]
	scratch_store_dwordx2 off, v[2:3], off
.LBB61_845:
	s_or_b64 exec, exec, s[4:5]
	s_and_b64 vcc, exec, s[2:3]
	s_cbranch_vccnz .LBB61_847
	s_branch .LBB61_1342
.LBB61_846:
	s_mov_b64 s[10:11], 0
                                        ; implicit-def: $vgpr6_vgpr7
                                        ; implicit-def: $vgpr195
	s_cbranch_execz .LBB61_1342
.LBB61_847:
	scratch_load_dwordx4 v[2:5], v194, off
	v_cndmask_b32_e64 v6, 0, 1, s[6:7]
	v_cmp_eq_u32_e64 s[2:3], 0, v0
	v_cmp_ne_u32_e64 s[0:1], 1, v6
	s_waitcnt vmcnt(0)
	ds_write_b128 v9, v[2:5]
	s_waitcnt lgkmcnt(0)
	; wave barrier
	s_waitcnt lgkmcnt(0)
	s_and_saveexec_b64 s[4:5], s[2:3]
	s_cbranch_execz .LBB61_851
; %bb.848:
	ds_read_b128 v[2:5], v9
	s_and_b64 vcc, exec, s[0:1]
	s_cbranch_vccnz .LBB61_850
; %bb.849:
	scratch_load_dwordx4 v[196:199], v8, off
	s_waitcnt vmcnt(0) lgkmcnt(0)
	v_mul_f64 v[22:23], v[2:3], v[198:199]
	v_mul_f64 v[6:7], v[4:5], v[198:199]
	v_fmac_f64_e32 v[22:23], v[4:5], v[196:197]
	v_fma_f64 v[2:3], v[2:3], v[196:197], -v[6:7]
	v_mov_b64_e32 v[4:5], v[22:23]
.LBB61_850:
	v_mov_b32_e32 v6, 0
	ds_read_b128 v[196:199], v6 offset:16
	s_waitcnt lgkmcnt(0)
	v_mul_f64 v[6:7], v[4:5], v[198:199]
	v_mul_f64 v[200:201], v[2:3], v[198:199]
	v_fma_f64 v[198:199], v[2:3], v[196:197], -v[6:7]
	v_fmac_f64_e32 v[200:201], v[4:5], v[196:197]
	scratch_store_dwordx4 off, v[198:201], off offset:16
.LBB61_851:
	s_or_b64 exec, exec, s[4:5]
	scratch_load_dwordx4 v[2:5], v193, off
	v_cmp_gt_u32_e32 vcc, 2, v0
	s_waitcnt vmcnt(0)
	ds_write_b128 v9, v[2:5]
	s_waitcnt lgkmcnt(0)
	; wave barrier
	s_waitcnt lgkmcnt(0)
	s_and_saveexec_b64 s[4:5], vcc
	s_cbranch_execz .LBB61_857
; %bb.852:
	ds_read_b128 v[2:5], v9
	s_and_b64 vcc, exec, s[0:1]
	s_cbranch_vccnz .LBB61_854
; %bb.853:
	scratch_load_dwordx4 v[196:199], v8, off
	s_waitcnt vmcnt(0) lgkmcnt(0)
	v_mul_f64 v[22:23], v[2:3], v[198:199]
	v_mul_f64 v[6:7], v[4:5], v[198:199]
	v_fmac_f64_e32 v[22:23], v[4:5], v[196:197]
	v_fma_f64 v[2:3], v[2:3], v[196:197], -v[6:7]
	v_mov_b64_e32 v[4:5], v[22:23]
.LBB61_854:
	s_and_saveexec_b64 s[6:7], s[2:3]
	s_cbranch_execz .LBB61_856
; %bb.855:
	scratch_load_dwordx4 v[196:199], v8, off offset:16
	ds_read_b128 v[200:203], v9 offset:16
	s_waitcnt vmcnt(0) lgkmcnt(0)
	v_mul_f64 v[6:7], v[202:203], v[198:199]
	v_mul_f64 v[22:23], v[200:201], v[198:199]
	v_fma_f64 v[6:7], v[200:201], v[196:197], -v[6:7]
	v_fmac_f64_e32 v[22:23], v[202:203], v[196:197]
	v_add_f64 v[2:3], v[2:3], v[6:7]
	v_add_f64 v[4:5], v[4:5], v[22:23]
.LBB61_856:
	s_or_b64 exec, exec, s[6:7]
	v_mov_b32_e32 v6, 0
	ds_read_b128 v[196:199], v6 offset:32
	s_waitcnt lgkmcnt(0)
	v_mul_f64 v[6:7], v[4:5], v[198:199]
	v_mul_f64 v[200:201], v[2:3], v[198:199]
	v_fma_f64 v[198:199], v[2:3], v[196:197], -v[6:7]
	v_fmac_f64_e32 v[200:201], v[4:5], v[196:197]
	scratch_store_dwordx4 off, v[198:201], off offset:32
.LBB61_857:
	s_or_b64 exec, exec, s[4:5]
	scratch_load_dwordx4 v[2:5], v192, off
	v_cmp_gt_u32_e64 s[4:5], 3, v0
	s_waitcnt vmcnt(0)
	ds_write_b128 v9, v[2:5]
	s_waitcnt lgkmcnt(0)
	; wave barrier
	s_waitcnt lgkmcnt(0)
	s_and_saveexec_b64 s[6:7], s[4:5]
	s_cbranch_execz .LBB61_865
; %bb.858:
	ds_read_b128 v[2:5], v9
	s_and_b64 vcc, exec, s[0:1]
	s_cbranch_vccnz .LBB61_860
; %bb.859:
	scratch_load_dwordx4 v[196:199], v8, off
	s_waitcnt vmcnt(0) lgkmcnt(0)
	v_mul_f64 v[22:23], v[2:3], v[198:199]
	v_mul_f64 v[6:7], v[4:5], v[198:199]
	v_fmac_f64_e32 v[22:23], v[4:5], v[196:197]
	v_fma_f64 v[2:3], v[2:3], v[196:197], -v[6:7]
	v_mov_b64_e32 v[4:5], v[22:23]
.LBB61_860:
	v_cmp_ne_u32_e32 vcc, 2, v0
	s_and_saveexec_b64 s[8:9], vcc
	s_cbranch_execz .LBB61_864
; %bb.861:
	scratch_load_dwordx4 v[196:199], v8, off offset:16
	ds_read_b128 v[200:203], v9 offset:16
	s_waitcnt vmcnt(0) lgkmcnt(0)
	v_mul_f64 v[6:7], v[202:203], v[198:199]
	v_mul_f64 v[22:23], v[200:201], v[198:199]
	v_fma_f64 v[6:7], v[200:201], v[196:197], -v[6:7]
	v_fmac_f64_e32 v[22:23], v[202:203], v[196:197]
	v_add_f64 v[2:3], v[2:3], v[6:7]
	v_add_f64 v[4:5], v[4:5], v[22:23]
	s_and_saveexec_b64 s[12:13], s[2:3]
	s_cbranch_execz .LBB61_863
; %bb.862:
	scratch_load_dwordx4 v[196:199], off, off offset:32
	v_mov_b32_e32 v6, 0
	ds_read_b128 v[200:203], v6 offset:1024
	s_waitcnt vmcnt(0) lgkmcnt(0)
	v_mul_f64 v[6:7], v[200:201], v[198:199]
	v_mul_f64 v[22:23], v[202:203], v[198:199]
	v_fmac_f64_e32 v[6:7], v[202:203], v[196:197]
	v_fma_f64 v[22:23], v[200:201], v[196:197], -v[22:23]
	v_add_f64 v[4:5], v[4:5], v[6:7]
	v_add_f64 v[2:3], v[2:3], v[22:23]
.LBB61_863:
	s_or_b64 exec, exec, s[12:13]
.LBB61_864:
	s_or_b64 exec, exec, s[8:9]
	v_mov_b32_e32 v6, 0
	ds_read_b128 v[196:199], v6 offset:48
	s_waitcnt lgkmcnt(0)
	v_mul_f64 v[6:7], v[4:5], v[198:199]
	v_mul_f64 v[200:201], v[2:3], v[198:199]
	v_fma_f64 v[198:199], v[2:3], v[196:197], -v[6:7]
	v_fmac_f64_e32 v[200:201], v[4:5], v[196:197]
	scratch_store_dwordx4 off, v[198:201], off offset:48
.LBB61_865:
	s_or_b64 exec, exec, s[6:7]
	scratch_load_dwordx4 v[2:5], v191, off
	v_cmp_gt_u32_e32 vcc, 4, v0
	s_waitcnt vmcnt(0)
	ds_write_b128 v9, v[2:5]
	s_waitcnt lgkmcnt(0)
	; wave barrier
	s_waitcnt lgkmcnt(0)
	s_and_saveexec_b64 s[6:7], vcc
	s_cbranch_execz .LBB61_873
; %bb.866:
	ds_read_b128 v[2:5], v9
	s_and_b64 vcc, exec, s[0:1]
	s_cbranch_vccnz .LBB61_868
; %bb.867:
	scratch_load_dwordx4 v[196:199], v8, off
	s_waitcnt vmcnt(0) lgkmcnt(0)
	v_mul_f64 v[22:23], v[2:3], v[198:199]
	v_mul_f64 v[6:7], v[4:5], v[198:199]
	v_fmac_f64_e32 v[22:23], v[4:5], v[196:197]
	v_fma_f64 v[2:3], v[2:3], v[196:197], -v[6:7]
	v_mov_b64_e32 v[4:5], v[22:23]
.LBB61_868:
	v_cmp_ne_u32_e32 vcc, 3, v0
	s_and_saveexec_b64 s[8:9], vcc
	s_cbranch_execz .LBB61_872
; %bb.869:
	v_mov_b32_e32 v7, 0
	v_add_u32_e32 v6, 0x3f0, v116
	v_add3_u32 v7, v116, v7, 24
	s_mov_b64 s[12:13], 0
	v_mov_b32_e32 v195, v0
.LBB61_870:                             ; =>This Inner Loop Header: Depth=1
	v_add_u32_e32 v13, -8, v7
	scratch_load_dwordx4 v[196:199], v13, off
	ds_read_b128 v[200:203], v6
	v_add_u32_e32 v195, 1, v195
	v_cmp_lt_u32_e32 vcc, 2, v195
	v_add_u32_e32 v6, 16, v6
	v_add_u32_e32 v7, 16, v7
	s_or_b64 s[12:13], vcc, s[12:13]
	s_waitcnt vmcnt(0) lgkmcnt(0)
	v_mul_f64 v[22:23], v[202:203], v[198:199]
	v_mul_f64 v[24:25], v[200:201], v[198:199]
	v_fma_f64 v[22:23], v[200:201], v[196:197], -v[22:23]
	v_fmac_f64_e32 v[24:25], v[202:203], v[196:197]
	v_add_f64 v[2:3], v[2:3], v[22:23]
	v_add_f64 v[4:5], v[4:5], v[24:25]
	s_andn2_b64 exec, exec, s[12:13]
	s_cbranch_execnz .LBB61_870
; %bb.871:
	s_or_b64 exec, exec, s[12:13]
.LBB61_872:
	s_or_b64 exec, exec, s[8:9]
	v_mov_b32_e32 v6, 0
	ds_read_b128 v[196:199], v6 offset:64
	s_waitcnt lgkmcnt(0)
	v_mul_f64 v[6:7], v[4:5], v[198:199]
	v_mul_f64 v[200:201], v[2:3], v[198:199]
	v_fma_f64 v[198:199], v[2:3], v[196:197], -v[6:7]
	v_fmac_f64_e32 v[200:201], v[4:5], v[196:197]
	scratch_store_dwordx4 off, v[198:201], off offset:64
.LBB61_873:
	s_or_b64 exec, exec, s[6:7]
	scratch_load_dwordx4 v[2:5], v190, off
	v_cmp_gt_u32_e64 s[6:7], 5, v0
	s_waitcnt vmcnt(0)
	ds_write_b128 v9, v[2:5]
	s_waitcnt lgkmcnt(0)
	; wave barrier
	s_waitcnt lgkmcnt(0)
	s_and_saveexec_b64 s[8:9], s[6:7]
	s_cbranch_execz .LBB61_881
; %bb.874:
	ds_read_b128 v[2:5], v9
	s_and_b64 vcc, exec, s[0:1]
	s_cbranch_vccnz .LBB61_876
; %bb.875:
	scratch_load_dwordx4 v[196:199], v8, off
	s_waitcnt vmcnt(0) lgkmcnt(0)
	v_mul_f64 v[22:23], v[2:3], v[198:199]
	v_mul_f64 v[6:7], v[4:5], v[198:199]
	v_fmac_f64_e32 v[22:23], v[4:5], v[196:197]
	v_fma_f64 v[2:3], v[2:3], v[196:197], -v[6:7]
	v_mov_b64_e32 v[4:5], v[22:23]
.LBB61_876:
	v_cmp_ne_u32_e32 vcc, 4, v0
	s_and_saveexec_b64 s[12:13], vcc
	s_cbranch_execz .LBB61_880
; %bb.877:
	v_mov_b32_e32 v7, 0
	v_add_u32_e32 v6, 0x3f0, v116
	v_add3_u32 v7, v116, v7, 24
	s_mov_b64 s[14:15], 0
	v_mov_b32_e32 v195, v0
.LBB61_878:                             ; =>This Inner Loop Header: Depth=1
	v_add_u32_e32 v13, -8, v7
	scratch_load_dwordx4 v[196:199], v13, off
	ds_read_b128 v[200:203], v6
	v_add_u32_e32 v195, 1, v195
	v_cmp_lt_u32_e32 vcc, 3, v195
	v_add_u32_e32 v6, 16, v6
	v_add_u32_e32 v7, 16, v7
	s_or_b64 s[14:15], vcc, s[14:15]
	s_waitcnt vmcnt(0) lgkmcnt(0)
	v_mul_f64 v[22:23], v[202:203], v[198:199]
	v_mul_f64 v[24:25], v[200:201], v[198:199]
	v_fma_f64 v[22:23], v[200:201], v[196:197], -v[22:23]
	v_fmac_f64_e32 v[24:25], v[202:203], v[196:197]
	v_add_f64 v[2:3], v[2:3], v[22:23]
	v_add_f64 v[4:5], v[4:5], v[24:25]
	s_andn2_b64 exec, exec, s[14:15]
	s_cbranch_execnz .LBB61_878
; %bb.879:
	s_or_b64 exec, exec, s[14:15]
.LBB61_880:
	s_or_b64 exec, exec, s[12:13]
	v_mov_b32_e32 v6, 0
	ds_read_b128 v[196:199], v6 offset:80
	s_waitcnt lgkmcnt(0)
	v_mul_f64 v[6:7], v[4:5], v[198:199]
	v_mul_f64 v[200:201], v[2:3], v[198:199]
	v_fma_f64 v[198:199], v[2:3], v[196:197], -v[6:7]
	v_fmac_f64_e32 v[200:201], v[4:5], v[196:197]
	scratch_store_dwordx4 off, v[198:201], off offset:80
.LBB61_881:
	s_or_b64 exec, exec, s[8:9]
	scratch_load_dwordx4 v[2:5], v189, off
	v_cmp_gt_u32_e32 vcc, 6, v0
	s_waitcnt vmcnt(0)
	ds_write_b128 v9, v[2:5]
	s_waitcnt lgkmcnt(0)
	; wave barrier
	s_waitcnt lgkmcnt(0)
	s_and_saveexec_b64 s[8:9], vcc
	s_cbranch_execz .LBB61_889
; %bb.882:
	ds_read_b128 v[2:5], v9
	s_and_b64 vcc, exec, s[0:1]
	s_cbranch_vccnz .LBB61_884
; %bb.883:
	scratch_load_dwordx4 v[196:199], v8, off
	s_waitcnt vmcnt(0) lgkmcnt(0)
	v_mul_f64 v[22:23], v[2:3], v[198:199]
	v_mul_f64 v[6:7], v[4:5], v[198:199]
	v_fmac_f64_e32 v[22:23], v[4:5], v[196:197]
	v_fma_f64 v[2:3], v[2:3], v[196:197], -v[6:7]
	v_mov_b64_e32 v[4:5], v[22:23]
.LBB61_884:
	v_cmp_ne_u32_e32 vcc, 5, v0
	s_and_saveexec_b64 s[12:13], vcc
	s_cbranch_execz .LBB61_888
; %bb.885:
	v_mov_b32_e32 v7, 0
	v_add_u32_e32 v6, 0x3f0, v116
	v_add3_u32 v7, v116, v7, 24
	s_mov_b64 s[14:15], 0
	v_mov_b32_e32 v195, v0
.LBB61_886:                             ; =>This Inner Loop Header: Depth=1
	v_add_u32_e32 v13, -8, v7
	scratch_load_dwordx4 v[196:199], v13, off
	ds_read_b128 v[200:203], v6
	v_add_u32_e32 v195, 1, v195
	v_cmp_lt_u32_e32 vcc, 4, v195
	v_add_u32_e32 v6, 16, v6
	v_add_u32_e32 v7, 16, v7
	s_or_b64 s[14:15], vcc, s[14:15]
	s_waitcnt vmcnt(0) lgkmcnt(0)
	v_mul_f64 v[22:23], v[202:203], v[198:199]
	v_mul_f64 v[24:25], v[200:201], v[198:199]
	v_fma_f64 v[22:23], v[200:201], v[196:197], -v[22:23]
	v_fmac_f64_e32 v[24:25], v[202:203], v[196:197]
	v_add_f64 v[2:3], v[2:3], v[22:23]
	v_add_f64 v[4:5], v[4:5], v[24:25]
	s_andn2_b64 exec, exec, s[14:15]
	s_cbranch_execnz .LBB61_886
; %bb.887:
	s_or_b64 exec, exec, s[14:15]
.LBB61_888:
	s_or_b64 exec, exec, s[12:13]
	v_mov_b32_e32 v6, 0
	ds_read_b128 v[196:199], v6 offset:96
	s_waitcnt lgkmcnt(0)
	v_mul_f64 v[6:7], v[4:5], v[198:199]
	v_mul_f64 v[200:201], v[2:3], v[198:199]
	v_fma_f64 v[198:199], v[2:3], v[196:197], -v[6:7]
	v_fmac_f64_e32 v[200:201], v[4:5], v[196:197]
	scratch_store_dwordx4 off, v[198:201], off offset:96
.LBB61_889:
	s_or_b64 exec, exec, s[8:9]
	scratch_load_dwordx4 v[2:5], v188, off
	v_cmp_gt_u32_e64 s[8:9], 7, v0
	s_waitcnt vmcnt(0)
	ds_write_b128 v9, v[2:5]
	s_waitcnt lgkmcnt(0)
	; wave barrier
	s_waitcnt lgkmcnt(0)
	s_and_saveexec_b64 s[12:13], s[8:9]
	s_cbranch_execz .LBB61_897
; %bb.890:
	ds_read_b128 v[2:5], v9
	s_and_b64 vcc, exec, s[0:1]
	s_cbranch_vccnz .LBB61_892
; %bb.891:
	scratch_load_dwordx4 v[196:199], v8, off
	s_waitcnt vmcnt(0) lgkmcnt(0)
	v_mul_f64 v[22:23], v[2:3], v[198:199]
	v_mul_f64 v[6:7], v[4:5], v[198:199]
	v_fmac_f64_e32 v[22:23], v[4:5], v[196:197]
	v_fma_f64 v[2:3], v[2:3], v[196:197], -v[6:7]
	v_mov_b64_e32 v[4:5], v[22:23]
.LBB61_892:
	v_cmp_ne_u32_e32 vcc, 6, v0
	s_and_saveexec_b64 s[14:15], vcc
	s_cbranch_execz .LBB61_896
; %bb.893:
	v_mov_b32_e32 v7, 0
	v_add_u32_e32 v6, 0x3f0, v116
	v_add3_u32 v7, v116, v7, 24
	s_mov_b64 s[16:17], 0
	v_mov_b32_e32 v195, v0
.LBB61_894:                             ; =>This Inner Loop Header: Depth=1
	v_add_u32_e32 v13, -8, v7
	scratch_load_dwordx4 v[196:199], v13, off
	ds_read_b128 v[200:203], v6
	v_add_u32_e32 v195, 1, v195
	v_cmp_lt_u32_e32 vcc, 5, v195
	v_add_u32_e32 v6, 16, v6
	v_add_u32_e32 v7, 16, v7
	s_or_b64 s[16:17], vcc, s[16:17]
	s_waitcnt vmcnt(0) lgkmcnt(0)
	v_mul_f64 v[22:23], v[202:203], v[198:199]
	v_mul_f64 v[24:25], v[200:201], v[198:199]
	v_fma_f64 v[22:23], v[200:201], v[196:197], -v[22:23]
	v_fmac_f64_e32 v[24:25], v[202:203], v[196:197]
	v_add_f64 v[2:3], v[2:3], v[22:23]
	v_add_f64 v[4:5], v[4:5], v[24:25]
	s_andn2_b64 exec, exec, s[16:17]
	s_cbranch_execnz .LBB61_894
; %bb.895:
	s_or_b64 exec, exec, s[16:17]
.LBB61_896:
	s_or_b64 exec, exec, s[14:15]
	v_mov_b32_e32 v6, 0
	ds_read_b128 v[196:199], v6 offset:112
	s_waitcnt lgkmcnt(0)
	v_mul_f64 v[6:7], v[4:5], v[198:199]
	v_mul_f64 v[200:201], v[2:3], v[198:199]
	v_fma_f64 v[198:199], v[2:3], v[196:197], -v[6:7]
	v_fmac_f64_e32 v[200:201], v[4:5], v[196:197]
	scratch_store_dwordx4 off, v[198:201], off offset:112
.LBB61_897:
	s_or_b64 exec, exec, s[12:13]
	scratch_load_dwordx4 v[2:5], v187, off
	v_cmp_gt_u32_e32 vcc, 8, v0
	s_waitcnt vmcnt(0)
	ds_write_b128 v9, v[2:5]
	s_waitcnt lgkmcnt(0)
	; wave barrier
	s_waitcnt lgkmcnt(0)
	s_and_saveexec_b64 s[12:13], vcc
	s_cbranch_execz .LBB61_905
; %bb.898:
	ds_read_b128 v[2:5], v9
	s_and_b64 vcc, exec, s[0:1]
	s_cbranch_vccnz .LBB61_900
; %bb.899:
	scratch_load_dwordx4 v[196:199], v8, off
	s_waitcnt vmcnt(0) lgkmcnt(0)
	v_mul_f64 v[22:23], v[2:3], v[198:199]
	v_mul_f64 v[6:7], v[4:5], v[198:199]
	v_fmac_f64_e32 v[22:23], v[4:5], v[196:197]
	v_fma_f64 v[2:3], v[2:3], v[196:197], -v[6:7]
	v_mov_b64_e32 v[4:5], v[22:23]
.LBB61_900:
	v_cmp_ne_u32_e32 vcc, 7, v0
	s_and_saveexec_b64 s[14:15], vcc
	s_cbranch_execz .LBB61_904
; %bb.901:
	v_mov_b32_e32 v7, 0
	v_add_u32_e32 v6, 0x3f0, v116
	v_add3_u32 v7, v116, v7, 24
	s_mov_b64 s[16:17], 0
	v_mov_b32_e32 v195, v0
.LBB61_902:                             ; =>This Inner Loop Header: Depth=1
	v_add_u32_e32 v13, -8, v7
	scratch_load_dwordx4 v[196:199], v13, off
	ds_read_b128 v[200:203], v6
	v_add_u32_e32 v195, 1, v195
	v_cmp_lt_u32_e32 vcc, 6, v195
	v_add_u32_e32 v6, 16, v6
	v_add_u32_e32 v7, 16, v7
	s_or_b64 s[16:17], vcc, s[16:17]
	s_waitcnt vmcnt(0) lgkmcnt(0)
	v_mul_f64 v[22:23], v[202:203], v[198:199]
	v_mul_f64 v[24:25], v[200:201], v[198:199]
	v_fma_f64 v[22:23], v[200:201], v[196:197], -v[22:23]
	v_fmac_f64_e32 v[24:25], v[202:203], v[196:197]
	v_add_f64 v[2:3], v[2:3], v[22:23]
	v_add_f64 v[4:5], v[4:5], v[24:25]
	s_andn2_b64 exec, exec, s[16:17]
	s_cbranch_execnz .LBB61_902
; %bb.903:
	s_or_b64 exec, exec, s[16:17]
.LBB61_904:
	s_or_b64 exec, exec, s[14:15]
	v_mov_b32_e32 v6, 0
	ds_read_b128 v[196:199], v6 offset:128
	s_waitcnt lgkmcnt(0)
	v_mul_f64 v[6:7], v[4:5], v[198:199]
	v_mul_f64 v[200:201], v[2:3], v[198:199]
	v_fma_f64 v[198:199], v[2:3], v[196:197], -v[6:7]
	v_fmac_f64_e32 v[200:201], v[4:5], v[196:197]
	scratch_store_dwordx4 off, v[198:201], off offset:128
.LBB61_905:
	s_or_b64 exec, exec, s[12:13]
	scratch_load_dwordx4 v[2:5], v186, off
	v_cmp_gt_u32_e32 vcc, 9, v0
	s_waitcnt vmcnt(0)
	ds_write_b128 v9, v[2:5]
	s_waitcnt lgkmcnt(0)
	; wave barrier
	s_waitcnt lgkmcnt(0)
	s_and_saveexec_b64 s[12:13], vcc
	s_cbranch_execz .LBB61_925
; %bb.906:
	ds_read_b128 v[2:5], v9
	s_and_b64 vcc, exec, s[0:1]
	s_cbranch_vccnz .LBB61_908
; %bb.907:
	scratch_load_dwordx4 v[196:199], v8, off
	s_waitcnt vmcnt(0) lgkmcnt(0)
	v_mul_f64 v[22:23], v[2:3], v[198:199]
	v_mul_f64 v[6:7], v[4:5], v[198:199]
	v_fmac_f64_e32 v[22:23], v[4:5], v[196:197]
	v_fma_f64 v[2:3], v[2:3], v[196:197], -v[6:7]
	v_mov_b64_e32 v[4:5], v[22:23]
.LBB61_908:
	v_cmp_ne_u32_e32 vcc, 8, v0
	s_and_saveexec_b64 s[14:15], vcc
	s_cbranch_execz .LBB61_924
; %bb.909:
	scratch_load_dwordx4 v[196:199], v8, off offset:16
	ds_read_b128 v[200:203], v9 offset:16
	s_waitcnt vmcnt(0) lgkmcnt(0)
	v_mul_f64 v[6:7], v[202:203], v[198:199]
	v_mul_f64 v[22:23], v[200:201], v[198:199]
	v_fma_f64 v[6:7], v[200:201], v[196:197], -v[6:7]
	v_fmac_f64_e32 v[22:23], v[202:203], v[196:197]
	v_add_f64 v[2:3], v[2:3], v[6:7]
	v_add_f64 v[4:5], v[4:5], v[22:23]
	s_and_saveexec_b64 s[16:17], s[8:9]
	s_cbranch_execz .LBB61_923
; %bb.910:
	scratch_load_dwordx4 v[196:199], v8, off offset:32
	ds_read_b128 v[200:203], v9 offset:32
	v_cmp_ne_u32_e32 vcc, 6, v0
	s_waitcnt vmcnt(0) lgkmcnt(0)
	v_mul_f64 v[6:7], v[202:203], v[198:199]
	v_mul_f64 v[22:23], v[200:201], v[198:199]
	v_fma_f64 v[6:7], v[200:201], v[196:197], -v[6:7]
	v_fmac_f64_e32 v[22:23], v[202:203], v[196:197]
	v_add_f64 v[2:3], v[2:3], v[6:7]
	v_add_f64 v[4:5], v[4:5], v[22:23]
	s_and_saveexec_b64 s[8:9], vcc
	s_cbranch_execz .LBB61_922
; %bb.911:
	scratch_load_dwordx4 v[196:199], v8, off offset:48
	ds_read_b128 v[200:203], v9 offset:48
	s_waitcnt vmcnt(0) lgkmcnt(0)
	v_mul_f64 v[6:7], v[202:203], v[198:199]
	v_mul_f64 v[22:23], v[200:201], v[198:199]
	v_fma_f64 v[6:7], v[200:201], v[196:197], -v[6:7]
	v_fmac_f64_e32 v[22:23], v[202:203], v[196:197]
	v_add_f64 v[2:3], v[2:3], v[6:7]
	v_add_f64 v[4:5], v[4:5], v[22:23]
	s_and_saveexec_b64 s[18:19], s[6:7]
	s_cbranch_execz .LBB61_921
; %bb.912:
	scratch_load_dwordx4 v[196:199], v8, off offset:64
	ds_read_b128 v[200:203], v9 offset:64
	v_cmp_ne_u32_e32 vcc, 4, v0
	s_waitcnt vmcnt(0) lgkmcnt(0)
	v_mul_f64 v[6:7], v[202:203], v[198:199]
	v_mul_f64 v[22:23], v[200:201], v[198:199]
	v_fma_f64 v[6:7], v[200:201], v[196:197], -v[6:7]
	v_fmac_f64_e32 v[22:23], v[202:203], v[196:197]
	v_add_f64 v[2:3], v[2:3], v[6:7]
	v_add_f64 v[4:5], v[4:5], v[22:23]
	s_and_saveexec_b64 s[6:7], vcc
	s_cbranch_execz .LBB61_920
; %bb.913:
	scratch_load_dwordx4 v[196:199], v8, off offset:80
	ds_read_b128 v[200:203], v9 offset:80
	s_waitcnt vmcnt(0) lgkmcnt(0)
	v_mul_f64 v[6:7], v[202:203], v[198:199]
	v_mul_f64 v[22:23], v[200:201], v[198:199]
	v_fma_f64 v[6:7], v[200:201], v[196:197], -v[6:7]
	v_fmac_f64_e32 v[22:23], v[202:203], v[196:197]
	v_add_f64 v[2:3], v[2:3], v[6:7]
	v_add_f64 v[4:5], v[4:5], v[22:23]
	s_and_saveexec_b64 s[20:21], s[4:5]
	s_cbranch_execz .LBB61_919
; %bb.914:
	scratch_load_dwordx4 v[196:199], v8, off offset:96
	ds_read_b128 v[200:203], v9 offset:96
	v_cmp_ne_u32_e32 vcc, 2, v0
	s_waitcnt vmcnt(0) lgkmcnt(0)
	v_mul_f64 v[6:7], v[202:203], v[198:199]
	v_mul_f64 v[22:23], v[200:201], v[198:199]
	v_fma_f64 v[6:7], v[200:201], v[196:197], -v[6:7]
	v_fmac_f64_e32 v[22:23], v[202:203], v[196:197]
	v_add_f64 v[2:3], v[2:3], v[6:7]
	v_add_f64 v[4:5], v[4:5], v[22:23]
	s_and_saveexec_b64 s[4:5], vcc
	s_cbranch_execz .LBB61_918
; %bb.915:
	scratch_load_dwordx4 v[196:199], v8, off offset:112
	ds_read_b128 v[200:203], v9 offset:112
	s_waitcnt vmcnt(0) lgkmcnt(0)
	v_mul_f64 v[6:7], v[202:203], v[198:199]
	v_mul_f64 v[22:23], v[200:201], v[198:199]
	v_fma_f64 v[6:7], v[200:201], v[196:197], -v[6:7]
	v_fmac_f64_e32 v[22:23], v[202:203], v[196:197]
	v_add_f64 v[2:3], v[2:3], v[6:7]
	v_add_f64 v[4:5], v[4:5], v[22:23]
	s_and_saveexec_b64 s[22:23], s[2:3]
	s_cbranch_execz .LBB61_917
; %bb.916:
	scratch_load_dwordx4 v[196:199], v8, off offset:128
	ds_read_b128 v[200:203], v9 offset:128
	s_waitcnt vmcnt(0) lgkmcnt(0)
	v_mul_f64 v[6:7], v[202:203], v[198:199]
	v_mul_f64 v[22:23], v[200:201], v[198:199]
	v_fma_f64 v[6:7], v[200:201], v[196:197], -v[6:7]
	v_fmac_f64_e32 v[22:23], v[202:203], v[196:197]
	v_add_f64 v[2:3], v[2:3], v[6:7]
	v_add_f64 v[4:5], v[4:5], v[22:23]
.LBB61_917:
	s_or_b64 exec, exec, s[22:23]
.LBB61_918:
	s_or_b64 exec, exec, s[4:5]
.LBB61_919:
	s_or_b64 exec, exec, s[20:21]
.LBB61_920:
	s_or_b64 exec, exec, s[6:7]
.LBB61_921:
	s_or_b64 exec, exec, s[18:19]
.LBB61_922:
	s_or_b64 exec, exec, s[8:9]
.LBB61_923:
	s_or_b64 exec, exec, s[16:17]
.LBB61_924:
	s_or_b64 exec, exec, s[14:15]
	v_mov_b32_e32 v6, 0
	ds_read_b128 v[196:199], v6 offset:144
	s_waitcnt lgkmcnt(0)
	v_mul_f64 v[6:7], v[4:5], v[198:199]
	v_mul_f64 v[200:201], v[2:3], v[198:199]
	v_fma_f64 v[198:199], v[2:3], v[196:197], -v[6:7]
	v_fmac_f64_e32 v[200:201], v[4:5], v[196:197]
	scratch_store_dwordx4 off, v[198:201], off offset:144
.LBB61_925:
	s_or_b64 exec, exec, s[12:13]
	scratch_load_dwordx4 v[2:5], v185, off
	v_cmp_gt_u32_e32 vcc, 10, v0
	s_waitcnt vmcnt(0)
	ds_write_b128 v9, v[2:5]
	s_waitcnt lgkmcnt(0)
	; wave barrier
	s_waitcnt lgkmcnt(0)
	s_and_saveexec_b64 s[2:3], vcc
	s_cbranch_execz .LBB61_933
; %bb.926:
	ds_read_b128 v[2:5], v9
	s_and_b64 vcc, exec, s[0:1]
	s_cbranch_vccnz .LBB61_928
; %bb.927:
	scratch_load_dwordx4 v[196:199], v8, off
	s_waitcnt vmcnt(0) lgkmcnt(0)
	v_mul_f64 v[22:23], v[2:3], v[198:199]
	v_mul_f64 v[6:7], v[4:5], v[198:199]
	v_fmac_f64_e32 v[22:23], v[4:5], v[196:197]
	v_fma_f64 v[2:3], v[2:3], v[196:197], -v[6:7]
	v_mov_b64_e32 v[4:5], v[22:23]
.LBB61_928:
	v_cmp_ne_u32_e32 vcc, 9, v0
	s_and_saveexec_b64 s[4:5], vcc
	s_cbranch_execz .LBB61_932
; %bb.929:
	v_mov_b32_e32 v7, 0
	v_add_u32_e32 v6, 0x3f0, v116
	v_add3_u32 v7, v116, v7, 24
	s_mov_b64 s[6:7], 0
	v_mov_b32_e32 v195, v0
.LBB61_930:                             ; =>This Inner Loop Header: Depth=1
	v_add_u32_e32 v13, -8, v7
	scratch_load_dwordx4 v[196:199], v13, off
	ds_read_b128 v[200:203], v6
	v_add_u32_e32 v195, 1, v195
	v_cmp_lt_u32_e32 vcc, 8, v195
	v_add_u32_e32 v6, 16, v6
	v_add_u32_e32 v7, 16, v7
	s_or_b64 s[6:7], vcc, s[6:7]
	s_waitcnt vmcnt(0) lgkmcnt(0)
	v_mul_f64 v[22:23], v[202:203], v[198:199]
	v_mul_f64 v[24:25], v[200:201], v[198:199]
	v_fma_f64 v[22:23], v[200:201], v[196:197], -v[22:23]
	v_fmac_f64_e32 v[24:25], v[202:203], v[196:197]
	v_add_f64 v[2:3], v[2:3], v[22:23]
	v_add_f64 v[4:5], v[4:5], v[24:25]
	s_andn2_b64 exec, exec, s[6:7]
	s_cbranch_execnz .LBB61_930
; %bb.931:
	s_or_b64 exec, exec, s[6:7]
.LBB61_932:
	s_or_b64 exec, exec, s[4:5]
	v_mov_b32_e32 v6, 0
	ds_read_b128 v[196:199], v6 offset:160
	s_waitcnt lgkmcnt(0)
	v_mul_f64 v[6:7], v[4:5], v[198:199]
	v_mul_f64 v[200:201], v[2:3], v[198:199]
	v_fma_f64 v[198:199], v[2:3], v[196:197], -v[6:7]
	v_fmac_f64_e32 v[200:201], v[4:5], v[196:197]
	scratch_store_dwordx4 off, v[198:201], off offset:160
.LBB61_933:
	s_or_b64 exec, exec, s[2:3]
	scratch_load_dwordx4 v[2:5], v184, off
	v_cmp_gt_u32_e32 vcc, 11, v0
	s_waitcnt vmcnt(0)
	ds_write_b128 v9, v[2:5]
	s_waitcnt lgkmcnt(0)
	; wave barrier
	s_waitcnt lgkmcnt(0)
	s_and_saveexec_b64 s[2:3], vcc
	s_cbranch_execz .LBB61_941
; %bb.934:
	ds_read_b128 v[2:5], v9
	s_and_b64 vcc, exec, s[0:1]
	s_cbranch_vccnz .LBB61_936
; %bb.935:
	scratch_load_dwordx4 v[196:199], v8, off
	s_waitcnt vmcnt(0) lgkmcnt(0)
	v_mul_f64 v[22:23], v[2:3], v[198:199]
	v_mul_f64 v[6:7], v[4:5], v[198:199]
	v_fmac_f64_e32 v[22:23], v[4:5], v[196:197]
	v_fma_f64 v[2:3], v[2:3], v[196:197], -v[6:7]
	v_mov_b64_e32 v[4:5], v[22:23]
.LBB61_936:
	v_cmp_ne_u32_e32 vcc, 10, v0
	s_and_saveexec_b64 s[4:5], vcc
	s_cbranch_execz .LBB61_940
; %bb.937:
	v_mov_b32_e32 v7, 0
	v_add_u32_e32 v6, 0x3f0, v116
	v_add3_u32 v7, v116, v7, 24
	s_mov_b64 s[6:7], 0
	v_mov_b32_e32 v195, v0
.LBB61_938:                             ; =>This Inner Loop Header: Depth=1
	v_add_u32_e32 v13, -8, v7
	scratch_load_dwordx4 v[196:199], v13, off
	ds_read_b128 v[200:203], v6
	v_add_u32_e32 v195, 1, v195
	v_cmp_lt_u32_e32 vcc, 9, v195
	v_add_u32_e32 v6, 16, v6
	v_add_u32_e32 v7, 16, v7
	s_or_b64 s[6:7], vcc, s[6:7]
	s_waitcnt vmcnt(0) lgkmcnt(0)
	v_mul_f64 v[22:23], v[202:203], v[198:199]
	v_mul_f64 v[24:25], v[200:201], v[198:199]
	v_fma_f64 v[22:23], v[200:201], v[196:197], -v[22:23]
	v_fmac_f64_e32 v[24:25], v[202:203], v[196:197]
	v_add_f64 v[2:3], v[2:3], v[22:23]
	v_add_f64 v[4:5], v[4:5], v[24:25]
	s_andn2_b64 exec, exec, s[6:7]
	s_cbranch_execnz .LBB61_938
; %bb.939:
	s_or_b64 exec, exec, s[6:7]
.LBB61_940:
	s_or_b64 exec, exec, s[4:5]
	v_mov_b32_e32 v6, 0
	ds_read_b128 v[196:199], v6 offset:176
	s_waitcnt lgkmcnt(0)
	v_mul_f64 v[6:7], v[4:5], v[198:199]
	v_mul_f64 v[200:201], v[2:3], v[198:199]
	v_fma_f64 v[198:199], v[2:3], v[196:197], -v[6:7]
	v_fmac_f64_e32 v[200:201], v[4:5], v[196:197]
	scratch_store_dwordx4 off, v[198:201], off offset:176
.LBB61_941:
	s_or_b64 exec, exec, s[2:3]
	scratch_load_dwordx4 v[2:5], v183, off
	v_cmp_gt_u32_e32 vcc, 12, v0
	s_waitcnt vmcnt(0)
	ds_write_b128 v9, v[2:5]
	s_waitcnt lgkmcnt(0)
	; wave barrier
	s_waitcnt lgkmcnt(0)
	s_and_saveexec_b64 s[2:3], vcc
	s_cbranch_execz .LBB61_949
; %bb.942:
	ds_read_b128 v[2:5], v9
	s_and_b64 vcc, exec, s[0:1]
	s_cbranch_vccnz .LBB61_944
; %bb.943:
	scratch_load_dwordx4 v[196:199], v8, off
	s_waitcnt vmcnt(0) lgkmcnt(0)
	v_mul_f64 v[22:23], v[2:3], v[198:199]
	v_mul_f64 v[6:7], v[4:5], v[198:199]
	v_fmac_f64_e32 v[22:23], v[4:5], v[196:197]
	v_fma_f64 v[2:3], v[2:3], v[196:197], -v[6:7]
	v_mov_b64_e32 v[4:5], v[22:23]
.LBB61_944:
	v_cmp_ne_u32_e32 vcc, 11, v0
	s_and_saveexec_b64 s[4:5], vcc
	s_cbranch_execz .LBB61_948
; %bb.945:
	v_mov_b32_e32 v7, 0
	v_add_u32_e32 v6, 0x3f0, v116
	v_add3_u32 v7, v116, v7, 24
	s_mov_b64 s[6:7], 0
	v_mov_b32_e32 v195, v0
.LBB61_946:                             ; =>This Inner Loop Header: Depth=1
	v_add_u32_e32 v13, -8, v7
	scratch_load_dwordx4 v[196:199], v13, off
	ds_read_b128 v[200:203], v6
	v_add_u32_e32 v195, 1, v195
	v_cmp_lt_u32_e32 vcc, 10, v195
	v_add_u32_e32 v6, 16, v6
	v_add_u32_e32 v7, 16, v7
	s_or_b64 s[6:7], vcc, s[6:7]
	s_waitcnt vmcnt(0) lgkmcnt(0)
	v_mul_f64 v[22:23], v[202:203], v[198:199]
	v_mul_f64 v[24:25], v[200:201], v[198:199]
	v_fma_f64 v[22:23], v[200:201], v[196:197], -v[22:23]
	v_fmac_f64_e32 v[24:25], v[202:203], v[196:197]
	v_add_f64 v[2:3], v[2:3], v[22:23]
	v_add_f64 v[4:5], v[4:5], v[24:25]
	s_andn2_b64 exec, exec, s[6:7]
	s_cbranch_execnz .LBB61_946
; %bb.947:
	s_or_b64 exec, exec, s[6:7]
.LBB61_948:
	s_or_b64 exec, exec, s[4:5]
	v_mov_b32_e32 v6, 0
	ds_read_b128 v[196:199], v6 offset:192
	s_waitcnt lgkmcnt(0)
	v_mul_f64 v[6:7], v[4:5], v[198:199]
	v_mul_f64 v[200:201], v[2:3], v[198:199]
	v_fma_f64 v[198:199], v[2:3], v[196:197], -v[6:7]
	v_fmac_f64_e32 v[200:201], v[4:5], v[196:197]
	scratch_store_dwordx4 off, v[198:201], off offset:192
.LBB61_949:
	s_or_b64 exec, exec, s[2:3]
	scratch_load_dwordx4 v[2:5], v182, off
	v_cmp_gt_u32_e32 vcc, 13, v0
	s_waitcnt vmcnt(0)
	ds_write_b128 v9, v[2:5]
	s_waitcnt lgkmcnt(0)
	; wave barrier
	s_waitcnt lgkmcnt(0)
	s_and_saveexec_b64 s[2:3], vcc
	s_cbranch_execz .LBB61_957
; %bb.950:
	ds_read_b128 v[2:5], v9
	s_and_b64 vcc, exec, s[0:1]
	s_cbranch_vccnz .LBB61_952
; %bb.951:
	scratch_load_dwordx4 v[196:199], v8, off
	s_waitcnt vmcnt(0) lgkmcnt(0)
	v_mul_f64 v[22:23], v[2:3], v[198:199]
	v_mul_f64 v[6:7], v[4:5], v[198:199]
	v_fmac_f64_e32 v[22:23], v[4:5], v[196:197]
	v_fma_f64 v[2:3], v[2:3], v[196:197], -v[6:7]
	v_mov_b64_e32 v[4:5], v[22:23]
.LBB61_952:
	v_cmp_ne_u32_e32 vcc, 12, v0
	s_and_saveexec_b64 s[4:5], vcc
	s_cbranch_execz .LBB61_956
; %bb.953:
	v_mov_b32_e32 v7, 0
	v_add_u32_e32 v6, 0x3f0, v116
	v_add3_u32 v7, v116, v7, 24
	s_mov_b64 s[6:7], 0
	v_mov_b32_e32 v195, v0
.LBB61_954:                             ; =>This Inner Loop Header: Depth=1
	v_add_u32_e32 v13, -8, v7
	scratch_load_dwordx4 v[196:199], v13, off
	ds_read_b128 v[200:203], v6
	v_add_u32_e32 v195, 1, v195
	v_cmp_lt_u32_e32 vcc, 11, v195
	v_add_u32_e32 v6, 16, v6
	v_add_u32_e32 v7, 16, v7
	s_or_b64 s[6:7], vcc, s[6:7]
	s_waitcnt vmcnt(0) lgkmcnt(0)
	v_mul_f64 v[22:23], v[202:203], v[198:199]
	v_mul_f64 v[24:25], v[200:201], v[198:199]
	v_fma_f64 v[22:23], v[200:201], v[196:197], -v[22:23]
	v_fmac_f64_e32 v[24:25], v[202:203], v[196:197]
	v_add_f64 v[2:3], v[2:3], v[22:23]
	v_add_f64 v[4:5], v[4:5], v[24:25]
	s_andn2_b64 exec, exec, s[6:7]
	s_cbranch_execnz .LBB61_954
; %bb.955:
	s_or_b64 exec, exec, s[6:7]
.LBB61_956:
	s_or_b64 exec, exec, s[4:5]
	v_mov_b32_e32 v6, 0
	ds_read_b128 v[196:199], v6 offset:208
	s_waitcnt lgkmcnt(0)
	v_mul_f64 v[6:7], v[4:5], v[198:199]
	v_mul_f64 v[200:201], v[2:3], v[198:199]
	v_fma_f64 v[198:199], v[2:3], v[196:197], -v[6:7]
	v_fmac_f64_e32 v[200:201], v[4:5], v[196:197]
	scratch_store_dwordx4 off, v[198:201], off offset:208
.LBB61_957:
	s_or_b64 exec, exec, s[2:3]
	scratch_load_dwordx4 v[2:5], v181, off
	v_cmp_gt_u32_e32 vcc, 14, v0
	s_waitcnt vmcnt(0)
	ds_write_b128 v9, v[2:5]
	s_waitcnt lgkmcnt(0)
	; wave barrier
	s_waitcnt lgkmcnt(0)
	s_and_saveexec_b64 s[2:3], vcc
	s_cbranch_execz .LBB61_965
; %bb.958:
	ds_read_b128 v[2:5], v9
	s_and_b64 vcc, exec, s[0:1]
	s_cbranch_vccnz .LBB61_960
; %bb.959:
	scratch_load_dwordx4 v[196:199], v8, off
	s_waitcnt vmcnt(0) lgkmcnt(0)
	v_mul_f64 v[22:23], v[2:3], v[198:199]
	v_mul_f64 v[6:7], v[4:5], v[198:199]
	v_fmac_f64_e32 v[22:23], v[4:5], v[196:197]
	v_fma_f64 v[2:3], v[2:3], v[196:197], -v[6:7]
	v_mov_b64_e32 v[4:5], v[22:23]
.LBB61_960:
	v_cmp_ne_u32_e32 vcc, 13, v0
	s_and_saveexec_b64 s[4:5], vcc
	s_cbranch_execz .LBB61_964
; %bb.961:
	v_mov_b32_e32 v7, 0
	v_add_u32_e32 v6, 0x3f0, v116
	v_add3_u32 v7, v116, v7, 24
	s_mov_b64 s[6:7], 0
	v_mov_b32_e32 v195, v0
.LBB61_962:                             ; =>This Inner Loop Header: Depth=1
	v_add_u32_e32 v13, -8, v7
	scratch_load_dwordx4 v[196:199], v13, off
	ds_read_b128 v[200:203], v6
	v_add_u32_e32 v195, 1, v195
	v_cmp_lt_u32_e32 vcc, 12, v195
	v_add_u32_e32 v6, 16, v6
	v_add_u32_e32 v7, 16, v7
	s_or_b64 s[6:7], vcc, s[6:7]
	s_waitcnt vmcnt(0) lgkmcnt(0)
	v_mul_f64 v[22:23], v[202:203], v[198:199]
	v_mul_f64 v[24:25], v[200:201], v[198:199]
	v_fma_f64 v[22:23], v[200:201], v[196:197], -v[22:23]
	v_fmac_f64_e32 v[24:25], v[202:203], v[196:197]
	v_add_f64 v[2:3], v[2:3], v[22:23]
	v_add_f64 v[4:5], v[4:5], v[24:25]
	s_andn2_b64 exec, exec, s[6:7]
	s_cbranch_execnz .LBB61_962
; %bb.963:
	s_or_b64 exec, exec, s[6:7]
.LBB61_964:
	s_or_b64 exec, exec, s[4:5]
	v_mov_b32_e32 v6, 0
	ds_read_b128 v[196:199], v6 offset:224
	s_waitcnt lgkmcnt(0)
	v_mul_f64 v[6:7], v[4:5], v[198:199]
	v_mul_f64 v[200:201], v[2:3], v[198:199]
	v_fma_f64 v[198:199], v[2:3], v[196:197], -v[6:7]
	v_fmac_f64_e32 v[200:201], v[4:5], v[196:197]
	scratch_store_dwordx4 off, v[198:201], off offset:224
.LBB61_965:
	s_or_b64 exec, exec, s[2:3]
	scratch_load_dwordx4 v[2:5], v180, off
	v_cmp_gt_u32_e32 vcc, 15, v0
	s_waitcnt vmcnt(0)
	ds_write_b128 v9, v[2:5]
	s_waitcnt lgkmcnt(0)
	; wave barrier
	s_waitcnt lgkmcnt(0)
	s_and_saveexec_b64 s[2:3], vcc
	s_cbranch_execz .LBB61_973
; %bb.966:
	ds_read_b128 v[2:5], v9
	s_and_b64 vcc, exec, s[0:1]
	s_cbranch_vccnz .LBB61_968
; %bb.967:
	scratch_load_dwordx4 v[196:199], v8, off
	s_waitcnt vmcnt(0) lgkmcnt(0)
	v_mul_f64 v[22:23], v[2:3], v[198:199]
	v_mul_f64 v[6:7], v[4:5], v[198:199]
	v_fmac_f64_e32 v[22:23], v[4:5], v[196:197]
	v_fma_f64 v[2:3], v[2:3], v[196:197], -v[6:7]
	v_mov_b64_e32 v[4:5], v[22:23]
.LBB61_968:
	v_cmp_ne_u32_e32 vcc, 14, v0
	s_and_saveexec_b64 s[4:5], vcc
	s_cbranch_execz .LBB61_972
; %bb.969:
	v_mov_b32_e32 v7, 0
	v_add_u32_e32 v6, 0x3f0, v116
	v_add3_u32 v7, v116, v7, 24
	s_mov_b64 s[6:7], 0
	v_mov_b32_e32 v195, v0
.LBB61_970:                             ; =>This Inner Loop Header: Depth=1
	v_add_u32_e32 v13, -8, v7
	scratch_load_dwordx4 v[196:199], v13, off
	ds_read_b128 v[200:203], v6
	v_add_u32_e32 v195, 1, v195
	v_cmp_lt_u32_e32 vcc, 13, v195
	v_add_u32_e32 v6, 16, v6
	v_add_u32_e32 v7, 16, v7
	s_or_b64 s[6:7], vcc, s[6:7]
	s_waitcnt vmcnt(0) lgkmcnt(0)
	v_mul_f64 v[22:23], v[202:203], v[198:199]
	v_mul_f64 v[24:25], v[200:201], v[198:199]
	v_fma_f64 v[22:23], v[200:201], v[196:197], -v[22:23]
	v_fmac_f64_e32 v[24:25], v[202:203], v[196:197]
	v_add_f64 v[2:3], v[2:3], v[22:23]
	v_add_f64 v[4:5], v[4:5], v[24:25]
	s_andn2_b64 exec, exec, s[6:7]
	s_cbranch_execnz .LBB61_970
; %bb.971:
	s_or_b64 exec, exec, s[6:7]
.LBB61_972:
	s_or_b64 exec, exec, s[4:5]
	v_mov_b32_e32 v6, 0
	ds_read_b128 v[196:199], v6 offset:240
	s_waitcnt lgkmcnt(0)
	v_mul_f64 v[6:7], v[4:5], v[198:199]
	v_mul_f64 v[200:201], v[2:3], v[198:199]
	v_fma_f64 v[198:199], v[2:3], v[196:197], -v[6:7]
	v_fmac_f64_e32 v[200:201], v[4:5], v[196:197]
	scratch_store_dwordx4 off, v[198:201], off offset:240
.LBB61_973:
	s_or_b64 exec, exec, s[2:3]
	scratch_load_dwordx4 v[2:5], v179, off
	v_cmp_gt_u32_e32 vcc, 16, v0
	s_waitcnt vmcnt(0)
	ds_write_b128 v9, v[2:5]
	s_waitcnt lgkmcnt(0)
	; wave barrier
	s_waitcnt lgkmcnt(0)
	s_and_saveexec_b64 s[2:3], vcc
	s_cbranch_execz .LBB61_981
; %bb.974:
	ds_read_b128 v[2:5], v9
	s_and_b64 vcc, exec, s[0:1]
	s_cbranch_vccnz .LBB61_976
; %bb.975:
	scratch_load_dwordx4 v[196:199], v8, off
	s_waitcnt vmcnt(0) lgkmcnt(0)
	v_mul_f64 v[22:23], v[2:3], v[198:199]
	v_mul_f64 v[6:7], v[4:5], v[198:199]
	v_fmac_f64_e32 v[22:23], v[4:5], v[196:197]
	v_fma_f64 v[2:3], v[2:3], v[196:197], -v[6:7]
	v_mov_b64_e32 v[4:5], v[22:23]
.LBB61_976:
	v_cmp_ne_u32_e32 vcc, 15, v0
	s_and_saveexec_b64 s[4:5], vcc
	s_cbranch_execz .LBB61_980
; %bb.977:
	v_mov_b32_e32 v7, 0
	v_add_u32_e32 v6, 0x3f0, v116
	v_add3_u32 v7, v116, v7, 24
	s_mov_b64 s[6:7], 0
	v_mov_b32_e32 v195, v0
.LBB61_978:                             ; =>This Inner Loop Header: Depth=1
	v_add_u32_e32 v13, -8, v7
	scratch_load_dwordx4 v[196:199], v13, off
	ds_read_b128 v[200:203], v6
	v_add_u32_e32 v195, 1, v195
	v_cmp_lt_u32_e32 vcc, 14, v195
	v_add_u32_e32 v6, 16, v6
	v_add_u32_e32 v7, 16, v7
	s_or_b64 s[6:7], vcc, s[6:7]
	s_waitcnt vmcnt(0) lgkmcnt(0)
	v_mul_f64 v[22:23], v[202:203], v[198:199]
	v_mul_f64 v[24:25], v[200:201], v[198:199]
	v_fma_f64 v[22:23], v[200:201], v[196:197], -v[22:23]
	v_fmac_f64_e32 v[24:25], v[202:203], v[196:197]
	v_add_f64 v[2:3], v[2:3], v[22:23]
	v_add_f64 v[4:5], v[4:5], v[24:25]
	s_andn2_b64 exec, exec, s[6:7]
	s_cbranch_execnz .LBB61_978
; %bb.979:
	s_or_b64 exec, exec, s[6:7]
.LBB61_980:
	s_or_b64 exec, exec, s[4:5]
	v_mov_b32_e32 v6, 0
	ds_read_b128 v[196:199], v6 offset:256
	s_waitcnt lgkmcnt(0)
	v_mul_f64 v[6:7], v[4:5], v[198:199]
	v_mul_f64 v[200:201], v[2:3], v[198:199]
	v_fma_f64 v[198:199], v[2:3], v[196:197], -v[6:7]
	v_fmac_f64_e32 v[200:201], v[4:5], v[196:197]
	scratch_store_dwordx4 off, v[198:201], off offset:256
.LBB61_981:
	s_or_b64 exec, exec, s[2:3]
	scratch_load_dwordx4 v[2:5], v178, off
	v_cmp_gt_u32_e32 vcc, 17, v0
	s_waitcnt vmcnt(0)
	ds_write_b128 v9, v[2:5]
	s_waitcnt lgkmcnt(0)
	; wave barrier
	s_waitcnt lgkmcnt(0)
	s_and_saveexec_b64 s[2:3], vcc
	s_cbranch_execz .LBB61_989
; %bb.982:
	ds_read_b128 v[2:5], v9
	s_and_b64 vcc, exec, s[0:1]
	s_cbranch_vccnz .LBB61_984
; %bb.983:
	scratch_load_dwordx4 v[196:199], v8, off
	s_waitcnt vmcnt(0) lgkmcnt(0)
	v_mul_f64 v[22:23], v[2:3], v[198:199]
	v_mul_f64 v[6:7], v[4:5], v[198:199]
	v_fmac_f64_e32 v[22:23], v[4:5], v[196:197]
	v_fma_f64 v[2:3], v[2:3], v[196:197], -v[6:7]
	v_mov_b64_e32 v[4:5], v[22:23]
.LBB61_984:
	v_cmp_ne_u32_e32 vcc, 16, v0
	s_and_saveexec_b64 s[4:5], vcc
	s_cbranch_execz .LBB61_988
; %bb.985:
	v_mov_b32_e32 v7, 0
	v_add_u32_e32 v6, 0x3f0, v116
	v_add3_u32 v7, v116, v7, 24
	s_mov_b64 s[6:7], 0
	v_mov_b32_e32 v195, v0
.LBB61_986:                             ; =>This Inner Loop Header: Depth=1
	v_add_u32_e32 v13, -8, v7
	scratch_load_dwordx4 v[196:199], v13, off
	ds_read_b128 v[200:203], v6
	v_add_u32_e32 v195, 1, v195
	v_cmp_lt_u32_e32 vcc, 15, v195
	v_add_u32_e32 v6, 16, v6
	v_add_u32_e32 v7, 16, v7
	s_or_b64 s[6:7], vcc, s[6:7]
	s_waitcnt vmcnt(0) lgkmcnt(0)
	v_mul_f64 v[22:23], v[202:203], v[198:199]
	v_mul_f64 v[24:25], v[200:201], v[198:199]
	v_fma_f64 v[22:23], v[200:201], v[196:197], -v[22:23]
	v_fmac_f64_e32 v[24:25], v[202:203], v[196:197]
	v_add_f64 v[2:3], v[2:3], v[22:23]
	v_add_f64 v[4:5], v[4:5], v[24:25]
	s_andn2_b64 exec, exec, s[6:7]
	s_cbranch_execnz .LBB61_986
; %bb.987:
	s_or_b64 exec, exec, s[6:7]
.LBB61_988:
	s_or_b64 exec, exec, s[4:5]
	v_mov_b32_e32 v6, 0
	ds_read_b128 v[196:199], v6 offset:272
	s_waitcnt lgkmcnt(0)
	v_mul_f64 v[6:7], v[4:5], v[198:199]
	v_mul_f64 v[200:201], v[2:3], v[198:199]
	v_fma_f64 v[198:199], v[2:3], v[196:197], -v[6:7]
	v_fmac_f64_e32 v[200:201], v[4:5], v[196:197]
	scratch_store_dwordx4 off, v[198:201], off offset:272
.LBB61_989:
	s_or_b64 exec, exec, s[2:3]
	scratch_load_dwordx4 v[2:5], v177, off
	v_cmp_gt_u32_e32 vcc, 18, v0
	s_waitcnt vmcnt(0)
	ds_write_b128 v9, v[2:5]
	s_waitcnt lgkmcnt(0)
	; wave barrier
	s_waitcnt lgkmcnt(0)
	s_and_saveexec_b64 s[2:3], vcc
	s_cbranch_execz .LBB61_997
; %bb.990:
	ds_read_b128 v[2:5], v9
	s_and_b64 vcc, exec, s[0:1]
	s_cbranch_vccnz .LBB61_992
; %bb.991:
	scratch_load_dwordx4 v[196:199], v8, off
	s_waitcnt vmcnt(0) lgkmcnt(0)
	v_mul_f64 v[22:23], v[2:3], v[198:199]
	v_mul_f64 v[6:7], v[4:5], v[198:199]
	v_fmac_f64_e32 v[22:23], v[4:5], v[196:197]
	v_fma_f64 v[2:3], v[2:3], v[196:197], -v[6:7]
	v_mov_b64_e32 v[4:5], v[22:23]
.LBB61_992:
	v_cmp_ne_u32_e32 vcc, 17, v0
	s_and_saveexec_b64 s[4:5], vcc
	s_cbranch_execz .LBB61_996
; %bb.993:
	v_mov_b32_e32 v7, 0
	v_add_u32_e32 v6, 0x3f0, v116
	v_add3_u32 v7, v116, v7, 24
	s_mov_b64 s[6:7], 0
	v_mov_b32_e32 v195, v0
.LBB61_994:                             ; =>This Inner Loop Header: Depth=1
	v_add_u32_e32 v13, -8, v7
	scratch_load_dwordx4 v[196:199], v13, off
	ds_read_b128 v[200:203], v6
	v_add_u32_e32 v195, 1, v195
	v_cmp_lt_u32_e32 vcc, 16, v195
	v_add_u32_e32 v6, 16, v6
	v_add_u32_e32 v7, 16, v7
	s_or_b64 s[6:7], vcc, s[6:7]
	s_waitcnt vmcnt(0) lgkmcnt(0)
	v_mul_f64 v[22:23], v[202:203], v[198:199]
	v_mul_f64 v[24:25], v[200:201], v[198:199]
	v_fma_f64 v[22:23], v[200:201], v[196:197], -v[22:23]
	v_fmac_f64_e32 v[24:25], v[202:203], v[196:197]
	v_add_f64 v[2:3], v[2:3], v[22:23]
	v_add_f64 v[4:5], v[4:5], v[24:25]
	s_andn2_b64 exec, exec, s[6:7]
	s_cbranch_execnz .LBB61_994
; %bb.995:
	s_or_b64 exec, exec, s[6:7]
.LBB61_996:
	s_or_b64 exec, exec, s[4:5]
	v_mov_b32_e32 v6, 0
	ds_read_b128 v[196:199], v6 offset:288
	s_waitcnt lgkmcnt(0)
	v_mul_f64 v[6:7], v[4:5], v[198:199]
	v_mul_f64 v[200:201], v[2:3], v[198:199]
	v_fma_f64 v[198:199], v[2:3], v[196:197], -v[6:7]
	v_fmac_f64_e32 v[200:201], v[4:5], v[196:197]
	scratch_store_dwordx4 off, v[198:201], off offset:288
.LBB61_997:
	s_or_b64 exec, exec, s[2:3]
	scratch_load_dwordx4 v[2:5], v176, off
	v_cmp_gt_u32_e32 vcc, 19, v0
	s_waitcnt vmcnt(0)
	ds_write_b128 v9, v[2:5]
	s_waitcnt lgkmcnt(0)
	; wave barrier
	s_waitcnt lgkmcnt(0)
	s_and_saveexec_b64 s[2:3], vcc
	s_cbranch_execz .LBB61_1005
; %bb.998:
	ds_read_b128 v[2:5], v9
	s_and_b64 vcc, exec, s[0:1]
	s_cbranch_vccnz .LBB61_1000
; %bb.999:
	scratch_load_dwordx4 v[196:199], v8, off
	s_waitcnt vmcnt(0) lgkmcnt(0)
	v_mul_f64 v[22:23], v[2:3], v[198:199]
	v_mul_f64 v[6:7], v[4:5], v[198:199]
	v_fmac_f64_e32 v[22:23], v[4:5], v[196:197]
	v_fma_f64 v[2:3], v[2:3], v[196:197], -v[6:7]
	v_mov_b64_e32 v[4:5], v[22:23]
.LBB61_1000:
	v_cmp_ne_u32_e32 vcc, 18, v0
	s_and_saveexec_b64 s[4:5], vcc
	s_cbranch_execz .LBB61_1004
; %bb.1001:
	v_mov_b32_e32 v7, 0
	v_add_u32_e32 v6, 0x3f0, v116
	v_add3_u32 v7, v116, v7, 24
	s_mov_b64 s[6:7], 0
	v_mov_b32_e32 v195, v0
.LBB61_1002:                            ; =>This Inner Loop Header: Depth=1
	v_add_u32_e32 v13, -8, v7
	scratch_load_dwordx4 v[196:199], v13, off
	ds_read_b128 v[200:203], v6
	v_add_u32_e32 v195, 1, v195
	v_cmp_lt_u32_e32 vcc, 17, v195
	v_add_u32_e32 v6, 16, v6
	v_add_u32_e32 v7, 16, v7
	s_or_b64 s[6:7], vcc, s[6:7]
	s_waitcnt vmcnt(0) lgkmcnt(0)
	v_mul_f64 v[22:23], v[202:203], v[198:199]
	v_mul_f64 v[24:25], v[200:201], v[198:199]
	v_fma_f64 v[22:23], v[200:201], v[196:197], -v[22:23]
	v_fmac_f64_e32 v[24:25], v[202:203], v[196:197]
	v_add_f64 v[2:3], v[2:3], v[22:23]
	v_add_f64 v[4:5], v[4:5], v[24:25]
	s_andn2_b64 exec, exec, s[6:7]
	s_cbranch_execnz .LBB61_1002
; %bb.1003:
	s_or_b64 exec, exec, s[6:7]
.LBB61_1004:
	s_or_b64 exec, exec, s[4:5]
	v_mov_b32_e32 v6, 0
	ds_read_b128 v[196:199], v6 offset:304
	s_waitcnt lgkmcnt(0)
	v_mul_f64 v[6:7], v[4:5], v[198:199]
	v_mul_f64 v[200:201], v[2:3], v[198:199]
	v_fma_f64 v[198:199], v[2:3], v[196:197], -v[6:7]
	v_fmac_f64_e32 v[200:201], v[4:5], v[196:197]
	scratch_store_dwordx4 off, v[198:201], off offset:304
.LBB61_1005:
	s_or_b64 exec, exec, s[2:3]
	scratch_load_dwordx4 v[2:5], v175, off
	v_cmp_gt_u32_e32 vcc, 20, v0
	s_waitcnt vmcnt(0)
	ds_write_b128 v9, v[2:5]
	s_waitcnt lgkmcnt(0)
	; wave barrier
	s_waitcnt lgkmcnt(0)
	s_and_saveexec_b64 s[2:3], vcc
	s_cbranch_execz .LBB61_1013
; %bb.1006:
	ds_read_b128 v[2:5], v9
	s_and_b64 vcc, exec, s[0:1]
	s_cbranch_vccnz .LBB61_1008
; %bb.1007:
	scratch_load_dwordx4 v[196:199], v8, off
	s_waitcnt vmcnt(0) lgkmcnt(0)
	v_mul_f64 v[22:23], v[2:3], v[198:199]
	v_mul_f64 v[6:7], v[4:5], v[198:199]
	v_fmac_f64_e32 v[22:23], v[4:5], v[196:197]
	v_fma_f64 v[2:3], v[2:3], v[196:197], -v[6:7]
	v_mov_b64_e32 v[4:5], v[22:23]
.LBB61_1008:
	v_cmp_ne_u32_e32 vcc, 19, v0
	s_and_saveexec_b64 s[4:5], vcc
	s_cbranch_execz .LBB61_1012
; %bb.1009:
	v_mov_b32_e32 v7, 0
	v_add_u32_e32 v6, 0x3f0, v116
	v_add3_u32 v7, v116, v7, 24
	s_mov_b64 s[6:7], 0
	v_mov_b32_e32 v195, v0
.LBB61_1010:                            ; =>This Inner Loop Header: Depth=1
	v_add_u32_e32 v13, -8, v7
	scratch_load_dwordx4 v[196:199], v13, off
	ds_read_b128 v[200:203], v6
	v_add_u32_e32 v195, 1, v195
	v_cmp_lt_u32_e32 vcc, 18, v195
	v_add_u32_e32 v6, 16, v6
	v_add_u32_e32 v7, 16, v7
	s_or_b64 s[6:7], vcc, s[6:7]
	s_waitcnt vmcnt(0) lgkmcnt(0)
	v_mul_f64 v[22:23], v[202:203], v[198:199]
	v_mul_f64 v[24:25], v[200:201], v[198:199]
	v_fma_f64 v[22:23], v[200:201], v[196:197], -v[22:23]
	v_fmac_f64_e32 v[24:25], v[202:203], v[196:197]
	v_add_f64 v[2:3], v[2:3], v[22:23]
	v_add_f64 v[4:5], v[4:5], v[24:25]
	s_andn2_b64 exec, exec, s[6:7]
	s_cbranch_execnz .LBB61_1010
; %bb.1011:
	s_or_b64 exec, exec, s[6:7]
.LBB61_1012:
	s_or_b64 exec, exec, s[4:5]
	v_mov_b32_e32 v6, 0
	ds_read_b128 v[196:199], v6 offset:320
	s_waitcnt lgkmcnt(0)
	v_mul_f64 v[6:7], v[4:5], v[198:199]
	v_mul_f64 v[200:201], v[2:3], v[198:199]
	v_fma_f64 v[198:199], v[2:3], v[196:197], -v[6:7]
	v_fmac_f64_e32 v[200:201], v[4:5], v[196:197]
	scratch_store_dwordx4 off, v[198:201], off offset:320
.LBB61_1013:
	;; [unrolled: 63-line block ×41, first 2 shown]
	s_or_b64 exec, exec, s[2:3]
	scratch_load_dwordx4 v[2:5], v140, off
	v_cmp_gt_u32_e64 s[2:3], 60, v0
	s_waitcnt vmcnt(0)
	ds_write_b128 v9, v[2:5]
	s_waitcnt lgkmcnt(0)
	; wave barrier
	s_waitcnt lgkmcnt(0)
	s_and_saveexec_b64 s[4:5], s[2:3]
	s_cbranch_execz .LBB61_1333
; %bb.1326:
	ds_read_b128 v[2:5], v9
	s_and_b64 vcc, exec, s[0:1]
	s_cbranch_vccnz .LBB61_1328
; %bb.1327:
	scratch_load_dwordx4 v[196:199], v8, off
	s_waitcnt vmcnt(0) lgkmcnt(0)
	v_mul_f64 v[22:23], v[2:3], v[198:199]
	v_mul_f64 v[6:7], v[4:5], v[198:199]
	v_fmac_f64_e32 v[22:23], v[4:5], v[196:197]
	v_fma_f64 v[2:3], v[2:3], v[196:197], -v[6:7]
	v_mov_b64_e32 v[4:5], v[22:23]
.LBB61_1328:
	v_cmp_ne_u32_e32 vcc, 59, v0
	s_and_saveexec_b64 s[6:7], vcc
	s_cbranch_execz .LBB61_1332
; %bb.1329:
	v_mov_b32_e32 v7, 0
	v_add_u32_e32 v6, 0x3f0, v116
	v_add3_u32 v7, v116, v7, 24
	s_mov_b64 s[8:9], 0
	v_mov_b32_e32 v195, v0
.LBB61_1330:                            ; =>This Inner Loop Header: Depth=1
	v_add_u32_e32 v13, -8, v7
	scratch_load_dwordx4 v[196:199], v13, off
	ds_read_b128 v[200:203], v6
	v_add_u32_e32 v195, 1, v195
	v_cmp_lt_u32_e32 vcc, 58, v195
	v_add_u32_e32 v6, 16, v6
	v_add_u32_e32 v7, 16, v7
	s_or_b64 s[8:9], vcc, s[8:9]
	s_waitcnt vmcnt(0) lgkmcnt(0)
	v_mul_f64 v[22:23], v[202:203], v[198:199]
	v_mul_f64 v[24:25], v[200:201], v[198:199]
	v_fma_f64 v[22:23], v[200:201], v[196:197], -v[22:23]
	v_fmac_f64_e32 v[24:25], v[202:203], v[196:197]
	v_add_f64 v[2:3], v[2:3], v[22:23]
	v_add_f64 v[4:5], v[4:5], v[24:25]
	s_andn2_b64 exec, exec, s[8:9]
	s_cbranch_execnz .LBB61_1330
; %bb.1331:
	s_or_b64 exec, exec, s[8:9]
.LBB61_1332:
	s_or_b64 exec, exec, s[6:7]
	v_mov_b32_e32 v6, 0
	ds_read_b128 v[196:199], v6 offset:960
	s_waitcnt lgkmcnt(0)
	v_mul_f64 v[6:7], v[4:5], v[198:199]
	v_mul_f64 v[200:201], v[2:3], v[198:199]
	v_fma_f64 v[198:199], v[2:3], v[196:197], -v[6:7]
	v_fmac_f64_e32 v[200:201], v[4:5], v[196:197]
	scratch_store_dwordx4 off, v[198:201], off offset:960
.LBB61_1333:
	s_or_b64 exec, exec, s[4:5]
	scratch_load_dwordx4 v[2:5], v1, off
	v_cmp_ne_u32_e32 vcc, 61, v0
                                        ; implicit-def: $vgpr6_vgpr7
                                        ; implicit-def: $vgpr195
	s_waitcnt vmcnt(0)
	ds_write_b128 v9, v[2:5]
	s_waitcnt lgkmcnt(0)
	; wave barrier
	s_waitcnt lgkmcnt(0)
	s_and_saveexec_b64 s[4:5], vcc
	s_cbranch_execz .LBB61_1341
; %bb.1334:
	ds_read_b128 v[2:5], v9
	s_and_b64 vcc, exec, s[0:1]
	s_cbranch_vccnz .LBB61_1336
; %bb.1335:
	scratch_load_dwordx4 v[6:9], v8, off
	s_waitcnt vmcnt(0) lgkmcnt(0)
	v_mul_f64 v[22:23], v[4:5], v[8:9]
	v_mul_f64 v[8:9], v[2:3], v[8:9]
	v_fmac_f64_e32 v[8:9], v[4:5], v[6:7]
	v_fma_f64 v[2:3], v[2:3], v[6:7], -v[22:23]
	v_mov_b64_e32 v[4:5], v[8:9]
.LBB61_1336:
	s_and_saveexec_b64 s[0:1], s[2:3]
	s_cbranch_execz .LBB61_1340
; %bb.1337:
	v_mov_b32_e32 v7, 0
	v_add_u32_e32 v6, 0x3f0, v116
	v_add3_u32 v7, v116, v7, 24
	s_mov_b64 s[2:3], 0
.LBB61_1338:                            ; =>This Inner Loop Header: Depth=1
	v_add_u32_e32 v8, -8, v7
	scratch_load_dwordx4 v[196:199], v8, off
	ds_read_b128 v[200:203], v6
	v_add_u32_e32 v0, 1, v0
	v_cmp_lt_u32_e32 vcc, 59, v0
	v_add_u32_e32 v6, 16, v6
	v_add_u32_e32 v7, 16, v7
	s_or_b64 s[2:3], vcc, s[2:3]
	s_waitcnt vmcnt(0) lgkmcnt(0)
	v_mul_f64 v[8:9], v[202:203], v[198:199]
	v_mul_f64 v[22:23], v[200:201], v[198:199]
	v_fma_f64 v[8:9], v[200:201], v[196:197], -v[8:9]
	v_fmac_f64_e32 v[22:23], v[202:203], v[196:197]
	v_add_f64 v[2:3], v[2:3], v[8:9]
	v_add_f64 v[4:5], v[4:5], v[22:23]
	s_andn2_b64 exec, exec, s[2:3]
	s_cbranch_execnz .LBB61_1338
; %bb.1339:
	s_or_b64 exec, exec, s[2:3]
.LBB61_1340:
	s_or_b64 exec, exec, s[0:1]
	v_mov_b32_e32 v0, 0
	ds_read_b128 v[196:199], v0 offset:976
	v_mov_b32_e32 v0, 0
	v_add_u32_e32 v195, 0x3d8, v0
	s_or_b64 s[10:11], s[10:11], exec
	s_waitcnt lgkmcnt(0)
	v_mul_f64 v[8:9], v[4:5], v[198:199]
	v_mul_f64 v[6:7], v[2:3], v[198:199]
	v_fma_f64 v[2:3], v[2:3], v[196:197], -v[8:9]
	v_fmac_f64_e32 v[6:7], v[4:5], v[196:197]
	scratch_store_dwordx2 off, v[2:3], off offset:976
.LBB61_1341:
	s_or_b64 exec, exec, s[4:5]
.LBB61_1342:
	v_mov_b32_e32 v23, v216
	v_mov_b32_e32 v22, v145
	;; [unrolled: 1-line block ×4, first 2 shown]
	v_accvgpr_write_b32 a6, v142
	v_mov_b32_e32 v116, v141
	v_mov_b32_e32 v0, v140
	s_and_saveexec_b64 s[0:1], s[10:11]
	s_cbranch_execz .LBB61_1344
; %bb.1343:
	scratch_store_dwordx2 v195, v[6:7], off
.LBB61_1344:
	s_or_b64 exec, exec, s[0:1]
	scratch_load_dwordx4 v[2:5], off, off
	scratch_load_dwordx4 v[6:9], v194, off
	s_nop 0
	scratch_load_dwordx4 v[194:197], v193, off
	scratch_load_dwordx4 v[198:201], v192, off
	scratch_load_dwordx4 v[202:205], v191, off
	s_nop 0
	scratch_load_dwordx4 v[190:193], v190, off
	s_nop 0
	scratch_load_dwordx4 v[206:209], v189, off
	scratch_load_dwordx4 v[210:213], v188, off
	scratch_load_dwordx4 v[214:217], v187, off
	s_nop 0
	;; [unrolled: 6-line block ×5, first 2 shown]
	scratch_load_dwordx4 v[174:177], v174, off
	s_waitcnt vmcnt(21)
	global_store_dwordx4 v[20:21], v[2:5], off
	scratch_load_dwordx4 v[2:5], v173, off
	s_nop 0
	scratch_load_dwordx4 v[138:141], v172, off
	s_waitcnt vmcnt(23)
	global_store_dwordx4 v[16:17], v[6:9], off
	scratch_load_dwordx4 v[6:9], v171, off
	s_nop 0
	;; [unrolled: 5-line block ×18, first 2 shown]
	scratch_load_dwordx4 v[178:181], v32, off
	v_accvgpr_read_b32 v33, a5
	v_accvgpr_read_b32 v32, a4
	s_waitcnt vmcnt(57)
	global_store_dwordx4 v[32:33], v[242:245], off
	v_accvgpr_read_b32 v32, a6
	scratch_load_dwordx4 v[242:245], v32, off
	s_nop 0
	scratch_load_dwordx4 v[32:35], v116, off
	s_waitcnt vmcnt(59)
	global_store_dwordx4 v[36:37], v[246:249], off
	scratch_load_dwordx4 v[246:249], v0, off
	s_nop 0
	scratch_load_dwordx4 v[36:39], v1, off
	v_accvgpr_read_b32 v0, a2
	v_accvgpr_read_b32 v1, a3
	s_waitcnt vmcnt(61)
	global_store_dwordx4 v[0:1], v[250:253], off
	s_waitcnt vmcnt(61)
	global_store_dwordx4 v[254:255], v[174:177], off
	;; [unrolled: 2-line block ×41, first 2 shown]
	v_accvgpr_read_b32 v0, a0
	v_accvgpr_read_b32 v1, a1
	s_waitcnt vmcnt(41)
	global_store_dwordx4 v[0:1], v[36:39], off
.LBB61_1345:
	s_endpgm
	.section	.rodata,"a",@progbits
	.p2align	6, 0x0
	.amdhsa_kernel _ZN9rocsolver6v33100L18trti2_kernel_smallILi62E19rocblas_complex_numIdEPS3_EEv13rocblas_fill_17rocblas_diagonal_T1_iil
		.amdhsa_group_segment_fixed_size 1984
		.amdhsa_private_segment_fixed_size 1008
		.amdhsa_kernarg_size 32
		.amdhsa_user_sgpr_count 2
		.amdhsa_user_sgpr_dispatch_ptr 0
		.amdhsa_user_sgpr_queue_ptr 0
		.amdhsa_user_sgpr_kernarg_segment_ptr 1
		.amdhsa_user_sgpr_dispatch_id 0
		.amdhsa_user_sgpr_kernarg_preload_length 0
		.amdhsa_user_sgpr_kernarg_preload_offset 0
		.amdhsa_user_sgpr_private_segment_size 0
		.amdhsa_uses_dynamic_stack 0
		.amdhsa_enable_private_segment 1
		.amdhsa_system_sgpr_workgroup_id_x 1
		.amdhsa_system_sgpr_workgroup_id_y 0
		.amdhsa_system_sgpr_workgroup_id_z 0
		.amdhsa_system_sgpr_workgroup_info 0
		.amdhsa_system_vgpr_workitem_id 0
		.amdhsa_next_free_vgpr 263
		.amdhsa_next_free_sgpr 24
		.amdhsa_accum_offset 256
		.amdhsa_reserve_vcc 1
		.amdhsa_float_round_mode_32 0
		.amdhsa_float_round_mode_16_64 0
		.amdhsa_float_denorm_mode_32 3
		.amdhsa_float_denorm_mode_16_64 3
		.amdhsa_dx10_clamp 1
		.amdhsa_ieee_mode 1
		.amdhsa_fp16_overflow 0
		.amdhsa_tg_split 0
		.amdhsa_exception_fp_ieee_invalid_op 0
		.amdhsa_exception_fp_denorm_src 0
		.amdhsa_exception_fp_ieee_div_zero 0
		.amdhsa_exception_fp_ieee_overflow 0
		.amdhsa_exception_fp_ieee_underflow 0
		.amdhsa_exception_fp_ieee_inexact 0
		.amdhsa_exception_int_div_zero 0
	.end_amdhsa_kernel
	.section	.text._ZN9rocsolver6v33100L18trti2_kernel_smallILi62E19rocblas_complex_numIdEPS3_EEv13rocblas_fill_17rocblas_diagonal_T1_iil,"axG",@progbits,_ZN9rocsolver6v33100L18trti2_kernel_smallILi62E19rocblas_complex_numIdEPS3_EEv13rocblas_fill_17rocblas_diagonal_T1_iil,comdat
.Lfunc_end61:
	.size	_ZN9rocsolver6v33100L18trti2_kernel_smallILi62E19rocblas_complex_numIdEPS3_EEv13rocblas_fill_17rocblas_diagonal_T1_iil, .Lfunc_end61-_ZN9rocsolver6v33100L18trti2_kernel_smallILi62E19rocblas_complex_numIdEPS3_EEv13rocblas_fill_17rocblas_diagonal_T1_iil
                                        ; -- End function
	.section	.AMDGPU.csdata,"",@progbits
; Kernel info:
; codeLenInByte = 81628
; NumSgprs: 30
; NumVgprs: 256
; NumAgprs: 7
; TotalNumVgprs: 263
; ScratchSize: 1008
; MemoryBound: 0
; FloatMode: 240
; IeeeMode: 1
; LDSByteSize: 1984 bytes/workgroup (compile time only)
; SGPRBlocks: 3
; VGPRBlocks: 32
; NumSGPRsForWavesPerEU: 30
; NumVGPRsForWavesPerEU: 263
; AccumOffset: 256
; Occupancy: 1
; WaveLimiterHint : 0
; COMPUTE_PGM_RSRC2:SCRATCH_EN: 1
; COMPUTE_PGM_RSRC2:USER_SGPR: 2
; COMPUTE_PGM_RSRC2:TRAP_HANDLER: 0
; COMPUTE_PGM_RSRC2:TGID_X_EN: 1
; COMPUTE_PGM_RSRC2:TGID_Y_EN: 0
; COMPUTE_PGM_RSRC2:TGID_Z_EN: 0
; COMPUTE_PGM_RSRC2:TIDIG_COMP_CNT: 0
; COMPUTE_PGM_RSRC3_GFX90A:ACCUM_OFFSET: 63
; COMPUTE_PGM_RSRC3_GFX90A:TG_SPLIT: 0
	.section	.text._ZN9rocsolver6v33100L18trti2_kernel_smallILi63E19rocblas_complex_numIdEPS3_EEv13rocblas_fill_17rocblas_diagonal_T1_iil,"axG",@progbits,_ZN9rocsolver6v33100L18trti2_kernel_smallILi63E19rocblas_complex_numIdEPS3_EEv13rocblas_fill_17rocblas_diagonal_T1_iil,comdat
	.globl	_ZN9rocsolver6v33100L18trti2_kernel_smallILi63E19rocblas_complex_numIdEPS3_EEv13rocblas_fill_17rocblas_diagonal_T1_iil ; -- Begin function _ZN9rocsolver6v33100L18trti2_kernel_smallILi63E19rocblas_complex_numIdEPS3_EEv13rocblas_fill_17rocblas_diagonal_T1_iil
	.p2align	8
	.type	_ZN9rocsolver6v33100L18trti2_kernel_smallILi63E19rocblas_complex_numIdEPS3_EEv13rocblas_fill_17rocblas_diagonal_T1_iil,@function
_ZN9rocsolver6v33100L18trti2_kernel_smallILi63E19rocblas_complex_numIdEPS3_EEv13rocblas_fill_17rocblas_diagonal_T1_iil: ; @_ZN9rocsolver6v33100L18trti2_kernel_smallILi63E19rocblas_complex_numIdEPS3_EEv13rocblas_fill_17rocblas_diagonal_T1_iil
; %bb.0:
	v_cmp_gt_u32_e32 vcc, 63, v0
	s_and_saveexec_b64 s[4:5], vcc
	s_cbranch_execz .LBB62_1367
; %bb.1:
	s_load_dwordx8 s[4:11], s[0:1], 0x0
	s_ashr_i32 s3, s2, 31
	v_lshlrev_b32_e32 v86, 4, v0
	v_mov_b32_e32 v87, 0
	v_mov_b32_e32 v1, 0
	s_waitcnt lgkmcnt(0)
	s_ashr_i32 s1, s8, 31
	s_mov_b32 s0, s8
	s_mul_i32 s8, s2, s11
	s_mul_hi_u32 s11, s2, s10
	s_add_i32 s8, s11, s8
	s_mul_i32 s3, s3, s10
	s_add_i32 s3, s8, s3
	s_mul_i32 s2, s2, s10
	s_lshl_b64 s[2:3], s[2:3], 4
	s_add_u32 s2, s6, s2
	s_addc_u32 s3, s7, s3
	s_lshl_b64 s[0:1], s[0:1], 4
	s_add_u32 s0, s2, s0
	s_addc_u32 s1, s3, s1
	v_lshl_add_u64 v[22:23], s[0:1], 0, v[86:87]
	s_ashr_i32 s3, s9, 31
	s_mov_b32 s2, s9
	v_lshl_add_u64 v[24:25], s[2:3], 4, v[22:23]
	s_add_i32 s2, s9, s9
	v_add_u32_e32 v14, s2, v0
	v_ashrrev_i32_e32 v15, 31, v14
	v_lshl_add_u64 v[26:27], v[14:15], 4, s[0:1]
	v_add_u32_e32 v14, s9, v14
	v_add_u32_e32 v32, s9, v14
	;; [unrolled: 1-line block ×5, first 2 shown]
	v_ashrrev_i32_e32 v33, 31, v32
	v_ashrrev_i32_e32 v35, 31, v34
	;; [unrolled: 1-line block ×4, first 2 shown]
	v_lshl_add_u64 v[30:31], v[32:33], 4, s[0:1]
	v_lshl_add_u64 v[32:33], v[34:35], 4, s[0:1]
	;; [unrolled: 1-line block ×4, first 2 shown]
	v_add_u32_e32 v38, s9, v38
	v_add_u32_e32 v40, s9, v38
	;; [unrolled: 1-line block ×6, first 2 shown]
	v_ashrrev_i32_e32 v51, 31, v50
	v_lshl_add_u64 v[48:49], v[50:51], 4, s[0:1]
	v_add_u32_e32 v50, s9, v50
	v_add_u32_e32 v52, s9, v50
	;; [unrolled: 1-line block ×4, first 2 shown]
	v_ashrrev_i32_e32 v59, 31, v58
	v_lshl_add_u64 v[56:57], v[58:59], 4, s[0:1]
	v_add_u32_e32 v58, s9, v58
	v_add_u32_e32 v62, s9, v58
	;; [unrolled: 1-line block ×3, first 2 shown]
	v_ashrrev_i32_e32 v63, 31, v62
	v_ashrrev_i32_e32 v65, 31, v64
	v_lshl_add_u64 v[60:61], v[62:63], 4, s[0:1]
	v_lshl_add_u64 v[62:63], v[64:65], 4, s[0:1]
	v_add_u32_e32 v64, s9, v64
	v_ashrrev_i32_e32 v65, 31, v64
	v_lshl_add_u64 v[68:69], v[64:65], 4, s[0:1]
	v_add_u32_e32 v64, s9, v64
	v_ashrrev_i32_e32 v65, 31, v64
	v_ashrrev_i32_e32 v15, 31, v14
	;; [unrolled: 1-line block ×5, first 2 shown]
	v_lshl_add_u64 v[66:67], v[64:65], 4, s[0:1]
	v_add_u32_e32 v64, s9, v64
	v_lshl_add_u64 v[28:29], v[14:15], 4, s[0:1]
	v_ashrrev_i32_e32 v39, 31, v38
	v_lshl_add_u64 v[40:41], v[40:41], 4, s[0:1]
	v_ashrrev_i32_e32 v43, 31, v42
	;; [unrolled: 2-line block ×3, first 2 shown]
	v_ashrrev_i32_e32 v51, 31, v50
	v_lshl_add_u64 v[52:53], v[52:53], 4, s[0:1]
	v_ashrrev_i32_e32 v55, 31, v54
	v_ashrrev_i32_e32 v59, 31, v58
	v_accvgpr_write_b32 a0, v68
	v_ashrrev_i32_e32 v65, 31, v64
	global_load_dwordx4 v[2:5], v86, s[0:1]
	global_load_dwordx4 v[6:9], v[24:25], off
	global_load_dwordx4 v[10:13], v[26:27], off
	;; [unrolled: 1-line block ×6, first 2 shown]
	v_lshl_add_u64 v[38:39], v[38:39], 4, s[0:1]
	global_load_dwordx4 v[98:101], v[36:37], off
	global_load_dwordx4 v[102:105], v[38:39], off
	v_lshl_add_u64 v[42:43], v[42:43], 4, s[0:1]
	global_load_dwordx4 v[106:109], v[40:41], off
	global_load_dwordx4 v[110:113], v[42:43], off
	;; [unrolled: 3-line block ×6, first 2 shown]
	global_load_dwordx4 v[146:149], v[60:61], off
	global_load_dwordx4 v[150:153], v[62:63], off
	v_accvgpr_write_b32 a1, v69
	global_load_dwordx4 v[154:157], v[68:69], off
	global_load_dwordx4 v[158:161], v[66:67], off
	v_lshl_add_u64 v[68:69], v[64:65], 4, s[0:1]
	v_add_u32_e32 v64, s9, v64
	v_ashrrev_i32_e32 v65, 31, v64
	v_lshl_add_u64 v[70:71], v[64:65], 4, s[0:1]
	v_add_u32_e32 v64, s9, v64
	v_ashrrev_i32_e32 v65, 31, v64
	;; [unrolled: 3-line block ×9, first 2 shown]
	global_load_dwordx4 v[162:165], v[68:69], off
	global_load_dwordx4 v[166:169], v[70:71], off
	;; [unrolled: 1-line block ×8, first 2 shown]
	v_lshl_add_u64 v[88:89], v[64:65], 4, s[0:1]
	global_load_dwordx4 v[194:197], v[84:85], off
	global_load_dwordx4 v[198:201], v[88:89], off
	s_cmpk_lg_i32 s5, 0x84
	s_cselect_b64 s[6:7], -1, 0
	s_cmpk_eq_i32 s5, 0x84
	s_waitcnt vmcnt(32)
	scratch_store_dwordx4 off, v[2:5], off
	s_waitcnt vmcnt(32)
	scratch_store_dwordx4 off, v[6:9], off offset:16
	s_waitcnt vmcnt(32)
	scratch_store_dwordx4 off, v[10:13], off offset:32
	;; [unrolled: 2-line block ×32, first 2 shown]
	v_add_u32_e32 v2, s9, v64
	v_add_u32_e32 v10, s9, v2
	v_ashrrev_i32_e32 v11, 31, v10
	v_lshl_add_u64 v[14:15], v[10:11], 4, s[0:1]
	v_add_u32_e32 v10, s9, v10
	v_ashrrev_i32_e32 v11, 31, v10
	v_lshl_add_u64 v[16:17], v[10:11], 4, s[0:1]
	;; [unrolled: 3-line block ×27, first 2 shown]
	v_add_u32_e32 v10, s9, v10
	v_ashrrev_i32_e32 v11, 31, v10
	v_ashrrev_i32_e32 v3, 31, v2
	v_lshl_add_u64 v[136:137], v[10:11], 4, s[0:1]
	v_add_u32_e32 v10, s9, v10
	v_lshl_add_u64 v[12:13], v[2:3], 4, s[0:1]
	v_ashrrev_i32_e32 v11, 31, v10
	global_load_dwordx4 v[2:5], v[12:13], off
	global_load_dwordx4 v[6:9], v[14:15], off
	;; [unrolled: 1-line block ×28, first 2 shown]
	v_lshl_add_u64 v[138:139], v[10:11], 4, s[0:1]
	global_load_dwordx4 v[244:247], v[136:137], off
	global_load_dwordx4 v[248:251], v[138:139], off
	s_waitcnt vmcnt(29)
	scratch_store_dwordx4 off, v[2:5], off offset:528
	s_waitcnt vmcnt(29)
	scratch_store_dwordx4 off, v[6:9], off offset:544
	;; [unrolled: 2-line block ×30, first 2 shown]
	s_cbranch_scc1 .LBB62_7
; %bb.2:
	scratch_load_dwordx4 v[8:11], v86, off
                                        ; implicit-def: $vgpr6_vgpr7
	s_waitcnt vmcnt(0)
	v_xor_b32_e32 v3, 0x80000000, v9
	v_cmp_gt_f64_e32 vcc, 0, v[8:9]
	v_xor_b32_e32 v4, 0x80000000, v11
	v_mov_b32_e32 v2, v8
	v_cndmask_b32_e32 v3, v9, v3, vcc
	v_cmp_gt_f64_e32 vcc, 0, v[10:11]
	s_nop 1
	v_cndmask_b32_e32 v5, v11, v4, vcc
	v_mov_b32_e32 v4, v10
	v_cmp_ngt_f64_e32 vcc, v[2:3], v[4:5]
                                        ; implicit-def: $vgpr2_vgpr3
	s_and_saveexec_b64 s[0:1], vcc
	s_xor_b64 s[0:1], exec, s[0:1]
	s_cbranch_execz .LBB62_4
; %bb.3:
	v_div_scale_f64 v[2:3], s[2:3], v[10:11], v[10:11], v[8:9]
	v_rcp_f64_e32 v[4:5], v[2:3]
	v_div_scale_f64 v[6:7], vcc, v[8:9], v[10:11], v[8:9]
	v_fma_f64 v[64:65], -v[2:3], v[4:5], 1.0
	v_fmac_f64_e32 v[4:5], v[4:5], v[64:65]
	v_fma_f64 v[64:65], -v[2:3], v[4:5], 1.0
	v_fmac_f64_e32 v[4:5], v[4:5], v[64:65]
	v_mul_f64 v[64:65], v[6:7], v[4:5]
	v_fma_f64 v[2:3], -v[2:3], v[64:65], v[6:7]
	v_div_fmas_f64 v[2:3], v[2:3], v[4:5], v[64:65]
	v_div_fixup_f64 v[2:3], v[2:3], v[10:11], v[8:9]
	v_fmac_f64_e32 v[10:11], v[8:9], v[2:3]
	v_div_scale_f64 v[4:5], s[2:3], v[10:11], v[10:11], 1.0
	v_rcp_f64_e32 v[6:7], v[4:5]
	s_nop 0
	v_fma_f64 v[8:9], -v[4:5], v[6:7], 1.0
	v_fmac_f64_e32 v[6:7], v[6:7], v[8:9]
	v_fma_f64 v[8:9], -v[4:5], v[6:7], 1.0
	v_fmac_f64_e32 v[6:7], v[6:7], v[8:9]
	v_div_scale_f64 v[8:9], vcc, 1.0, v[10:11], 1.0
	v_mul_f64 v[64:65], v[8:9], v[6:7]
	v_fma_f64 v[4:5], -v[4:5], v[64:65], v[8:9]
                                        ; implicit-def: $vgpr8_vgpr9
	s_nop 1
	v_div_fmas_f64 v[4:5], v[4:5], v[6:7], v[64:65]
	v_div_fixup_f64 v[4:5], v[4:5], v[10:11], 1.0
	v_mul_f64 v[2:3], v[2:3], v[4:5]
	v_xor_b32_e32 v5, 0x80000000, v5
	v_xor_b32_e32 v7, 0x80000000, v3
	v_mov_b32_e32 v6, v2
.LBB62_4:
	s_or_saveexec_b64 s[0:1], s[0:1]
	v_add_u32_e32 v87, 0, v86
	s_xor_b64 exec, exec, s[0:1]
	s_cbranch_execz .LBB62_6
; %bb.5:
	v_div_scale_f64 v[2:3], s[2:3], v[8:9], v[8:9], v[10:11]
	v_rcp_f64_e32 v[4:5], v[2:3]
	v_div_scale_f64 v[6:7], vcc, v[10:11], v[8:9], v[10:11]
	v_fma_f64 v[64:65], -v[2:3], v[4:5], 1.0
	v_fmac_f64_e32 v[4:5], v[4:5], v[64:65]
	v_fma_f64 v[64:65], -v[2:3], v[4:5], 1.0
	v_fmac_f64_e32 v[4:5], v[4:5], v[64:65]
	v_mul_f64 v[64:65], v[6:7], v[4:5]
	v_fma_f64 v[2:3], -v[2:3], v[64:65], v[6:7]
	v_div_fmas_f64 v[2:3], v[2:3], v[4:5], v[64:65]
	v_div_fixup_f64 v[4:5], v[2:3], v[8:9], v[10:11]
	v_fmac_f64_e32 v[8:9], v[10:11], v[4:5]
	v_div_scale_f64 v[2:3], s[2:3], v[8:9], v[8:9], 1.0
	v_rcp_f64_e32 v[6:7], v[2:3]
	s_nop 0
	v_fma_f64 v[10:11], -v[2:3], v[6:7], 1.0
	v_fmac_f64_e32 v[6:7], v[6:7], v[10:11]
	v_fma_f64 v[10:11], -v[2:3], v[6:7], 1.0
	v_fmac_f64_e32 v[6:7], v[6:7], v[10:11]
	v_div_scale_f64 v[10:11], vcc, 1.0, v[8:9], 1.0
	v_mul_f64 v[64:65], v[10:11], v[6:7]
	v_fma_f64 v[2:3], -v[2:3], v[64:65], v[10:11]
	s_nop 1
	v_div_fmas_f64 v[2:3], v[2:3], v[6:7], v[64:65]
	v_div_fixup_f64 v[2:3], v[2:3], v[8:9], 1.0
	v_xor_b32_e32 v7, 0x80000000, v3
	v_mov_b32_e32 v6, v2
	v_mul_f64 v[4:5], v[4:5], -v[2:3]
.LBB62_6:
	s_or_b64 exec, exec, s[0:1]
	scratch_store_dwordx4 v87, v[2:5], off
	s_nop 1
	v_xor_b32_e32 v5, 0x80000000, v5
	s_branch .LBB62_8
.LBB62_7:
	v_mov_b64_e32 v[4:5], 0
	v_mov_b64_e32 v[6:7], -1.0
.LBB62_8:
	v_mov_b32_e32 v8, v4
	v_mov_b32_e32 v9, v5
	v_add_u32_e32 v197, 16, v1
	v_add_u32_e32 v196, 32, v1
	;; [unrolled: 1-line block ×62, first 2 shown]
	ds_write_b128 v86, v[6:9]
	s_cmpk_eq_i32 s4, 0x79
	v_add_u32_e32 v9, 0x3f0, v86
	v_add_u32_e32 v8, 0, v86
	s_cbranch_scc1 .LBB62_860
; %bb.9:
	scratch_load_dwordx4 v[2:5], v10, off
	v_cmp_eq_u32_e64 s[0:1], 62, v0
	s_waitcnt vmcnt(0)
	ds_write_b128 v9, v[2:5]
	s_waitcnt lgkmcnt(0)
	; wave barrier
	s_waitcnt lgkmcnt(0)
	s_and_saveexec_b64 s[2:3], s[0:1]
	s_cbranch_execz .LBB62_13
; %bb.10:
	ds_read_b128 v[2:5], v9
	s_andn2_b64 vcc, exec, s[6:7]
	s_cbranch_vccnz .LBB62_12
; %bb.11:
	scratch_load_dwordx4 v[198:201], v8, off
	s_waitcnt vmcnt(0) lgkmcnt(0)
	v_mul_f64 v[64:65], v[2:3], v[200:201]
	v_mul_f64 v[6:7], v[4:5], v[200:201]
	v_fmac_f64_e32 v[64:65], v[4:5], v[198:199]
	v_fma_f64 v[2:3], v[2:3], v[198:199], -v[6:7]
	v_mov_b64_e32 v[4:5], v[64:65]
.LBB62_12:
	v_mov_b32_e32 v6, 0
	ds_read_b128 v[198:201], v6 offset:976
	s_waitcnt lgkmcnt(0)
	v_mul_f64 v[6:7], v[4:5], v[200:201]
	v_mul_f64 v[202:203], v[2:3], v[200:201]
	v_fma_f64 v[200:201], v[2:3], v[198:199], -v[6:7]
	v_fmac_f64_e32 v[202:203], v[4:5], v[198:199]
	scratch_store_dwordx4 off, v[200:203], off offset:976
.LBB62_13:
	s_or_b64 exec, exec, s[2:3]
	scratch_load_dwordx4 v[2:5], v11, off
	v_cmp_lt_u32_e64 s[2:3], 60, v0
	s_waitcnt vmcnt(0)
	ds_write_b128 v9, v[2:5]
	s_waitcnt lgkmcnt(0)
	; wave barrier
	s_waitcnt lgkmcnt(0)
	s_and_saveexec_b64 s[4:5], s[2:3]
	s_cbranch_execz .LBB62_19
; %bb.14:
	ds_read_b128 v[2:5], v9
	s_andn2_b64 vcc, exec, s[6:7]
	s_cbranch_vccnz .LBB62_16
; %bb.15:
	scratch_load_dwordx4 v[198:201], v8, off
	s_waitcnt vmcnt(0) lgkmcnt(0)
	v_mul_f64 v[64:65], v[2:3], v[200:201]
	v_mul_f64 v[6:7], v[4:5], v[200:201]
	v_fmac_f64_e32 v[64:65], v[4:5], v[198:199]
	v_fma_f64 v[2:3], v[2:3], v[198:199], -v[6:7]
	v_mov_b64_e32 v[4:5], v[64:65]
.LBB62_16:
	s_and_saveexec_b64 s[8:9], s[0:1]
	s_cbranch_execz .LBB62_18
; %bb.17:
	scratch_load_dwordx4 v[198:201], off, off offset:976
	v_mov_b32_e32 v6, 0
	ds_read_b128 v[202:205], v6 offset:1984
	s_waitcnt vmcnt(0) lgkmcnt(0)
	v_mul_f64 v[6:7], v[202:203], v[200:201]
	v_mul_f64 v[64:65], v[204:205], v[200:201]
	v_fmac_f64_e32 v[6:7], v[204:205], v[198:199]
	v_fma_f64 v[64:65], v[202:203], v[198:199], -v[64:65]
	v_add_f64 v[4:5], v[4:5], v[6:7]
	v_add_f64 v[2:3], v[2:3], v[64:65]
.LBB62_18:
	s_or_b64 exec, exec, s[8:9]
	v_mov_b32_e32 v6, 0
	ds_read_b128 v[198:201], v6 offset:960
	s_waitcnt lgkmcnt(0)
	v_mul_f64 v[6:7], v[4:5], v[200:201]
	v_mul_f64 v[202:203], v[2:3], v[200:201]
	v_fma_f64 v[200:201], v[2:3], v[198:199], -v[6:7]
	v_fmac_f64_e32 v[202:203], v[4:5], v[198:199]
	scratch_store_dwordx4 off, v[200:203], off offset:960
.LBB62_19:
	s_or_b64 exec, exec, s[4:5]
	scratch_load_dwordx4 v[2:5], v87, off
	v_cmp_lt_u32_e64 s[0:1], 59, v0
	s_waitcnt vmcnt(0)
	ds_write_b128 v9, v[2:5]
	s_waitcnt lgkmcnt(0)
	; wave barrier
	s_waitcnt lgkmcnt(0)
	s_and_saveexec_b64 s[4:5], s[0:1]
	s_cbranch_execz .LBB62_33
; %bb.20:
	ds_read_b128 v[2:5], v9
	s_andn2_b64 vcc, exec, s[6:7]
	s_cbranch_vccnz .LBB62_22
; %bb.21:
	scratch_load_dwordx4 v[198:201], v8, off
	s_waitcnt vmcnt(0) lgkmcnt(0)
	v_mul_f64 v[64:65], v[2:3], v[200:201]
	v_mul_f64 v[6:7], v[4:5], v[200:201]
	v_fmac_f64_e32 v[64:65], v[4:5], v[198:199]
	v_fma_f64 v[2:3], v[2:3], v[198:199], -v[6:7]
	v_mov_b64_e32 v[4:5], v[64:65]
.LBB62_22:
	s_and_saveexec_b64 s[8:9], s[2:3]
	s_cbranch_execz .LBB62_32
; %bb.23:
	v_subrev_u32_e32 v7, 61, v0
	v_subrev_u32_e32 v6, 60, v0
	v_cmp_lt_u32_e32 vcc, 6, v7
	v_mov_b32_e32 v199, 60
	s_and_saveexec_b64 s[2:3], vcc
	s_cbranch_execz .LBB62_27
; %bb.24:
	v_and_b32_e32 v7, -8, v6
	s_mov_b32 s12, 0
	s_mov_b64 s[10:11], 0
	v_mov_b32_e32 v198, 0
	s_mov_b32 s13, 0
.LBB62_25:                              ; =>This Inner Loop Header: Depth=1
	v_readfirstlane_b32 s14, v198
	s_add_i32 s14, s14, s12
	s_add_i32 s15, s14, 0x3c0
	v_mov_b32_e32 v199, s12
	ds_read_b128 v[200:203], v199 offset:1968
	ds_read_b128 v[204:207], v199 offset:1984
	;; [unrolled: 1-line block ×4, first 2 shown]
	scratch_load_dwordx4 v[216:219], off, s15
	s_add_i32 s15, s14, 0x3d0
	s_addk_i32 s12, 0x80
	s_waitcnt vmcnt(0) lgkmcnt(3)
	v_mul_f64 v[64:65], v[202:203], v[218:219]
	v_fma_f64 v[64:65], v[200:201], v[216:217], -v[64:65]
	v_mul_f64 v[200:201], v[200:201], v[218:219]
	v_fmac_f64_e32 v[200:201], v[202:203], v[216:217]
	v_add_f64 v[64:65], v[2:3], v[64:65]
	v_add_f64 v[200:201], v[4:5], v[200:201]
	scratch_load_dwordx4 v[2:5], off, s15
	s_add_i32 s15, s14, 0x3e0
	s_waitcnt vmcnt(0) lgkmcnt(2)
	v_mul_f64 v[202:203], v[206:207], v[4:5]
	v_mul_f64 v[4:5], v[204:205], v[4:5]
	v_fmac_f64_e32 v[4:5], v[206:207], v[2:3]
	v_fma_f64 v[202:203], v[204:205], v[2:3], -v[202:203]
	v_add_f64 v[200:201], v[200:201], v[4:5]
	scratch_load_dwordx4 v[2:5], off, s15
	v_add_f64 v[64:65], v[64:65], v[202:203]
	s_add_i32 s15, s14, 0x3f0
	s_waitcnt vmcnt(0) lgkmcnt(1)
	v_mul_f64 v[202:203], v[210:211], v[4:5]
	v_mul_f64 v[4:5], v[208:209], v[4:5]
	v_fmac_f64_e32 v[4:5], v[210:211], v[2:3]
	v_fma_f64 v[202:203], v[208:209], v[2:3], -v[202:203]
	v_add_f64 v[200:201], v[200:201], v[4:5]
	scratch_load_dwordx4 v[2:5], off, s15
	v_add_f64 v[64:65], v[64:65], v[202:203]
	s_add_i32 s15, s14, 0x400
	s_waitcnt vmcnt(0) lgkmcnt(0)
	v_mul_f64 v[202:203], v[214:215], v[4:5]
	v_mul_f64 v[4:5], v[212:213], v[4:5]
	v_fma_f64 v[202:203], v[212:213], v[2:3], -v[202:203]
	v_fmac_f64_e32 v[4:5], v[214:215], v[2:3]
	v_add_f64 v[64:65], v[64:65], v[202:203]
	v_add_f64 v[204:205], v[200:201], v[4:5]
	scratch_load_dwordx4 v[200:203], off, s15
	ds_read_b128 v[2:5], v199 offset:2032
	s_add_i32 s15, s14, 0x410
	s_waitcnt vmcnt(0) lgkmcnt(0)
	v_mul_f64 v[206:207], v[4:5], v[202:203]
	v_fma_f64 v[206:207], v[2:3], v[200:201], -v[206:207]
	v_mul_f64 v[2:3], v[2:3], v[202:203]
	v_fmac_f64_e32 v[2:3], v[4:5], v[200:201]
	scratch_load_dwordx4 v[200:203], off, s15
	v_add_f64 v[204:205], v[204:205], v[2:3]
	ds_read_b128 v[2:5], v199 offset:2048
	v_add_f64 v[64:65], v[64:65], v[206:207]
	s_add_i32 s15, s14, 0x420
	s_addk_i32 s14, 0x430
	s_waitcnt vmcnt(0) lgkmcnt(0)
	v_mul_f64 v[206:207], v[4:5], v[202:203]
	v_fma_f64 v[206:207], v[2:3], v[200:201], -v[206:207]
	v_mul_f64 v[2:3], v[2:3], v[202:203]
	v_fmac_f64_e32 v[2:3], v[4:5], v[200:201]
	scratch_load_dwordx4 v[200:203], off, s15
	v_add_f64 v[204:205], v[204:205], v[2:3]
	ds_read_b128 v[2:5], v199 offset:2064
	v_add_f64 v[64:65], v[64:65], v[206:207]
	s_waitcnt vmcnt(0) lgkmcnt(0)
	v_mul_f64 v[206:207], v[4:5], v[202:203]
	v_fma_f64 v[206:207], v[2:3], v[200:201], -v[206:207]
	v_mul_f64 v[2:3], v[2:3], v[202:203]
	v_fmac_f64_e32 v[2:3], v[4:5], v[200:201]
	scratch_load_dwordx4 v[200:203], off, s14
	v_add_f64 v[204:205], v[204:205], v[2:3]
	ds_read_b128 v[2:5], v199 offset:2080
	v_add_f64 v[64:65], v[64:65], v[206:207]
	s_add_i32 s14, s13, 8
	v_cmp_eq_u32_e32 vcc, s14, v7
	s_addk_i32 s13, 0x44
	s_or_b64 s[10:11], vcc, s[10:11]
	v_mov_b32_e32 v199, s13
	s_mov_b32 s13, s14
	s_waitcnt vmcnt(0) lgkmcnt(0)
	v_mul_f64 v[206:207], v[4:5], v[202:203]
	v_mul_f64 v[202:203], v[2:3], v[202:203]
	v_fma_f64 v[206:207], v[2:3], v[200:201], -v[206:207]
	v_fmac_f64_e32 v[202:203], v[4:5], v[200:201]
	v_add_f64 v[2:3], v[64:65], v[206:207]
	v_add_f64 v[4:5], v[204:205], v[202:203]
	s_andn2_b64 exec, exec, s[10:11]
	s_cbranch_execnz .LBB62_25
; %bb.26:
	s_or_b64 exec, exec, s[10:11]
.LBB62_27:
	s_or_b64 exec, exec, s[2:3]
	v_and_b32_e32 v6, 7, v6
	v_cmp_ne_u32_e32 vcc, 0, v6
	s_and_saveexec_b64 s[2:3], vcc
	s_cbranch_execz .LBB62_31
; %bb.28:
	v_lshlrev_b32_e32 v64, 4, v199
	v_add_u32_e32 v7, 0x3f0, v64
	v_add_u32_e32 v198, 0, v64
	s_mov_b64 s[10:11], 0
.LBB62_29:                              ; =>This Inner Loop Header: Depth=1
	scratch_load_dwordx4 v[200:203], v198, off
	ds_read_b128 v[204:207], v7
	v_add_u32_e32 v6, -1, v6
	v_cmp_eq_u32_e32 vcc, 0, v6
	v_add_u32_e32 v7, 16, v7
	v_add_u32_e32 v198, 16, v198
	s_or_b64 s[10:11], vcc, s[10:11]
	s_waitcnt vmcnt(0) lgkmcnt(0)
	v_mul_f64 v[64:65], v[206:207], v[202:203]
	v_mul_f64 v[202:203], v[204:205], v[202:203]
	v_fma_f64 v[64:65], v[204:205], v[200:201], -v[64:65]
	v_fmac_f64_e32 v[202:203], v[206:207], v[200:201]
	v_add_f64 v[2:3], v[2:3], v[64:65]
	v_add_f64 v[4:5], v[4:5], v[202:203]
	s_andn2_b64 exec, exec, s[10:11]
	s_cbranch_execnz .LBB62_29
; %bb.30:
	s_or_b64 exec, exec, s[10:11]
.LBB62_31:
	s_or_b64 exec, exec, s[2:3]
.LBB62_32:
	s_or_b64 exec, exec, s[8:9]
	v_mov_b32_e32 v6, 0
	ds_read_b128 v[198:201], v6 offset:944
	s_waitcnt lgkmcnt(0)
	v_mul_f64 v[6:7], v[4:5], v[200:201]
	v_mul_f64 v[202:203], v[2:3], v[200:201]
	v_fma_f64 v[200:201], v[2:3], v[198:199], -v[6:7]
	v_fmac_f64_e32 v[202:203], v[4:5], v[198:199]
	scratch_store_dwordx4 off, v[200:203], off offset:944
.LBB62_33:
	s_or_b64 exec, exec, s[4:5]
	scratch_load_dwordx4 v[2:5], v140, off
	v_cmp_lt_u32_e64 s[2:3], 58, v0
	s_waitcnt vmcnt(0)
	ds_write_b128 v9, v[2:5]
	s_waitcnt lgkmcnt(0)
	; wave barrier
	s_waitcnt lgkmcnt(0)
	s_and_saveexec_b64 s[4:5], s[2:3]
	s_cbranch_execz .LBB62_47
; %bb.34:
	ds_read_b128 v[2:5], v9
	s_andn2_b64 vcc, exec, s[6:7]
	s_cbranch_vccnz .LBB62_36
; %bb.35:
	scratch_load_dwordx4 v[198:201], v8, off
	s_waitcnt vmcnt(0) lgkmcnt(0)
	v_mul_f64 v[64:65], v[2:3], v[200:201]
	v_mul_f64 v[6:7], v[4:5], v[200:201]
	v_fmac_f64_e32 v[64:65], v[4:5], v[198:199]
	v_fma_f64 v[2:3], v[2:3], v[198:199], -v[6:7]
	v_mov_b64_e32 v[4:5], v[64:65]
.LBB62_36:
	s_and_saveexec_b64 s[8:9], s[0:1]
	s_cbranch_execz .LBB62_46
; %bb.37:
	v_subrev_u32_e32 v7, 60, v0
	v_subrev_u32_e32 v6, 59, v0
	v_cmp_lt_u32_e32 vcc, 6, v7
	v_mov_b32_e32 v199, 59
	s_and_saveexec_b64 s[0:1], vcc
	s_cbranch_execz .LBB62_41
; %bb.38:
	v_and_b32_e32 v7, -8, v6
	s_mov_b32 s12, 0
	s_mov_b64 s[10:11], 0
	v_mov_b32_e32 v198, 0
	s_mov_b32 s13, 0
.LBB62_39:                              ; =>This Inner Loop Header: Depth=1
	v_readfirstlane_b32 s14, v198
	s_add_i32 s14, s14, s12
	s_add_i32 s15, s14, 0x3b0
	v_mov_b32_e32 v199, s12
	ds_read_b128 v[200:203], v199 offset:1952
	ds_read_b128 v[204:207], v199 offset:1968
	;; [unrolled: 1-line block ×4, first 2 shown]
	scratch_load_dwordx4 v[216:219], off, s15
	s_add_i32 s15, s14, 0x3c0
	s_addk_i32 s12, 0x80
	s_waitcnt vmcnt(0) lgkmcnt(3)
	v_mul_f64 v[64:65], v[202:203], v[218:219]
	v_fma_f64 v[64:65], v[200:201], v[216:217], -v[64:65]
	v_mul_f64 v[200:201], v[200:201], v[218:219]
	v_fmac_f64_e32 v[200:201], v[202:203], v[216:217]
	v_add_f64 v[64:65], v[2:3], v[64:65]
	v_add_f64 v[200:201], v[4:5], v[200:201]
	scratch_load_dwordx4 v[2:5], off, s15
	s_add_i32 s15, s14, 0x3d0
	s_waitcnt vmcnt(0) lgkmcnt(2)
	v_mul_f64 v[202:203], v[206:207], v[4:5]
	v_mul_f64 v[4:5], v[204:205], v[4:5]
	v_fmac_f64_e32 v[4:5], v[206:207], v[2:3]
	v_fma_f64 v[202:203], v[204:205], v[2:3], -v[202:203]
	v_add_f64 v[200:201], v[200:201], v[4:5]
	scratch_load_dwordx4 v[2:5], off, s15
	v_add_f64 v[64:65], v[64:65], v[202:203]
	s_add_i32 s15, s14, 0x3e0
	s_waitcnt vmcnt(0) lgkmcnt(1)
	v_mul_f64 v[202:203], v[210:211], v[4:5]
	v_mul_f64 v[4:5], v[208:209], v[4:5]
	v_fmac_f64_e32 v[4:5], v[210:211], v[2:3]
	v_fma_f64 v[202:203], v[208:209], v[2:3], -v[202:203]
	v_add_f64 v[200:201], v[200:201], v[4:5]
	scratch_load_dwordx4 v[2:5], off, s15
	v_add_f64 v[64:65], v[64:65], v[202:203]
	s_add_i32 s15, s14, 0x3f0
	s_waitcnt vmcnt(0) lgkmcnt(0)
	v_mul_f64 v[202:203], v[214:215], v[4:5]
	v_mul_f64 v[4:5], v[212:213], v[4:5]
	v_fma_f64 v[202:203], v[212:213], v[2:3], -v[202:203]
	v_fmac_f64_e32 v[4:5], v[214:215], v[2:3]
	v_add_f64 v[64:65], v[64:65], v[202:203]
	v_add_f64 v[204:205], v[200:201], v[4:5]
	scratch_load_dwordx4 v[200:203], off, s15
	ds_read_b128 v[2:5], v199 offset:2016
	s_add_i32 s15, s14, 0x400
	s_waitcnt vmcnt(0) lgkmcnt(0)
	v_mul_f64 v[206:207], v[4:5], v[202:203]
	v_fma_f64 v[206:207], v[2:3], v[200:201], -v[206:207]
	v_mul_f64 v[2:3], v[2:3], v[202:203]
	v_fmac_f64_e32 v[2:3], v[4:5], v[200:201]
	scratch_load_dwordx4 v[200:203], off, s15
	v_add_f64 v[204:205], v[204:205], v[2:3]
	ds_read_b128 v[2:5], v199 offset:2032
	v_add_f64 v[64:65], v[64:65], v[206:207]
	s_add_i32 s15, s14, 0x410
	s_addk_i32 s14, 0x420
	s_waitcnt vmcnt(0) lgkmcnt(0)
	v_mul_f64 v[206:207], v[4:5], v[202:203]
	v_fma_f64 v[206:207], v[2:3], v[200:201], -v[206:207]
	v_mul_f64 v[2:3], v[2:3], v[202:203]
	v_fmac_f64_e32 v[2:3], v[4:5], v[200:201]
	scratch_load_dwordx4 v[200:203], off, s15
	v_add_f64 v[204:205], v[204:205], v[2:3]
	ds_read_b128 v[2:5], v199 offset:2048
	v_add_f64 v[64:65], v[64:65], v[206:207]
	s_waitcnt vmcnt(0) lgkmcnt(0)
	v_mul_f64 v[206:207], v[4:5], v[202:203]
	v_fma_f64 v[206:207], v[2:3], v[200:201], -v[206:207]
	v_mul_f64 v[2:3], v[2:3], v[202:203]
	v_fmac_f64_e32 v[2:3], v[4:5], v[200:201]
	scratch_load_dwordx4 v[200:203], off, s14
	v_add_f64 v[204:205], v[204:205], v[2:3]
	ds_read_b128 v[2:5], v199 offset:2064
	v_add_f64 v[64:65], v[64:65], v[206:207]
	s_add_i32 s14, s13, 8
	v_cmp_eq_u32_e32 vcc, s14, v7
	s_addk_i32 s13, 0x43
	s_or_b64 s[10:11], vcc, s[10:11]
	v_mov_b32_e32 v199, s13
	s_mov_b32 s13, s14
	s_waitcnt vmcnt(0) lgkmcnt(0)
	v_mul_f64 v[206:207], v[4:5], v[202:203]
	v_mul_f64 v[202:203], v[2:3], v[202:203]
	v_fma_f64 v[206:207], v[2:3], v[200:201], -v[206:207]
	v_fmac_f64_e32 v[202:203], v[4:5], v[200:201]
	v_add_f64 v[2:3], v[64:65], v[206:207]
	v_add_f64 v[4:5], v[204:205], v[202:203]
	s_andn2_b64 exec, exec, s[10:11]
	s_cbranch_execnz .LBB62_39
; %bb.40:
	s_or_b64 exec, exec, s[10:11]
.LBB62_41:
	s_or_b64 exec, exec, s[0:1]
	v_and_b32_e32 v6, 7, v6
	v_cmp_ne_u32_e32 vcc, 0, v6
	s_and_saveexec_b64 s[0:1], vcc
	s_cbranch_execz .LBB62_45
; %bb.42:
	v_lshlrev_b32_e32 v64, 4, v199
	v_add_u32_e32 v7, 0x3f0, v64
	v_add_u32_e32 v198, 0, v64
	s_mov_b64 s[10:11], 0
.LBB62_43:                              ; =>This Inner Loop Header: Depth=1
	scratch_load_dwordx4 v[200:203], v198, off
	ds_read_b128 v[204:207], v7
	v_add_u32_e32 v6, -1, v6
	v_cmp_eq_u32_e32 vcc, 0, v6
	v_add_u32_e32 v7, 16, v7
	v_add_u32_e32 v198, 16, v198
	s_or_b64 s[10:11], vcc, s[10:11]
	s_waitcnt vmcnt(0) lgkmcnt(0)
	v_mul_f64 v[64:65], v[206:207], v[202:203]
	v_mul_f64 v[202:203], v[204:205], v[202:203]
	v_fma_f64 v[64:65], v[204:205], v[200:201], -v[64:65]
	v_fmac_f64_e32 v[202:203], v[206:207], v[200:201]
	v_add_f64 v[2:3], v[2:3], v[64:65]
	v_add_f64 v[4:5], v[4:5], v[202:203]
	s_andn2_b64 exec, exec, s[10:11]
	s_cbranch_execnz .LBB62_43
; %bb.44:
	s_or_b64 exec, exec, s[10:11]
.LBB62_45:
	s_or_b64 exec, exec, s[0:1]
.LBB62_46:
	s_or_b64 exec, exec, s[8:9]
	v_mov_b32_e32 v6, 0
	ds_read_b128 v[198:201], v6 offset:928
	s_waitcnt lgkmcnt(0)
	v_mul_f64 v[6:7], v[4:5], v[200:201]
	v_mul_f64 v[202:203], v[2:3], v[200:201]
	v_fma_f64 v[200:201], v[2:3], v[198:199], -v[6:7]
	v_fmac_f64_e32 v[202:203], v[4:5], v[198:199]
	scratch_store_dwordx4 off, v[200:203], off offset:928
.LBB62_47:
	s_or_b64 exec, exec, s[4:5]
	scratch_load_dwordx4 v[2:5], v141, off
	v_cmp_lt_u32_e64 s[0:1], 57, v0
	s_waitcnt vmcnt(0)
	ds_write_b128 v9, v[2:5]
	s_waitcnt lgkmcnt(0)
	; wave barrier
	s_waitcnt lgkmcnt(0)
	s_and_saveexec_b64 s[4:5], s[0:1]
	s_cbranch_execz .LBB62_61
; %bb.48:
	ds_read_b128 v[2:5], v9
	s_andn2_b64 vcc, exec, s[6:7]
	s_cbranch_vccnz .LBB62_50
; %bb.49:
	scratch_load_dwordx4 v[198:201], v8, off
	s_waitcnt vmcnt(0) lgkmcnt(0)
	v_mul_f64 v[64:65], v[2:3], v[200:201]
	v_mul_f64 v[6:7], v[4:5], v[200:201]
	v_fmac_f64_e32 v[64:65], v[4:5], v[198:199]
	v_fma_f64 v[2:3], v[2:3], v[198:199], -v[6:7]
	v_mov_b64_e32 v[4:5], v[64:65]
.LBB62_50:
	s_and_saveexec_b64 s[8:9], s[2:3]
	s_cbranch_execz .LBB62_60
; %bb.51:
	v_subrev_u32_e32 v7, 59, v0
	v_subrev_u32_e32 v6, 58, v0
	v_cmp_lt_u32_e32 vcc, 6, v7
	v_mov_b32_e32 v199, 58
	s_and_saveexec_b64 s[2:3], vcc
	s_cbranch_execz .LBB62_55
; %bb.52:
	v_and_b32_e32 v7, -8, v6
	s_mov_b32 s12, 0
	s_mov_b64 s[10:11], 0
	v_mov_b32_e32 v198, 0
	s_mov_b32 s13, 0
.LBB62_53:                              ; =>This Inner Loop Header: Depth=1
	v_readfirstlane_b32 s14, v198
	s_add_i32 s14, s14, s12
	s_add_i32 s15, s14, 0x3a0
	v_mov_b32_e32 v199, s12
	ds_read_b128 v[200:203], v199 offset:1936
	ds_read_b128 v[204:207], v199 offset:1952
	;; [unrolled: 1-line block ×4, first 2 shown]
	scratch_load_dwordx4 v[216:219], off, s15
	s_add_i32 s15, s14, 0x3b0
	s_addk_i32 s12, 0x80
	s_waitcnt vmcnt(0) lgkmcnt(3)
	v_mul_f64 v[64:65], v[202:203], v[218:219]
	v_fma_f64 v[64:65], v[200:201], v[216:217], -v[64:65]
	v_mul_f64 v[200:201], v[200:201], v[218:219]
	v_fmac_f64_e32 v[200:201], v[202:203], v[216:217]
	v_add_f64 v[64:65], v[2:3], v[64:65]
	v_add_f64 v[200:201], v[4:5], v[200:201]
	scratch_load_dwordx4 v[2:5], off, s15
	s_add_i32 s15, s14, 0x3c0
	s_waitcnt vmcnt(0) lgkmcnt(2)
	v_mul_f64 v[202:203], v[206:207], v[4:5]
	v_mul_f64 v[4:5], v[204:205], v[4:5]
	v_fmac_f64_e32 v[4:5], v[206:207], v[2:3]
	v_fma_f64 v[202:203], v[204:205], v[2:3], -v[202:203]
	v_add_f64 v[200:201], v[200:201], v[4:5]
	scratch_load_dwordx4 v[2:5], off, s15
	v_add_f64 v[64:65], v[64:65], v[202:203]
	s_add_i32 s15, s14, 0x3d0
	s_waitcnt vmcnt(0) lgkmcnt(1)
	v_mul_f64 v[202:203], v[210:211], v[4:5]
	v_mul_f64 v[4:5], v[208:209], v[4:5]
	v_fmac_f64_e32 v[4:5], v[210:211], v[2:3]
	v_fma_f64 v[202:203], v[208:209], v[2:3], -v[202:203]
	v_add_f64 v[200:201], v[200:201], v[4:5]
	scratch_load_dwordx4 v[2:5], off, s15
	v_add_f64 v[64:65], v[64:65], v[202:203]
	s_add_i32 s15, s14, 0x3e0
	s_waitcnt vmcnt(0) lgkmcnt(0)
	v_mul_f64 v[202:203], v[214:215], v[4:5]
	v_mul_f64 v[4:5], v[212:213], v[4:5]
	v_fma_f64 v[202:203], v[212:213], v[2:3], -v[202:203]
	v_fmac_f64_e32 v[4:5], v[214:215], v[2:3]
	v_add_f64 v[64:65], v[64:65], v[202:203]
	v_add_f64 v[204:205], v[200:201], v[4:5]
	scratch_load_dwordx4 v[200:203], off, s15
	ds_read_b128 v[2:5], v199 offset:2000
	s_add_i32 s15, s14, 0x3f0
	s_waitcnt vmcnt(0) lgkmcnt(0)
	v_mul_f64 v[206:207], v[4:5], v[202:203]
	v_fma_f64 v[206:207], v[2:3], v[200:201], -v[206:207]
	v_mul_f64 v[2:3], v[2:3], v[202:203]
	v_fmac_f64_e32 v[2:3], v[4:5], v[200:201]
	scratch_load_dwordx4 v[200:203], off, s15
	v_add_f64 v[204:205], v[204:205], v[2:3]
	ds_read_b128 v[2:5], v199 offset:2016
	v_add_f64 v[64:65], v[64:65], v[206:207]
	s_add_i32 s15, s14, 0x400
	s_addk_i32 s14, 0x410
	s_waitcnt vmcnt(0) lgkmcnt(0)
	v_mul_f64 v[206:207], v[4:5], v[202:203]
	v_fma_f64 v[206:207], v[2:3], v[200:201], -v[206:207]
	v_mul_f64 v[2:3], v[2:3], v[202:203]
	v_fmac_f64_e32 v[2:3], v[4:5], v[200:201]
	scratch_load_dwordx4 v[200:203], off, s15
	v_add_f64 v[204:205], v[204:205], v[2:3]
	ds_read_b128 v[2:5], v199 offset:2032
	v_add_f64 v[64:65], v[64:65], v[206:207]
	s_waitcnt vmcnt(0) lgkmcnt(0)
	v_mul_f64 v[206:207], v[4:5], v[202:203]
	v_fma_f64 v[206:207], v[2:3], v[200:201], -v[206:207]
	v_mul_f64 v[2:3], v[2:3], v[202:203]
	v_fmac_f64_e32 v[2:3], v[4:5], v[200:201]
	scratch_load_dwordx4 v[200:203], off, s14
	v_add_f64 v[204:205], v[204:205], v[2:3]
	ds_read_b128 v[2:5], v199 offset:2048
	v_add_f64 v[64:65], v[64:65], v[206:207]
	s_add_i32 s14, s13, 8
	v_cmp_eq_u32_e32 vcc, s14, v7
	s_addk_i32 s13, 0x42
	s_or_b64 s[10:11], vcc, s[10:11]
	v_mov_b32_e32 v199, s13
	s_mov_b32 s13, s14
	s_waitcnt vmcnt(0) lgkmcnt(0)
	v_mul_f64 v[206:207], v[4:5], v[202:203]
	v_mul_f64 v[202:203], v[2:3], v[202:203]
	v_fma_f64 v[206:207], v[2:3], v[200:201], -v[206:207]
	v_fmac_f64_e32 v[202:203], v[4:5], v[200:201]
	v_add_f64 v[2:3], v[64:65], v[206:207]
	v_add_f64 v[4:5], v[204:205], v[202:203]
	s_andn2_b64 exec, exec, s[10:11]
	s_cbranch_execnz .LBB62_53
; %bb.54:
	s_or_b64 exec, exec, s[10:11]
.LBB62_55:
	s_or_b64 exec, exec, s[2:3]
	v_and_b32_e32 v6, 7, v6
	v_cmp_ne_u32_e32 vcc, 0, v6
	s_and_saveexec_b64 s[2:3], vcc
	s_cbranch_execz .LBB62_59
; %bb.56:
	v_lshlrev_b32_e32 v64, 4, v199
	v_add_u32_e32 v7, 0x3f0, v64
	v_add_u32_e32 v198, 0, v64
	s_mov_b64 s[10:11], 0
.LBB62_57:                              ; =>This Inner Loop Header: Depth=1
	scratch_load_dwordx4 v[200:203], v198, off
	ds_read_b128 v[204:207], v7
	v_add_u32_e32 v6, -1, v6
	v_cmp_eq_u32_e32 vcc, 0, v6
	v_add_u32_e32 v7, 16, v7
	v_add_u32_e32 v198, 16, v198
	s_or_b64 s[10:11], vcc, s[10:11]
	s_waitcnt vmcnt(0) lgkmcnt(0)
	v_mul_f64 v[64:65], v[206:207], v[202:203]
	v_mul_f64 v[202:203], v[204:205], v[202:203]
	v_fma_f64 v[64:65], v[204:205], v[200:201], -v[64:65]
	v_fmac_f64_e32 v[202:203], v[206:207], v[200:201]
	v_add_f64 v[2:3], v[2:3], v[64:65]
	v_add_f64 v[4:5], v[4:5], v[202:203]
	s_andn2_b64 exec, exec, s[10:11]
	s_cbranch_execnz .LBB62_57
; %bb.58:
	s_or_b64 exec, exec, s[10:11]
.LBB62_59:
	s_or_b64 exec, exec, s[2:3]
.LBB62_60:
	s_or_b64 exec, exec, s[8:9]
	v_mov_b32_e32 v6, 0
	ds_read_b128 v[198:201], v6 offset:912
	s_waitcnt lgkmcnt(0)
	v_mul_f64 v[6:7], v[4:5], v[200:201]
	v_mul_f64 v[202:203], v[2:3], v[200:201]
	v_fma_f64 v[200:201], v[2:3], v[198:199], -v[6:7]
	v_fmac_f64_e32 v[202:203], v[4:5], v[198:199]
	scratch_store_dwordx4 off, v[200:203], off offset:912
.LBB62_61:
	s_or_b64 exec, exec, s[4:5]
	scratch_load_dwordx4 v[2:5], v142, off
	v_cmp_lt_u32_e64 s[2:3], 56, v0
	s_waitcnt vmcnt(0)
	ds_write_b128 v9, v[2:5]
	s_waitcnt lgkmcnt(0)
	; wave barrier
	s_waitcnt lgkmcnt(0)
	s_and_saveexec_b64 s[4:5], s[2:3]
	s_cbranch_execz .LBB62_75
; %bb.62:
	ds_read_b128 v[2:5], v9
	s_andn2_b64 vcc, exec, s[6:7]
	s_cbranch_vccnz .LBB62_64
; %bb.63:
	scratch_load_dwordx4 v[198:201], v8, off
	s_waitcnt vmcnt(0) lgkmcnt(0)
	v_mul_f64 v[64:65], v[2:3], v[200:201]
	v_mul_f64 v[6:7], v[4:5], v[200:201]
	v_fmac_f64_e32 v[64:65], v[4:5], v[198:199]
	v_fma_f64 v[2:3], v[2:3], v[198:199], -v[6:7]
	v_mov_b64_e32 v[4:5], v[64:65]
.LBB62_64:
	s_and_saveexec_b64 s[8:9], s[0:1]
	s_cbranch_execz .LBB62_74
; %bb.65:
	v_subrev_u32_e32 v7, 58, v0
	v_subrev_u32_e32 v6, 57, v0
	v_cmp_lt_u32_e32 vcc, 6, v7
	v_mov_b32_e32 v199, 57
	s_and_saveexec_b64 s[0:1], vcc
	s_cbranch_execz .LBB62_69
; %bb.66:
	v_and_b32_e32 v7, -8, v6
	s_mov_b32 s12, 0
	s_mov_b64 s[10:11], 0
	v_mov_b32_e32 v198, 0
	s_mov_b32 s13, 0
.LBB62_67:                              ; =>This Inner Loop Header: Depth=1
	v_readfirstlane_b32 s14, v198
	s_add_i32 s14, s14, s12
	s_add_i32 s15, s14, 0x390
	v_mov_b32_e32 v199, s12
	ds_read_b128 v[200:203], v199 offset:1920
	ds_read_b128 v[204:207], v199 offset:1936
	;; [unrolled: 1-line block ×4, first 2 shown]
	scratch_load_dwordx4 v[216:219], off, s15
	s_add_i32 s15, s14, 0x3a0
	s_addk_i32 s12, 0x80
	s_waitcnt vmcnt(0) lgkmcnt(3)
	v_mul_f64 v[64:65], v[202:203], v[218:219]
	v_fma_f64 v[64:65], v[200:201], v[216:217], -v[64:65]
	v_mul_f64 v[200:201], v[200:201], v[218:219]
	v_fmac_f64_e32 v[200:201], v[202:203], v[216:217]
	v_add_f64 v[64:65], v[2:3], v[64:65]
	v_add_f64 v[200:201], v[4:5], v[200:201]
	scratch_load_dwordx4 v[2:5], off, s15
	s_add_i32 s15, s14, 0x3b0
	s_waitcnt vmcnt(0) lgkmcnt(2)
	v_mul_f64 v[202:203], v[206:207], v[4:5]
	v_mul_f64 v[4:5], v[204:205], v[4:5]
	v_fmac_f64_e32 v[4:5], v[206:207], v[2:3]
	v_fma_f64 v[202:203], v[204:205], v[2:3], -v[202:203]
	v_add_f64 v[200:201], v[200:201], v[4:5]
	scratch_load_dwordx4 v[2:5], off, s15
	v_add_f64 v[64:65], v[64:65], v[202:203]
	s_add_i32 s15, s14, 0x3c0
	s_waitcnt vmcnt(0) lgkmcnt(1)
	v_mul_f64 v[202:203], v[210:211], v[4:5]
	v_mul_f64 v[4:5], v[208:209], v[4:5]
	v_fmac_f64_e32 v[4:5], v[210:211], v[2:3]
	v_fma_f64 v[202:203], v[208:209], v[2:3], -v[202:203]
	v_add_f64 v[200:201], v[200:201], v[4:5]
	scratch_load_dwordx4 v[2:5], off, s15
	v_add_f64 v[64:65], v[64:65], v[202:203]
	s_add_i32 s15, s14, 0x3d0
	s_waitcnt vmcnt(0) lgkmcnt(0)
	v_mul_f64 v[202:203], v[214:215], v[4:5]
	v_mul_f64 v[4:5], v[212:213], v[4:5]
	v_fma_f64 v[202:203], v[212:213], v[2:3], -v[202:203]
	v_fmac_f64_e32 v[4:5], v[214:215], v[2:3]
	v_add_f64 v[64:65], v[64:65], v[202:203]
	v_add_f64 v[204:205], v[200:201], v[4:5]
	scratch_load_dwordx4 v[200:203], off, s15
	ds_read_b128 v[2:5], v199 offset:1984
	s_add_i32 s15, s14, 0x3e0
	s_waitcnt vmcnt(0) lgkmcnt(0)
	v_mul_f64 v[206:207], v[4:5], v[202:203]
	v_fma_f64 v[206:207], v[2:3], v[200:201], -v[206:207]
	v_mul_f64 v[2:3], v[2:3], v[202:203]
	v_fmac_f64_e32 v[2:3], v[4:5], v[200:201]
	scratch_load_dwordx4 v[200:203], off, s15
	v_add_f64 v[204:205], v[204:205], v[2:3]
	ds_read_b128 v[2:5], v199 offset:2000
	v_add_f64 v[64:65], v[64:65], v[206:207]
	s_add_i32 s15, s14, 0x3f0
	s_addk_i32 s14, 0x400
	s_waitcnt vmcnt(0) lgkmcnt(0)
	v_mul_f64 v[206:207], v[4:5], v[202:203]
	v_fma_f64 v[206:207], v[2:3], v[200:201], -v[206:207]
	v_mul_f64 v[2:3], v[2:3], v[202:203]
	v_fmac_f64_e32 v[2:3], v[4:5], v[200:201]
	scratch_load_dwordx4 v[200:203], off, s15
	v_add_f64 v[204:205], v[204:205], v[2:3]
	ds_read_b128 v[2:5], v199 offset:2016
	v_add_f64 v[64:65], v[64:65], v[206:207]
	s_waitcnt vmcnt(0) lgkmcnt(0)
	v_mul_f64 v[206:207], v[4:5], v[202:203]
	v_fma_f64 v[206:207], v[2:3], v[200:201], -v[206:207]
	v_mul_f64 v[2:3], v[2:3], v[202:203]
	v_fmac_f64_e32 v[2:3], v[4:5], v[200:201]
	scratch_load_dwordx4 v[200:203], off, s14
	v_add_f64 v[204:205], v[204:205], v[2:3]
	ds_read_b128 v[2:5], v199 offset:2032
	v_add_f64 v[64:65], v[64:65], v[206:207]
	s_add_i32 s14, s13, 8
	v_cmp_eq_u32_e32 vcc, s14, v7
	s_addk_i32 s13, 0x41
	s_or_b64 s[10:11], vcc, s[10:11]
	v_mov_b32_e32 v199, s13
	s_mov_b32 s13, s14
	s_waitcnt vmcnt(0) lgkmcnt(0)
	v_mul_f64 v[206:207], v[4:5], v[202:203]
	v_mul_f64 v[202:203], v[2:3], v[202:203]
	v_fma_f64 v[206:207], v[2:3], v[200:201], -v[206:207]
	v_fmac_f64_e32 v[202:203], v[4:5], v[200:201]
	v_add_f64 v[2:3], v[64:65], v[206:207]
	v_add_f64 v[4:5], v[204:205], v[202:203]
	s_andn2_b64 exec, exec, s[10:11]
	s_cbranch_execnz .LBB62_67
; %bb.68:
	s_or_b64 exec, exec, s[10:11]
.LBB62_69:
	s_or_b64 exec, exec, s[0:1]
	v_and_b32_e32 v6, 7, v6
	v_cmp_ne_u32_e32 vcc, 0, v6
	s_and_saveexec_b64 s[0:1], vcc
	s_cbranch_execz .LBB62_73
; %bb.70:
	v_lshlrev_b32_e32 v64, 4, v199
	v_add_u32_e32 v7, 0x3f0, v64
	v_add_u32_e32 v198, 0, v64
	s_mov_b64 s[10:11], 0
.LBB62_71:                              ; =>This Inner Loop Header: Depth=1
	scratch_load_dwordx4 v[200:203], v198, off
	ds_read_b128 v[204:207], v7
	v_add_u32_e32 v6, -1, v6
	v_cmp_eq_u32_e32 vcc, 0, v6
	v_add_u32_e32 v7, 16, v7
	v_add_u32_e32 v198, 16, v198
	s_or_b64 s[10:11], vcc, s[10:11]
	s_waitcnt vmcnt(0) lgkmcnt(0)
	v_mul_f64 v[64:65], v[206:207], v[202:203]
	v_mul_f64 v[202:203], v[204:205], v[202:203]
	v_fma_f64 v[64:65], v[204:205], v[200:201], -v[64:65]
	v_fmac_f64_e32 v[202:203], v[206:207], v[200:201]
	v_add_f64 v[2:3], v[2:3], v[64:65]
	v_add_f64 v[4:5], v[4:5], v[202:203]
	s_andn2_b64 exec, exec, s[10:11]
	s_cbranch_execnz .LBB62_71
; %bb.72:
	s_or_b64 exec, exec, s[10:11]
.LBB62_73:
	s_or_b64 exec, exec, s[0:1]
.LBB62_74:
	s_or_b64 exec, exec, s[8:9]
	v_mov_b32_e32 v6, 0
	ds_read_b128 v[198:201], v6 offset:896
	s_waitcnt lgkmcnt(0)
	v_mul_f64 v[6:7], v[4:5], v[200:201]
	v_mul_f64 v[202:203], v[2:3], v[200:201]
	v_fma_f64 v[200:201], v[2:3], v[198:199], -v[6:7]
	v_fmac_f64_e32 v[202:203], v[4:5], v[198:199]
	scratch_store_dwordx4 off, v[200:203], off offset:896
.LBB62_75:
	s_or_b64 exec, exec, s[4:5]
	scratch_load_dwordx4 v[2:5], v143, off
	v_cmp_lt_u32_e64 s[4:5], 55, v0
	s_waitcnt vmcnt(0)
	ds_write_b128 v9, v[2:5]
	s_waitcnt lgkmcnt(0)
	; wave barrier
	s_waitcnt lgkmcnt(0)
	s_and_saveexec_b64 s[0:1], s[4:5]
	s_cbranch_execz .LBB62_89
; %bb.76:
	ds_read_b128 v[2:5], v9
	s_andn2_b64 vcc, exec, s[6:7]
	s_cbranch_vccnz .LBB62_78
; %bb.77:
	scratch_load_dwordx4 v[198:201], v8, off
	s_waitcnt vmcnt(0) lgkmcnt(0)
	v_mul_f64 v[64:65], v[2:3], v[200:201]
	v_mul_f64 v[6:7], v[4:5], v[200:201]
	v_fmac_f64_e32 v[64:65], v[4:5], v[198:199]
	v_fma_f64 v[2:3], v[2:3], v[198:199], -v[6:7]
	v_mov_b64_e32 v[4:5], v[64:65]
.LBB62_78:
	s_and_saveexec_b64 s[8:9], s[2:3]
	s_cbranch_execz .LBB62_88
; %bb.79:
	v_subrev_u32_e32 v6, 57, v0
	v_cmp_lt_u32_e32 vcc, 6, v6
	v_mov_b32_e32 v6, 56
	s_and_saveexec_b64 s[2:3], vcc
	s_cbranch_execz .LBB62_83
; %bb.80:
	s_mov_b32 s12, 56
	v_and_b32_e32 v6, 56, v0
	s_mov_b32 s13, 0
	s_mov_b64 s[10:11], 0
	v_mov_b32_e32 v7, 0
.LBB62_81:                              ; =>This Inner Loop Header: Depth=1
	s_nop 0
	v_readfirstlane_b32 s14, v7
	s_add_i32 s14, s14, s13
	s_add_i32 s15, s14, 0x380
	v_mov_b32_e32 v218, s13
	ds_read_b128 v[198:201], v218 offset:1904
	ds_read_b128 v[202:205], v218 offset:1920
	;; [unrolled: 1-line block ×4, first 2 shown]
	scratch_load_dwordx4 v[214:217], off, s15
	s_add_i32 s15, s14, 0x390
	s_add_i32 s12, s12, 8
	s_addk_i32 s13, 0x80
	v_cmp_eq_u32_e32 vcc, s12, v6
	s_waitcnt vmcnt(0) lgkmcnt(3)
	v_mul_f64 v[64:65], v[200:201], v[216:217]
	v_fma_f64 v[64:65], v[198:199], v[214:215], -v[64:65]
	v_mul_f64 v[198:199], v[198:199], v[216:217]
	v_fmac_f64_e32 v[198:199], v[200:201], v[214:215]
	v_add_f64 v[64:65], v[2:3], v[64:65]
	v_add_f64 v[198:199], v[4:5], v[198:199]
	scratch_load_dwordx4 v[2:5], off, s15
	s_add_i32 s15, s14, 0x3a0
	s_waitcnt vmcnt(0) lgkmcnt(2)
	v_mul_f64 v[200:201], v[204:205], v[4:5]
	v_mul_f64 v[4:5], v[202:203], v[4:5]
	v_fmac_f64_e32 v[4:5], v[204:205], v[2:3]
	v_fma_f64 v[200:201], v[202:203], v[2:3], -v[200:201]
	v_add_f64 v[198:199], v[198:199], v[4:5]
	scratch_load_dwordx4 v[2:5], off, s15
	v_add_f64 v[64:65], v[64:65], v[200:201]
	s_add_i32 s15, s14, 0x3b0
	s_waitcnt vmcnt(0) lgkmcnt(1)
	v_mul_f64 v[200:201], v[208:209], v[4:5]
	v_mul_f64 v[4:5], v[206:207], v[4:5]
	v_fmac_f64_e32 v[4:5], v[208:209], v[2:3]
	v_fma_f64 v[200:201], v[206:207], v[2:3], -v[200:201]
	v_add_f64 v[198:199], v[198:199], v[4:5]
	scratch_load_dwordx4 v[2:5], off, s15
	v_add_f64 v[64:65], v[64:65], v[200:201]
	s_add_i32 s15, s14, 0x3c0
	s_waitcnt vmcnt(0) lgkmcnt(0)
	v_mul_f64 v[200:201], v[212:213], v[4:5]
	v_mul_f64 v[4:5], v[210:211], v[4:5]
	v_fma_f64 v[200:201], v[210:211], v[2:3], -v[200:201]
	v_fmac_f64_e32 v[4:5], v[212:213], v[2:3]
	v_add_f64 v[64:65], v[64:65], v[200:201]
	v_add_f64 v[202:203], v[198:199], v[4:5]
	scratch_load_dwordx4 v[198:201], off, s15
	ds_read_b128 v[2:5], v218 offset:1968
	s_add_i32 s15, s14, 0x3d0
	s_waitcnt vmcnt(0) lgkmcnt(0)
	v_mul_f64 v[204:205], v[4:5], v[200:201]
	v_fma_f64 v[204:205], v[2:3], v[198:199], -v[204:205]
	v_mul_f64 v[2:3], v[2:3], v[200:201]
	v_fmac_f64_e32 v[2:3], v[4:5], v[198:199]
	scratch_load_dwordx4 v[198:201], off, s15
	v_add_f64 v[202:203], v[202:203], v[2:3]
	ds_read_b128 v[2:5], v218 offset:1984
	v_add_f64 v[64:65], v[64:65], v[204:205]
	s_add_i32 s15, s14, 0x3e0
	s_addk_i32 s14, 0x3f0
	s_or_b64 s[10:11], vcc, s[10:11]
	s_waitcnt vmcnt(0) lgkmcnt(0)
	v_mul_f64 v[204:205], v[4:5], v[200:201]
	v_fma_f64 v[204:205], v[2:3], v[198:199], -v[204:205]
	v_mul_f64 v[2:3], v[2:3], v[200:201]
	v_fmac_f64_e32 v[2:3], v[4:5], v[198:199]
	scratch_load_dwordx4 v[198:201], off, s15
	v_add_f64 v[202:203], v[202:203], v[2:3]
	ds_read_b128 v[2:5], v218 offset:2000
	v_add_f64 v[64:65], v[64:65], v[204:205]
	s_waitcnt vmcnt(0) lgkmcnt(0)
	v_mul_f64 v[204:205], v[4:5], v[200:201]
	v_fma_f64 v[204:205], v[2:3], v[198:199], -v[204:205]
	v_mul_f64 v[2:3], v[2:3], v[200:201]
	v_fmac_f64_e32 v[2:3], v[4:5], v[198:199]
	scratch_load_dwordx4 v[198:201], off, s14
	v_add_f64 v[202:203], v[202:203], v[2:3]
	ds_read_b128 v[2:5], v218 offset:2016
	v_add_f64 v[64:65], v[64:65], v[204:205]
	s_waitcnt vmcnt(0) lgkmcnt(0)
	v_mul_f64 v[204:205], v[4:5], v[200:201]
	v_mul_f64 v[200:201], v[2:3], v[200:201]
	v_fma_f64 v[204:205], v[2:3], v[198:199], -v[204:205]
	v_fmac_f64_e32 v[200:201], v[4:5], v[198:199]
	v_add_f64 v[2:3], v[64:65], v[204:205]
	v_add_f64 v[4:5], v[202:203], v[200:201]
	s_andn2_b64 exec, exec, s[10:11]
	s_cbranch_execnz .LBB62_81
; %bb.82:
	s_or_b64 exec, exec, s[10:11]
.LBB62_83:
	s_or_b64 exec, exec, s[2:3]
	v_and_b32_e32 v7, 7, v0
	v_cmp_ne_u32_e32 vcc, 0, v7
	s_and_saveexec_b64 s[2:3], vcc
	s_cbranch_execz .LBB62_87
; %bb.84:
	v_lshlrev_b32_e32 v64, 4, v6
	v_add_u32_e32 v6, 0x3f0, v64
	v_add_u32_e32 v198, 0, v64
	s_mov_b64 s[10:11], 0
.LBB62_85:                              ; =>This Inner Loop Header: Depth=1
	scratch_load_dwordx4 v[200:203], v198, off
	ds_read_b128 v[204:207], v6
	v_add_u32_e32 v7, -1, v7
	v_cmp_eq_u32_e32 vcc, 0, v7
	v_add_u32_e32 v6, 16, v6
	v_add_u32_e32 v198, 16, v198
	s_or_b64 s[10:11], vcc, s[10:11]
	s_waitcnt vmcnt(0) lgkmcnt(0)
	v_mul_f64 v[64:65], v[206:207], v[202:203]
	v_mul_f64 v[202:203], v[204:205], v[202:203]
	v_fma_f64 v[64:65], v[204:205], v[200:201], -v[64:65]
	v_fmac_f64_e32 v[202:203], v[206:207], v[200:201]
	v_add_f64 v[2:3], v[2:3], v[64:65]
	v_add_f64 v[4:5], v[4:5], v[202:203]
	s_andn2_b64 exec, exec, s[10:11]
	s_cbranch_execnz .LBB62_85
; %bb.86:
	s_or_b64 exec, exec, s[10:11]
.LBB62_87:
	s_or_b64 exec, exec, s[2:3]
.LBB62_88:
	s_or_b64 exec, exec, s[8:9]
	v_mov_b32_e32 v6, 0
	ds_read_b128 v[198:201], v6 offset:880
	s_waitcnt lgkmcnt(0)
	v_mul_f64 v[6:7], v[4:5], v[200:201]
	v_mul_f64 v[202:203], v[2:3], v[200:201]
	v_fma_f64 v[200:201], v[2:3], v[198:199], -v[6:7]
	v_fmac_f64_e32 v[202:203], v[4:5], v[198:199]
	scratch_store_dwordx4 off, v[200:203], off offset:880
.LBB62_89:
	s_or_b64 exec, exec, s[0:1]
	scratch_load_dwordx4 v[2:5], v144, off
	v_cmp_lt_u32_e64 s[0:1], 54, v0
	s_waitcnt vmcnt(0)
	ds_write_b128 v9, v[2:5]
	s_waitcnt lgkmcnt(0)
	; wave barrier
	s_waitcnt lgkmcnt(0)
	s_and_saveexec_b64 s[2:3], s[0:1]
	s_cbranch_execz .LBB62_103
; %bb.90:
	ds_read_b128 v[2:5], v9
	s_andn2_b64 vcc, exec, s[6:7]
	s_cbranch_vccnz .LBB62_92
; %bb.91:
	scratch_load_dwordx4 v[198:201], v8, off
	s_waitcnt vmcnt(0) lgkmcnt(0)
	v_mul_f64 v[64:65], v[2:3], v[200:201]
	v_mul_f64 v[6:7], v[4:5], v[200:201]
	v_fmac_f64_e32 v[64:65], v[4:5], v[198:199]
	v_fma_f64 v[2:3], v[2:3], v[198:199], -v[6:7]
	v_mov_b64_e32 v[4:5], v[64:65]
.LBB62_92:
	s_and_saveexec_b64 s[8:9], s[4:5]
	s_cbranch_execz .LBB62_102
; %bb.93:
	v_subrev_u32_e32 v7, 56, v0
	v_subrev_u32_e32 v6, 55, v0
	v_cmp_lt_u32_e32 vcc, 6, v7
	v_mov_b32_e32 v199, 55
	s_and_saveexec_b64 s[4:5], vcc
	s_cbranch_execz .LBB62_97
; %bb.94:
	v_and_b32_e32 v7, -8, v6
	s_mov_b32 s12, 0
	s_mov_b64 s[10:11], 0
	v_mov_b32_e32 v198, 0
	s_mov_b32 s13, 0
.LBB62_95:                              ; =>This Inner Loop Header: Depth=1
	v_readfirstlane_b32 s14, v198
	s_add_i32 s14, s14, s12
	s_add_i32 s15, s14, 0x370
	v_mov_b32_e32 v199, s12
	ds_read_b128 v[200:203], v199 offset:1888
	ds_read_b128 v[204:207], v199 offset:1904
	ds_read_b128 v[208:211], v199 offset:1920
	ds_read_b128 v[212:215], v199 offset:1936
	scratch_load_dwordx4 v[216:219], off, s15
	s_add_i32 s15, s14, 0x380
	s_addk_i32 s12, 0x80
	s_waitcnt vmcnt(0) lgkmcnt(3)
	v_mul_f64 v[64:65], v[202:203], v[218:219]
	v_fma_f64 v[64:65], v[200:201], v[216:217], -v[64:65]
	v_mul_f64 v[200:201], v[200:201], v[218:219]
	v_fmac_f64_e32 v[200:201], v[202:203], v[216:217]
	v_add_f64 v[64:65], v[2:3], v[64:65]
	v_add_f64 v[200:201], v[4:5], v[200:201]
	scratch_load_dwordx4 v[2:5], off, s15
	s_add_i32 s15, s14, 0x390
	s_waitcnt vmcnt(0) lgkmcnt(2)
	v_mul_f64 v[202:203], v[206:207], v[4:5]
	v_mul_f64 v[4:5], v[204:205], v[4:5]
	v_fmac_f64_e32 v[4:5], v[206:207], v[2:3]
	v_fma_f64 v[202:203], v[204:205], v[2:3], -v[202:203]
	v_add_f64 v[200:201], v[200:201], v[4:5]
	scratch_load_dwordx4 v[2:5], off, s15
	v_add_f64 v[64:65], v[64:65], v[202:203]
	s_add_i32 s15, s14, 0x3a0
	s_waitcnt vmcnt(0) lgkmcnt(1)
	v_mul_f64 v[202:203], v[210:211], v[4:5]
	v_mul_f64 v[4:5], v[208:209], v[4:5]
	v_fmac_f64_e32 v[4:5], v[210:211], v[2:3]
	v_fma_f64 v[202:203], v[208:209], v[2:3], -v[202:203]
	v_add_f64 v[200:201], v[200:201], v[4:5]
	scratch_load_dwordx4 v[2:5], off, s15
	v_add_f64 v[64:65], v[64:65], v[202:203]
	s_add_i32 s15, s14, 0x3b0
	s_waitcnt vmcnt(0) lgkmcnt(0)
	v_mul_f64 v[202:203], v[214:215], v[4:5]
	v_mul_f64 v[4:5], v[212:213], v[4:5]
	v_fma_f64 v[202:203], v[212:213], v[2:3], -v[202:203]
	v_fmac_f64_e32 v[4:5], v[214:215], v[2:3]
	v_add_f64 v[64:65], v[64:65], v[202:203]
	v_add_f64 v[204:205], v[200:201], v[4:5]
	scratch_load_dwordx4 v[200:203], off, s15
	ds_read_b128 v[2:5], v199 offset:1952
	s_add_i32 s15, s14, 0x3c0
	s_waitcnt vmcnt(0) lgkmcnt(0)
	v_mul_f64 v[206:207], v[4:5], v[202:203]
	v_fma_f64 v[206:207], v[2:3], v[200:201], -v[206:207]
	v_mul_f64 v[2:3], v[2:3], v[202:203]
	v_fmac_f64_e32 v[2:3], v[4:5], v[200:201]
	scratch_load_dwordx4 v[200:203], off, s15
	v_add_f64 v[204:205], v[204:205], v[2:3]
	ds_read_b128 v[2:5], v199 offset:1968
	v_add_f64 v[64:65], v[64:65], v[206:207]
	s_add_i32 s15, s14, 0x3d0
	s_addk_i32 s14, 0x3e0
	s_waitcnt vmcnt(0) lgkmcnt(0)
	v_mul_f64 v[206:207], v[4:5], v[202:203]
	v_fma_f64 v[206:207], v[2:3], v[200:201], -v[206:207]
	v_mul_f64 v[2:3], v[2:3], v[202:203]
	v_fmac_f64_e32 v[2:3], v[4:5], v[200:201]
	scratch_load_dwordx4 v[200:203], off, s15
	v_add_f64 v[204:205], v[204:205], v[2:3]
	ds_read_b128 v[2:5], v199 offset:1984
	v_add_f64 v[64:65], v[64:65], v[206:207]
	s_waitcnt vmcnt(0) lgkmcnt(0)
	v_mul_f64 v[206:207], v[4:5], v[202:203]
	v_fma_f64 v[206:207], v[2:3], v[200:201], -v[206:207]
	v_mul_f64 v[2:3], v[2:3], v[202:203]
	v_fmac_f64_e32 v[2:3], v[4:5], v[200:201]
	scratch_load_dwordx4 v[200:203], off, s14
	v_add_f64 v[204:205], v[204:205], v[2:3]
	ds_read_b128 v[2:5], v199 offset:2000
	v_add_f64 v[64:65], v[64:65], v[206:207]
	s_add_i32 s14, s13, 8
	v_cmp_eq_u32_e32 vcc, s14, v7
	s_add_i32 s13, s13, 63
	s_or_b64 s[10:11], vcc, s[10:11]
	v_mov_b32_e32 v199, s13
	s_mov_b32 s13, s14
	s_waitcnt vmcnt(0) lgkmcnt(0)
	v_mul_f64 v[206:207], v[4:5], v[202:203]
	v_mul_f64 v[202:203], v[2:3], v[202:203]
	v_fma_f64 v[206:207], v[2:3], v[200:201], -v[206:207]
	v_fmac_f64_e32 v[202:203], v[4:5], v[200:201]
	v_add_f64 v[2:3], v[64:65], v[206:207]
	v_add_f64 v[4:5], v[204:205], v[202:203]
	s_andn2_b64 exec, exec, s[10:11]
	s_cbranch_execnz .LBB62_95
; %bb.96:
	s_or_b64 exec, exec, s[10:11]
.LBB62_97:
	s_or_b64 exec, exec, s[4:5]
	v_and_b32_e32 v6, 7, v6
	v_cmp_ne_u32_e32 vcc, 0, v6
	s_and_saveexec_b64 s[4:5], vcc
	s_cbranch_execz .LBB62_101
; %bb.98:
	v_lshlrev_b32_e32 v64, 4, v199
	v_add_u32_e32 v7, 0x3f0, v64
	v_add_u32_e32 v198, 0, v64
	s_mov_b64 s[10:11], 0
.LBB62_99:                              ; =>This Inner Loop Header: Depth=1
	scratch_load_dwordx4 v[200:203], v198, off
	ds_read_b128 v[204:207], v7
	v_add_u32_e32 v6, -1, v6
	v_cmp_eq_u32_e32 vcc, 0, v6
	v_add_u32_e32 v7, 16, v7
	v_add_u32_e32 v198, 16, v198
	s_or_b64 s[10:11], vcc, s[10:11]
	s_waitcnt vmcnt(0) lgkmcnt(0)
	v_mul_f64 v[64:65], v[206:207], v[202:203]
	v_mul_f64 v[202:203], v[204:205], v[202:203]
	v_fma_f64 v[64:65], v[204:205], v[200:201], -v[64:65]
	v_fmac_f64_e32 v[202:203], v[206:207], v[200:201]
	v_add_f64 v[2:3], v[2:3], v[64:65]
	v_add_f64 v[4:5], v[4:5], v[202:203]
	s_andn2_b64 exec, exec, s[10:11]
	s_cbranch_execnz .LBB62_99
; %bb.100:
	s_or_b64 exec, exec, s[10:11]
.LBB62_101:
	s_or_b64 exec, exec, s[4:5]
.LBB62_102:
	s_or_b64 exec, exec, s[8:9]
	v_mov_b32_e32 v6, 0
	ds_read_b128 v[198:201], v6 offset:864
	s_waitcnt lgkmcnt(0)
	v_mul_f64 v[6:7], v[4:5], v[200:201]
	v_mul_f64 v[202:203], v[2:3], v[200:201]
	v_fma_f64 v[200:201], v[2:3], v[198:199], -v[6:7]
	v_fmac_f64_e32 v[202:203], v[4:5], v[198:199]
	scratch_store_dwordx4 off, v[200:203], off offset:864
.LBB62_103:
	s_or_b64 exec, exec, s[2:3]
	scratch_load_dwordx4 v[2:5], v145, off
	v_cmp_lt_u32_e64 s[2:3], 53, v0
	s_waitcnt vmcnt(0)
	ds_write_b128 v9, v[2:5]
	s_waitcnt lgkmcnt(0)
	; wave barrier
	s_waitcnt lgkmcnt(0)
	s_and_saveexec_b64 s[4:5], s[2:3]
	s_cbranch_execz .LBB62_117
; %bb.104:
	ds_read_b128 v[2:5], v9
	s_andn2_b64 vcc, exec, s[6:7]
	s_cbranch_vccnz .LBB62_106
; %bb.105:
	scratch_load_dwordx4 v[198:201], v8, off
	s_waitcnt vmcnt(0) lgkmcnt(0)
	v_mul_f64 v[64:65], v[2:3], v[200:201]
	v_mul_f64 v[6:7], v[4:5], v[200:201]
	v_fmac_f64_e32 v[64:65], v[4:5], v[198:199]
	v_fma_f64 v[2:3], v[2:3], v[198:199], -v[6:7]
	v_mov_b64_e32 v[4:5], v[64:65]
.LBB62_106:
	s_and_saveexec_b64 s[8:9], s[0:1]
	s_cbranch_execz .LBB62_116
; %bb.107:
	v_subrev_u32_e32 v7, 55, v0
	v_subrev_u32_e32 v6, 54, v0
	v_cmp_lt_u32_e32 vcc, 6, v7
	v_mov_b32_e32 v199, 54
	s_and_saveexec_b64 s[0:1], vcc
	s_cbranch_execz .LBB62_111
; %bb.108:
	v_and_b32_e32 v7, -8, v6
	s_mov_b32 s12, 0
	s_mov_b64 s[10:11], 0
	v_mov_b32_e32 v198, 0
	s_mov_b32 s13, 0
.LBB62_109:                             ; =>This Inner Loop Header: Depth=1
	v_readfirstlane_b32 s14, v198
	s_add_i32 s14, s14, s12
	s_add_i32 s15, s14, 0x360
	v_mov_b32_e32 v199, s12
	ds_read_b128 v[200:203], v199 offset:1872
	ds_read_b128 v[204:207], v199 offset:1888
	ds_read_b128 v[208:211], v199 offset:1904
	ds_read_b128 v[212:215], v199 offset:1920
	scratch_load_dwordx4 v[216:219], off, s15
	s_add_i32 s15, s14, 0x370
	s_addk_i32 s12, 0x80
	s_waitcnt vmcnt(0) lgkmcnt(3)
	v_mul_f64 v[64:65], v[202:203], v[218:219]
	v_fma_f64 v[64:65], v[200:201], v[216:217], -v[64:65]
	v_mul_f64 v[200:201], v[200:201], v[218:219]
	v_fmac_f64_e32 v[200:201], v[202:203], v[216:217]
	v_add_f64 v[64:65], v[2:3], v[64:65]
	v_add_f64 v[200:201], v[4:5], v[200:201]
	scratch_load_dwordx4 v[2:5], off, s15
	s_add_i32 s15, s14, 0x380
	s_waitcnt vmcnt(0) lgkmcnt(2)
	v_mul_f64 v[202:203], v[206:207], v[4:5]
	v_mul_f64 v[4:5], v[204:205], v[4:5]
	v_fmac_f64_e32 v[4:5], v[206:207], v[2:3]
	v_fma_f64 v[202:203], v[204:205], v[2:3], -v[202:203]
	v_add_f64 v[200:201], v[200:201], v[4:5]
	scratch_load_dwordx4 v[2:5], off, s15
	v_add_f64 v[64:65], v[64:65], v[202:203]
	s_add_i32 s15, s14, 0x390
	s_waitcnt vmcnt(0) lgkmcnt(1)
	v_mul_f64 v[202:203], v[210:211], v[4:5]
	v_mul_f64 v[4:5], v[208:209], v[4:5]
	v_fmac_f64_e32 v[4:5], v[210:211], v[2:3]
	v_fma_f64 v[202:203], v[208:209], v[2:3], -v[202:203]
	v_add_f64 v[200:201], v[200:201], v[4:5]
	scratch_load_dwordx4 v[2:5], off, s15
	v_add_f64 v[64:65], v[64:65], v[202:203]
	s_add_i32 s15, s14, 0x3a0
	s_waitcnt vmcnt(0) lgkmcnt(0)
	v_mul_f64 v[202:203], v[214:215], v[4:5]
	v_mul_f64 v[4:5], v[212:213], v[4:5]
	v_fma_f64 v[202:203], v[212:213], v[2:3], -v[202:203]
	v_fmac_f64_e32 v[4:5], v[214:215], v[2:3]
	v_add_f64 v[64:65], v[64:65], v[202:203]
	v_add_f64 v[204:205], v[200:201], v[4:5]
	scratch_load_dwordx4 v[200:203], off, s15
	ds_read_b128 v[2:5], v199 offset:1936
	s_add_i32 s15, s14, 0x3b0
	s_waitcnt vmcnt(0) lgkmcnt(0)
	v_mul_f64 v[206:207], v[4:5], v[202:203]
	v_fma_f64 v[206:207], v[2:3], v[200:201], -v[206:207]
	v_mul_f64 v[2:3], v[2:3], v[202:203]
	v_fmac_f64_e32 v[2:3], v[4:5], v[200:201]
	scratch_load_dwordx4 v[200:203], off, s15
	v_add_f64 v[204:205], v[204:205], v[2:3]
	ds_read_b128 v[2:5], v199 offset:1952
	v_add_f64 v[64:65], v[64:65], v[206:207]
	s_add_i32 s15, s14, 0x3c0
	s_addk_i32 s14, 0x3d0
	s_waitcnt vmcnt(0) lgkmcnt(0)
	v_mul_f64 v[206:207], v[4:5], v[202:203]
	v_fma_f64 v[206:207], v[2:3], v[200:201], -v[206:207]
	v_mul_f64 v[2:3], v[2:3], v[202:203]
	v_fmac_f64_e32 v[2:3], v[4:5], v[200:201]
	scratch_load_dwordx4 v[200:203], off, s15
	v_add_f64 v[204:205], v[204:205], v[2:3]
	ds_read_b128 v[2:5], v199 offset:1968
	v_add_f64 v[64:65], v[64:65], v[206:207]
	s_waitcnt vmcnt(0) lgkmcnt(0)
	v_mul_f64 v[206:207], v[4:5], v[202:203]
	v_fma_f64 v[206:207], v[2:3], v[200:201], -v[206:207]
	v_mul_f64 v[2:3], v[2:3], v[202:203]
	v_fmac_f64_e32 v[2:3], v[4:5], v[200:201]
	scratch_load_dwordx4 v[200:203], off, s14
	v_add_f64 v[204:205], v[204:205], v[2:3]
	ds_read_b128 v[2:5], v199 offset:1984
	v_add_f64 v[64:65], v[64:65], v[206:207]
	s_add_i32 s14, s13, 8
	v_cmp_eq_u32_e32 vcc, s14, v7
	s_add_i32 s13, s13, 62
	s_or_b64 s[10:11], vcc, s[10:11]
	v_mov_b32_e32 v199, s13
	s_mov_b32 s13, s14
	s_waitcnt vmcnt(0) lgkmcnt(0)
	v_mul_f64 v[206:207], v[4:5], v[202:203]
	v_mul_f64 v[202:203], v[2:3], v[202:203]
	v_fma_f64 v[206:207], v[2:3], v[200:201], -v[206:207]
	v_fmac_f64_e32 v[202:203], v[4:5], v[200:201]
	v_add_f64 v[2:3], v[64:65], v[206:207]
	v_add_f64 v[4:5], v[204:205], v[202:203]
	s_andn2_b64 exec, exec, s[10:11]
	s_cbranch_execnz .LBB62_109
; %bb.110:
	s_or_b64 exec, exec, s[10:11]
.LBB62_111:
	s_or_b64 exec, exec, s[0:1]
	v_and_b32_e32 v6, 7, v6
	v_cmp_ne_u32_e32 vcc, 0, v6
	s_and_saveexec_b64 s[0:1], vcc
	s_cbranch_execz .LBB62_115
; %bb.112:
	v_lshlrev_b32_e32 v64, 4, v199
	v_add_u32_e32 v7, 0x3f0, v64
	v_add_u32_e32 v198, 0, v64
	s_mov_b64 s[10:11], 0
.LBB62_113:                             ; =>This Inner Loop Header: Depth=1
	scratch_load_dwordx4 v[200:203], v198, off
	ds_read_b128 v[204:207], v7
	v_add_u32_e32 v6, -1, v6
	v_cmp_eq_u32_e32 vcc, 0, v6
	v_add_u32_e32 v7, 16, v7
	v_add_u32_e32 v198, 16, v198
	s_or_b64 s[10:11], vcc, s[10:11]
	s_waitcnt vmcnt(0) lgkmcnt(0)
	v_mul_f64 v[64:65], v[206:207], v[202:203]
	v_mul_f64 v[202:203], v[204:205], v[202:203]
	v_fma_f64 v[64:65], v[204:205], v[200:201], -v[64:65]
	v_fmac_f64_e32 v[202:203], v[206:207], v[200:201]
	v_add_f64 v[2:3], v[2:3], v[64:65]
	v_add_f64 v[4:5], v[4:5], v[202:203]
	s_andn2_b64 exec, exec, s[10:11]
	s_cbranch_execnz .LBB62_113
; %bb.114:
	s_or_b64 exec, exec, s[10:11]
.LBB62_115:
	s_or_b64 exec, exec, s[0:1]
.LBB62_116:
	s_or_b64 exec, exec, s[8:9]
	v_mov_b32_e32 v6, 0
	ds_read_b128 v[198:201], v6 offset:848
	s_waitcnt lgkmcnt(0)
	v_mul_f64 v[6:7], v[4:5], v[200:201]
	v_mul_f64 v[202:203], v[2:3], v[200:201]
	v_fma_f64 v[200:201], v[2:3], v[198:199], -v[6:7]
	v_fmac_f64_e32 v[202:203], v[4:5], v[198:199]
	scratch_store_dwordx4 off, v[200:203], off offset:848
.LBB62_117:
	s_or_b64 exec, exec, s[4:5]
	scratch_load_dwordx4 v[2:5], v146, off
	v_cmp_lt_u32_e64 s[0:1], 52, v0
	s_waitcnt vmcnt(0)
	ds_write_b128 v9, v[2:5]
	s_waitcnt lgkmcnt(0)
	; wave barrier
	s_waitcnt lgkmcnt(0)
	s_and_saveexec_b64 s[4:5], s[0:1]
	s_cbranch_execz .LBB62_131
; %bb.118:
	ds_read_b128 v[2:5], v9
	s_andn2_b64 vcc, exec, s[6:7]
	s_cbranch_vccnz .LBB62_120
; %bb.119:
	scratch_load_dwordx4 v[198:201], v8, off
	s_waitcnt vmcnt(0) lgkmcnt(0)
	v_mul_f64 v[64:65], v[2:3], v[200:201]
	v_mul_f64 v[6:7], v[4:5], v[200:201]
	v_fmac_f64_e32 v[64:65], v[4:5], v[198:199]
	v_fma_f64 v[2:3], v[2:3], v[198:199], -v[6:7]
	v_mov_b64_e32 v[4:5], v[64:65]
.LBB62_120:
	s_and_saveexec_b64 s[8:9], s[2:3]
	s_cbranch_execz .LBB62_130
; %bb.121:
	v_subrev_u32_e32 v7, 54, v0
	v_subrev_u32_e32 v6, 53, v0
	v_cmp_lt_u32_e32 vcc, 6, v7
	v_mov_b32_e32 v199, 53
	s_and_saveexec_b64 s[2:3], vcc
	s_cbranch_execz .LBB62_125
; %bb.122:
	v_and_b32_e32 v7, -8, v6
	s_mov_b32 s12, 0
	s_mov_b64 s[10:11], 0
	v_mov_b32_e32 v198, 0
	s_mov_b32 s13, 0
.LBB62_123:                             ; =>This Inner Loop Header: Depth=1
	v_readfirstlane_b32 s14, v198
	s_add_i32 s14, s14, s12
	s_add_i32 s15, s14, 0x350
	v_mov_b32_e32 v199, s12
	ds_read_b128 v[200:203], v199 offset:1856
	ds_read_b128 v[204:207], v199 offset:1872
	;; [unrolled: 1-line block ×4, first 2 shown]
	scratch_load_dwordx4 v[216:219], off, s15
	s_add_i32 s15, s14, 0x360
	s_addk_i32 s12, 0x80
	s_waitcnt vmcnt(0) lgkmcnt(3)
	v_mul_f64 v[64:65], v[202:203], v[218:219]
	v_fma_f64 v[64:65], v[200:201], v[216:217], -v[64:65]
	v_mul_f64 v[200:201], v[200:201], v[218:219]
	v_fmac_f64_e32 v[200:201], v[202:203], v[216:217]
	v_add_f64 v[64:65], v[2:3], v[64:65]
	v_add_f64 v[200:201], v[4:5], v[200:201]
	scratch_load_dwordx4 v[2:5], off, s15
	s_add_i32 s15, s14, 0x370
	s_waitcnt vmcnt(0) lgkmcnt(2)
	v_mul_f64 v[202:203], v[206:207], v[4:5]
	v_mul_f64 v[4:5], v[204:205], v[4:5]
	v_fmac_f64_e32 v[4:5], v[206:207], v[2:3]
	v_fma_f64 v[202:203], v[204:205], v[2:3], -v[202:203]
	v_add_f64 v[200:201], v[200:201], v[4:5]
	scratch_load_dwordx4 v[2:5], off, s15
	v_add_f64 v[64:65], v[64:65], v[202:203]
	s_add_i32 s15, s14, 0x380
	s_waitcnt vmcnt(0) lgkmcnt(1)
	v_mul_f64 v[202:203], v[210:211], v[4:5]
	v_mul_f64 v[4:5], v[208:209], v[4:5]
	v_fmac_f64_e32 v[4:5], v[210:211], v[2:3]
	v_fma_f64 v[202:203], v[208:209], v[2:3], -v[202:203]
	v_add_f64 v[200:201], v[200:201], v[4:5]
	scratch_load_dwordx4 v[2:5], off, s15
	v_add_f64 v[64:65], v[64:65], v[202:203]
	s_add_i32 s15, s14, 0x390
	s_waitcnt vmcnt(0) lgkmcnt(0)
	v_mul_f64 v[202:203], v[214:215], v[4:5]
	v_mul_f64 v[4:5], v[212:213], v[4:5]
	v_fma_f64 v[202:203], v[212:213], v[2:3], -v[202:203]
	v_fmac_f64_e32 v[4:5], v[214:215], v[2:3]
	v_add_f64 v[64:65], v[64:65], v[202:203]
	v_add_f64 v[204:205], v[200:201], v[4:5]
	scratch_load_dwordx4 v[200:203], off, s15
	ds_read_b128 v[2:5], v199 offset:1920
	s_add_i32 s15, s14, 0x3a0
	s_waitcnt vmcnt(0) lgkmcnt(0)
	v_mul_f64 v[206:207], v[4:5], v[202:203]
	v_fma_f64 v[206:207], v[2:3], v[200:201], -v[206:207]
	v_mul_f64 v[2:3], v[2:3], v[202:203]
	v_fmac_f64_e32 v[2:3], v[4:5], v[200:201]
	scratch_load_dwordx4 v[200:203], off, s15
	v_add_f64 v[204:205], v[204:205], v[2:3]
	ds_read_b128 v[2:5], v199 offset:1936
	v_add_f64 v[64:65], v[64:65], v[206:207]
	s_add_i32 s15, s14, 0x3b0
	s_addk_i32 s14, 0x3c0
	s_waitcnt vmcnt(0) lgkmcnt(0)
	v_mul_f64 v[206:207], v[4:5], v[202:203]
	v_fma_f64 v[206:207], v[2:3], v[200:201], -v[206:207]
	v_mul_f64 v[2:3], v[2:3], v[202:203]
	v_fmac_f64_e32 v[2:3], v[4:5], v[200:201]
	scratch_load_dwordx4 v[200:203], off, s15
	v_add_f64 v[204:205], v[204:205], v[2:3]
	ds_read_b128 v[2:5], v199 offset:1952
	v_add_f64 v[64:65], v[64:65], v[206:207]
	s_waitcnt vmcnt(0) lgkmcnt(0)
	v_mul_f64 v[206:207], v[4:5], v[202:203]
	v_fma_f64 v[206:207], v[2:3], v[200:201], -v[206:207]
	v_mul_f64 v[2:3], v[2:3], v[202:203]
	v_fmac_f64_e32 v[2:3], v[4:5], v[200:201]
	scratch_load_dwordx4 v[200:203], off, s14
	v_add_f64 v[204:205], v[204:205], v[2:3]
	ds_read_b128 v[2:5], v199 offset:1968
	v_add_f64 v[64:65], v[64:65], v[206:207]
	s_add_i32 s14, s13, 8
	v_cmp_eq_u32_e32 vcc, s14, v7
	s_add_i32 s13, s13, 61
	s_or_b64 s[10:11], vcc, s[10:11]
	v_mov_b32_e32 v199, s13
	s_mov_b32 s13, s14
	s_waitcnt vmcnt(0) lgkmcnt(0)
	v_mul_f64 v[206:207], v[4:5], v[202:203]
	v_mul_f64 v[202:203], v[2:3], v[202:203]
	v_fma_f64 v[206:207], v[2:3], v[200:201], -v[206:207]
	v_fmac_f64_e32 v[202:203], v[4:5], v[200:201]
	v_add_f64 v[2:3], v[64:65], v[206:207]
	v_add_f64 v[4:5], v[204:205], v[202:203]
	s_andn2_b64 exec, exec, s[10:11]
	s_cbranch_execnz .LBB62_123
; %bb.124:
	s_or_b64 exec, exec, s[10:11]
.LBB62_125:
	s_or_b64 exec, exec, s[2:3]
	v_and_b32_e32 v6, 7, v6
	v_cmp_ne_u32_e32 vcc, 0, v6
	s_and_saveexec_b64 s[2:3], vcc
	s_cbranch_execz .LBB62_129
; %bb.126:
	v_lshlrev_b32_e32 v64, 4, v199
	v_add_u32_e32 v7, 0x3f0, v64
	v_add_u32_e32 v198, 0, v64
	s_mov_b64 s[10:11], 0
.LBB62_127:                             ; =>This Inner Loop Header: Depth=1
	scratch_load_dwordx4 v[200:203], v198, off
	ds_read_b128 v[204:207], v7
	v_add_u32_e32 v6, -1, v6
	v_cmp_eq_u32_e32 vcc, 0, v6
	v_add_u32_e32 v7, 16, v7
	v_add_u32_e32 v198, 16, v198
	s_or_b64 s[10:11], vcc, s[10:11]
	s_waitcnt vmcnt(0) lgkmcnt(0)
	v_mul_f64 v[64:65], v[206:207], v[202:203]
	v_mul_f64 v[202:203], v[204:205], v[202:203]
	v_fma_f64 v[64:65], v[204:205], v[200:201], -v[64:65]
	v_fmac_f64_e32 v[202:203], v[206:207], v[200:201]
	v_add_f64 v[2:3], v[2:3], v[64:65]
	v_add_f64 v[4:5], v[4:5], v[202:203]
	s_andn2_b64 exec, exec, s[10:11]
	s_cbranch_execnz .LBB62_127
; %bb.128:
	s_or_b64 exec, exec, s[10:11]
.LBB62_129:
	s_or_b64 exec, exec, s[2:3]
.LBB62_130:
	s_or_b64 exec, exec, s[8:9]
	v_mov_b32_e32 v6, 0
	ds_read_b128 v[198:201], v6 offset:832
	s_waitcnt lgkmcnt(0)
	v_mul_f64 v[6:7], v[4:5], v[200:201]
	v_mul_f64 v[202:203], v[2:3], v[200:201]
	v_fma_f64 v[200:201], v[2:3], v[198:199], -v[6:7]
	v_fmac_f64_e32 v[202:203], v[4:5], v[198:199]
	scratch_store_dwordx4 off, v[200:203], off offset:832
.LBB62_131:
	s_or_b64 exec, exec, s[4:5]
	scratch_load_dwordx4 v[2:5], v147, off
	v_cmp_lt_u32_e64 s[2:3], 51, v0
	s_waitcnt vmcnt(0)
	ds_write_b128 v9, v[2:5]
	s_waitcnt lgkmcnt(0)
	; wave barrier
	s_waitcnt lgkmcnt(0)
	s_and_saveexec_b64 s[4:5], s[2:3]
	s_cbranch_execz .LBB62_145
; %bb.132:
	ds_read_b128 v[2:5], v9
	s_andn2_b64 vcc, exec, s[6:7]
	s_cbranch_vccnz .LBB62_134
; %bb.133:
	scratch_load_dwordx4 v[198:201], v8, off
	s_waitcnt vmcnt(0) lgkmcnt(0)
	v_mul_f64 v[64:65], v[2:3], v[200:201]
	v_mul_f64 v[6:7], v[4:5], v[200:201]
	v_fmac_f64_e32 v[64:65], v[4:5], v[198:199]
	v_fma_f64 v[2:3], v[2:3], v[198:199], -v[6:7]
	v_mov_b64_e32 v[4:5], v[64:65]
.LBB62_134:
	s_and_saveexec_b64 s[8:9], s[0:1]
	s_cbranch_execz .LBB62_144
; %bb.135:
	v_subrev_u32_e32 v7, 53, v0
	v_subrev_u32_e32 v6, 52, v0
	v_cmp_lt_u32_e32 vcc, 6, v7
	v_mov_b32_e32 v199, 52
	s_and_saveexec_b64 s[0:1], vcc
	s_cbranch_execz .LBB62_139
; %bb.136:
	v_and_b32_e32 v7, -8, v6
	s_mov_b32 s12, 0
	s_mov_b64 s[10:11], 0
	v_mov_b32_e32 v198, 0
	s_mov_b32 s13, 0
.LBB62_137:                             ; =>This Inner Loop Header: Depth=1
	v_readfirstlane_b32 s14, v198
	s_add_i32 s14, s14, s12
	s_add_i32 s15, s14, 0x340
	v_mov_b32_e32 v199, s12
	ds_read_b128 v[200:203], v199 offset:1840
	ds_read_b128 v[204:207], v199 offset:1856
	;; [unrolled: 1-line block ×4, first 2 shown]
	scratch_load_dwordx4 v[216:219], off, s15
	s_add_i32 s15, s14, 0x350
	s_addk_i32 s12, 0x80
	s_waitcnt vmcnt(0) lgkmcnt(3)
	v_mul_f64 v[64:65], v[202:203], v[218:219]
	v_fma_f64 v[64:65], v[200:201], v[216:217], -v[64:65]
	v_mul_f64 v[200:201], v[200:201], v[218:219]
	v_fmac_f64_e32 v[200:201], v[202:203], v[216:217]
	v_add_f64 v[64:65], v[2:3], v[64:65]
	v_add_f64 v[200:201], v[4:5], v[200:201]
	scratch_load_dwordx4 v[2:5], off, s15
	s_add_i32 s15, s14, 0x360
	s_waitcnt vmcnt(0) lgkmcnt(2)
	v_mul_f64 v[202:203], v[206:207], v[4:5]
	v_mul_f64 v[4:5], v[204:205], v[4:5]
	v_fmac_f64_e32 v[4:5], v[206:207], v[2:3]
	v_fma_f64 v[202:203], v[204:205], v[2:3], -v[202:203]
	v_add_f64 v[200:201], v[200:201], v[4:5]
	scratch_load_dwordx4 v[2:5], off, s15
	v_add_f64 v[64:65], v[64:65], v[202:203]
	s_add_i32 s15, s14, 0x370
	s_waitcnt vmcnt(0) lgkmcnt(1)
	v_mul_f64 v[202:203], v[210:211], v[4:5]
	v_mul_f64 v[4:5], v[208:209], v[4:5]
	v_fmac_f64_e32 v[4:5], v[210:211], v[2:3]
	v_fma_f64 v[202:203], v[208:209], v[2:3], -v[202:203]
	v_add_f64 v[200:201], v[200:201], v[4:5]
	scratch_load_dwordx4 v[2:5], off, s15
	v_add_f64 v[64:65], v[64:65], v[202:203]
	s_add_i32 s15, s14, 0x380
	s_waitcnt vmcnt(0) lgkmcnt(0)
	v_mul_f64 v[202:203], v[214:215], v[4:5]
	v_mul_f64 v[4:5], v[212:213], v[4:5]
	v_fma_f64 v[202:203], v[212:213], v[2:3], -v[202:203]
	v_fmac_f64_e32 v[4:5], v[214:215], v[2:3]
	v_add_f64 v[64:65], v[64:65], v[202:203]
	v_add_f64 v[204:205], v[200:201], v[4:5]
	scratch_load_dwordx4 v[200:203], off, s15
	ds_read_b128 v[2:5], v199 offset:1904
	s_add_i32 s15, s14, 0x390
	s_waitcnt vmcnt(0) lgkmcnt(0)
	v_mul_f64 v[206:207], v[4:5], v[202:203]
	v_fma_f64 v[206:207], v[2:3], v[200:201], -v[206:207]
	v_mul_f64 v[2:3], v[2:3], v[202:203]
	v_fmac_f64_e32 v[2:3], v[4:5], v[200:201]
	scratch_load_dwordx4 v[200:203], off, s15
	v_add_f64 v[204:205], v[204:205], v[2:3]
	ds_read_b128 v[2:5], v199 offset:1920
	v_add_f64 v[64:65], v[64:65], v[206:207]
	s_add_i32 s15, s14, 0x3a0
	s_addk_i32 s14, 0x3b0
	s_waitcnt vmcnt(0) lgkmcnt(0)
	v_mul_f64 v[206:207], v[4:5], v[202:203]
	v_fma_f64 v[206:207], v[2:3], v[200:201], -v[206:207]
	v_mul_f64 v[2:3], v[2:3], v[202:203]
	v_fmac_f64_e32 v[2:3], v[4:5], v[200:201]
	scratch_load_dwordx4 v[200:203], off, s15
	v_add_f64 v[204:205], v[204:205], v[2:3]
	ds_read_b128 v[2:5], v199 offset:1936
	v_add_f64 v[64:65], v[64:65], v[206:207]
	s_waitcnt vmcnt(0) lgkmcnt(0)
	v_mul_f64 v[206:207], v[4:5], v[202:203]
	v_fma_f64 v[206:207], v[2:3], v[200:201], -v[206:207]
	v_mul_f64 v[2:3], v[2:3], v[202:203]
	v_fmac_f64_e32 v[2:3], v[4:5], v[200:201]
	scratch_load_dwordx4 v[200:203], off, s14
	v_add_f64 v[204:205], v[204:205], v[2:3]
	ds_read_b128 v[2:5], v199 offset:1952
	v_add_f64 v[64:65], v[64:65], v[206:207]
	s_add_i32 s14, s13, 8
	v_cmp_eq_u32_e32 vcc, s14, v7
	s_add_i32 s13, s13, 60
	s_or_b64 s[10:11], vcc, s[10:11]
	v_mov_b32_e32 v199, s13
	s_mov_b32 s13, s14
	s_waitcnt vmcnt(0) lgkmcnt(0)
	v_mul_f64 v[206:207], v[4:5], v[202:203]
	v_mul_f64 v[202:203], v[2:3], v[202:203]
	v_fma_f64 v[206:207], v[2:3], v[200:201], -v[206:207]
	v_fmac_f64_e32 v[202:203], v[4:5], v[200:201]
	v_add_f64 v[2:3], v[64:65], v[206:207]
	v_add_f64 v[4:5], v[204:205], v[202:203]
	s_andn2_b64 exec, exec, s[10:11]
	s_cbranch_execnz .LBB62_137
; %bb.138:
	s_or_b64 exec, exec, s[10:11]
.LBB62_139:
	s_or_b64 exec, exec, s[0:1]
	v_and_b32_e32 v6, 7, v6
	v_cmp_ne_u32_e32 vcc, 0, v6
	s_and_saveexec_b64 s[0:1], vcc
	s_cbranch_execz .LBB62_143
; %bb.140:
	v_lshlrev_b32_e32 v64, 4, v199
	v_add_u32_e32 v7, 0x3f0, v64
	v_add_u32_e32 v198, 0, v64
	s_mov_b64 s[10:11], 0
.LBB62_141:                             ; =>This Inner Loop Header: Depth=1
	scratch_load_dwordx4 v[200:203], v198, off
	ds_read_b128 v[204:207], v7
	v_add_u32_e32 v6, -1, v6
	v_cmp_eq_u32_e32 vcc, 0, v6
	v_add_u32_e32 v7, 16, v7
	v_add_u32_e32 v198, 16, v198
	s_or_b64 s[10:11], vcc, s[10:11]
	s_waitcnt vmcnt(0) lgkmcnt(0)
	v_mul_f64 v[64:65], v[206:207], v[202:203]
	v_mul_f64 v[202:203], v[204:205], v[202:203]
	v_fma_f64 v[64:65], v[204:205], v[200:201], -v[64:65]
	v_fmac_f64_e32 v[202:203], v[206:207], v[200:201]
	v_add_f64 v[2:3], v[2:3], v[64:65]
	v_add_f64 v[4:5], v[4:5], v[202:203]
	s_andn2_b64 exec, exec, s[10:11]
	s_cbranch_execnz .LBB62_141
; %bb.142:
	s_or_b64 exec, exec, s[10:11]
.LBB62_143:
	s_or_b64 exec, exec, s[0:1]
.LBB62_144:
	s_or_b64 exec, exec, s[8:9]
	v_mov_b32_e32 v6, 0
	ds_read_b128 v[198:201], v6 offset:816
	s_waitcnt lgkmcnt(0)
	v_mul_f64 v[6:7], v[4:5], v[200:201]
	v_mul_f64 v[202:203], v[2:3], v[200:201]
	v_fma_f64 v[200:201], v[2:3], v[198:199], -v[6:7]
	v_fmac_f64_e32 v[202:203], v[4:5], v[198:199]
	scratch_store_dwordx4 off, v[200:203], off offset:816
.LBB62_145:
	s_or_b64 exec, exec, s[4:5]
	scratch_load_dwordx4 v[2:5], v148, off
	v_cmp_lt_u32_e64 s[0:1], 50, v0
	s_waitcnt vmcnt(0)
	ds_write_b128 v9, v[2:5]
	s_waitcnt lgkmcnt(0)
	; wave barrier
	s_waitcnt lgkmcnt(0)
	s_and_saveexec_b64 s[4:5], s[0:1]
	s_cbranch_execz .LBB62_159
; %bb.146:
	ds_read_b128 v[2:5], v9
	s_andn2_b64 vcc, exec, s[6:7]
	s_cbranch_vccnz .LBB62_148
; %bb.147:
	scratch_load_dwordx4 v[198:201], v8, off
	s_waitcnt vmcnt(0) lgkmcnt(0)
	v_mul_f64 v[64:65], v[2:3], v[200:201]
	v_mul_f64 v[6:7], v[4:5], v[200:201]
	v_fmac_f64_e32 v[64:65], v[4:5], v[198:199]
	v_fma_f64 v[2:3], v[2:3], v[198:199], -v[6:7]
	v_mov_b64_e32 v[4:5], v[64:65]
.LBB62_148:
	s_and_saveexec_b64 s[8:9], s[2:3]
	s_cbranch_execz .LBB62_158
; %bb.149:
	v_subrev_u32_e32 v7, 52, v0
	v_subrev_u32_e32 v6, 51, v0
	v_cmp_lt_u32_e32 vcc, 6, v7
	v_mov_b32_e32 v199, 51
	s_and_saveexec_b64 s[2:3], vcc
	s_cbranch_execz .LBB62_153
; %bb.150:
	v_and_b32_e32 v7, -8, v6
	s_mov_b32 s12, 0
	s_mov_b64 s[10:11], 0
	v_mov_b32_e32 v198, 0
	s_mov_b32 s13, 0
.LBB62_151:                             ; =>This Inner Loop Header: Depth=1
	v_readfirstlane_b32 s14, v198
	s_add_i32 s14, s14, s12
	s_add_i32 s15, s14, 0x330
	v_mov_b32_e32 v199, s12
	ds_read_b128 v[200:203], v199 offset:1824
	ds_read_b128 v[204:207], v199 offset:1840
	;; [unrolled: 1-line block ×4, first 2 shown]
	scratch_load_dwordx4 v[216:219], off, s15
	s_add_i32 s15, s14, 0x340
	s_addk_i32 s12, 0x80
	s_waitcnt vmcnt(0) lgkmcnt(3)
	v_mul_f64 v[64:65], v[202:203], v[218:219]
	v_fma_f64 v[64:65], v[200:201], v[216:217], -v[64:65]
	v_mul_f64 v[200:201], v[200:201], v[218:219]
	v_fmac_f64_e32 v[200:201], v[202:203], v[216:217]
	v_add_f64 v[64:65], v[2:3], v[64:65]
	v_add_f64 v[200:201], v[4:5], v[200:201]
	scratch_load_dwordx4 v[2:5], off, s15
	s_add_i32 s15, s14, 0x350
	s_waitcnt vmcnt(0) lgkmcnt(2)
	v_mul_f64 v[202:203], v[206:207], v[4:5]
	v_mul_f64 v[4:5], v[204:205], v[4:5]
	v_fmac_f64_e32 v[4:5], v[206:207], v[2:3]
	v_fma_f64 v[202:203], v[204:205], v[2:3], -v[202:203]
	v_add_f64 v[200:201], v[200:201], v[4:5]
	scratch_load_dwordx4 v[2:5], off, s15
	v_add_f64 v[64:65], v[64:65], v[202:203]
	s_add_i32 s15, s14, 0x360
	s_waitcnt vmcnt(0) lgkmcnt(1)
	v_mul_f64 v[202:203], v[210:211], v[4:5]
	v_mul_f64 v[4:5], v[208:209], v[4:5]
	v_fmac_f64_e32 v[4:5], v[210:211], v[2:3]
	v_fma_f64 v[202:203], v[208:209], v[2:3], -v[202:203]
	v_add_f64 v[200:201], v[200:201], v[4:5]
	scratch_load_dwordx4 v[2:5], off, s15
	v_add_f64 v[64:65], v[64:65], v[202:203]
	s_add_i32 s15, s14, 0x370
	s_waitcnt vmcnt(0) lgkmcnt(0)
	v_mul_f64 v[202:203], v[214:215], v[4:5]
	v_mul_f64 v[4:5], v[212:213], v[4:5]
	v_fma_f64 v[202:203], v[212:213], v[2:3], -v[202:203]
	v_fmac_f64_e32 v[4:5], v[214:215], v[2:3]
	v_add_f64 v[64:65], v[64:65], v[202:203]
	v_add_f64 v[204:205], v[200:201], v[4:5]
	scratch_load_dwordx4 v[200:203], off, s15
	ds_read_b128 v[2:5], v199 offset:1888
	s_add_i32 s15, s14, 0x380
	s_waitcnt vmcnt(0) lgkmcnt(0)
	v_mul_f64 v[206:207], v[4:5], v[202:203]
	v_fma_f64 v[206:207], v[2:3], v[200:201], -v[206:207]
	v_mul_f64 v[2:3], v[2:3], v[202:203]
	v_fmac_f64_e32 v[2:3], v[4:5], v[200:201]
	scratch_load_dwordx4 v[200:203], off, s15
	v_add_f64 v[204:205], v[204:205], v[2:3]
	ds_read_b128 v[2:5], v199 offset:1904
	v_add_f64 v[64:65], v[64:65], v[206:207]
	s_add_i32 s15, s14, 0x390
	s_addk_i32 s14, 0x3a0
	s_waitcnt vmcnt(0) lgkmcnt(0)
	v_mul_f64 v[206:207], v[4:5], v[202:203]
	v_fma_f64 v[206:207], v[2:3], v[200:201], -v[206:207]
	v_mul_f64 v[2:3], v[2:3], v[202:203]
	v_fmac_f64_e32 v[2:3], v[4:5], v[200:201]
	scratch_load_dwordx4 v[200:203], off, s15
	v_add_f64 v[204:205], v[204:205], v[2:3]
	ds_read_b128 v[2:5], v199 offset:1920
	v_add_f64 v[64:65], v[64:65], v[206:207]
	s_waitcnt vmcnt(0) lgkmcnt(0)
	v_mul_f64 v[206:207], v[4:5], v[202:203]
	v_fma_f64 v[206:207], v[2:3], v[200:201], -v[206:207]
	v_mul_f64 v[2:3], v[2:3], v[202:203]
	v_fmac_f64_e32 v[2:3], v[4:5], v[200:201]
	scratch_load_dwordx4 v[200:203], off, s14
	v_add_f64 v[204:205], v[204:205], v[2:3]
	ds_read_b128 v[2:5], v199 offset:1936
	v_add_f64 v[64:65], v[64:65], v[206:207]
	s_add_i32 s14, s13, 8
	v_cmp_eq_u32_e32 vcc, s14, v7
	s_add_i32 s13, s13, 59
	s_or_b64 s[10:11], vcc, s[10:11]
	v_mov_b32_e32 v199, s13
	s_mov_b32 s13, s14
	s_waitcnt vmcnt(0) lgkmcnt(0)
	v_mul_f64 v[206:207], v[4:5], v[202:203]
	v_mul_f64 v[202:203], v[2:3], v[202:203]
	v_fma_f64 v[206:207], v[2:3], v[200:201], -v[206:207]
	v_fmac_f64_e32 v[202:203], v[4:5], v[200:201]
	v_add_f64 v[2:3], v[64:65], v[206:207]
	v_add_f64 v[4:5], v[204:205], v[202:203]
	s_andn2_b64 exec, exec, s[10:11]
	s_cbranch_execnz .LBB62_151
; %bb.152:
	s_or_b64 exec, exec, s[10:11]
.LBB62_153:
	s_or_b64 exec, exec, s[2:3]
	v_and_b32_e32 v6, 7, v6
	v_cmp_ne_u32_e32 vcc, 0, v6
	s_and_saveexec_b64 s[2:3], vcc
	s_cbranch_execz .LBB62_157
; %bb.154:
	v_lshlrev_b32_e32 v64, 4, v199
	v_add_u32_e32 v7, 0x3f0, v64
	v_add_u32_e32 v198, 0, v64
	s_mov_b64 s[10:11], 0
.LBB62_155:                             ; =>This Inner Loop Header: Depth=1
	scratch_load_dwordx4 v[200:203], v198, off
	ds_read_b128 v[204:207], v7
	v_add_u32_e32 v6, -1, v6
	v_cmp_eq_u32_e32 vcc, 0, v6
	v_add_u32_e32 v7, 16, v7
	v_add_u32_e32 v198, 16, v198
	s_or_b64 s[10:11], vcc, s[10:11]
	s_waitcnt vmcnt(0) lgkmcnt(0)
	v_mul_f64 v[64:65], v[206:207], v[202:203]
	v_mul_f64 v[202:203], v[204:205], v[202:203]
	v_fma_f64 v[64:65], v[204:205], v[200:201], -v[64:65]
	v_fmac_f64_e32 v[202:203], v[206:207], v[200:201]
	v_add_f64 v[2:3], v[2:3], v[64:65]
	v_add_f64 v[4:5], v[4:5], v[202:203]
	s_andn2_b64 exec, exec, s[10:11]
	s_cbranch_execnz .LBB62_155
; %bb.156:
	s_or_b64 exec, exec, s[10:11]
.LBB62_157:
	s_or_b64 exec, exec, s[2:3]
.LBB62_158:
	s_or_b64 exec, exec, s[8:9]
	v_mov_b32_e32 v6, 0
	ds_read_b128 v[198:201], v6 offset:800
	s_waitcnt lgkmcnt(0)
	v_mul_f64 v[6:7], v[4:5], v[200:201]
	v_mul_f64 v[202:203], v[2:3], v[200:201]
	v_fma_f64 v[200:201], v[2:3], v[198:199], -v[6:7]
	v_fmac_f64_e32 v[202:203], v[4:5], v[198:199]
	scratch_store_dwordx4 off, v[200:203], off offset:800
.LBB62_159:
	s_or_b64 exec, exec, s[4:5]
	scratch_load_dwordx4 v[2:5], v149, off
	v_cmp_lt_u32_e64 s[2:3], 49, v0
	s_waitcnt vmcnt(0)
	ds_write_b128 v9, v[2:5]
	s_waitcnt lgkmcnt(0)
	; wave barrier
	s_waitcnt lgkmcnt(0)
	s_and_saveexec_b64 s[4:5], s[2:3]
	s_cbranch_execz .LBB62_173
; %bb.160:
	ds_read_b128 v[2:5], v9
	s_andn2_b64 vcc, exec, s[6:7]
	s_cbranch_vccnz .LBB62_162
; %bb.161:
	scratch_load_dwordx4 v[198:201], v8, off
	s_waitcnt vmcnt(0) lgkmcnt(0)
	v_mul_f64 v[64:65], v[2:3], v[200:201]
	v_mul_f64 v[6:7], v[4:5], v[200:201]
	v_fmac_f64_e32 v[64:65], v[4:5], v[198:199]
	v_fma_f64 v[2:3], v[2:3], v[198:199], -v[6:7]
	v_mov_b64_e32 v[4:5], v[64:65]
.LBB62_162:
	s_and_saveexec_b64 s[8:9], s[0:1]
	s_cbranch_execz .LBB62_172
; %bb.163:
	v_subrev_u32_e32 v7, 51, v0
	v_subrev_u32_e32 v6, 50, v0
	v_cmp_lt_u32_e32 vcc, 6, v7
	v_mov_b32_e32 v199, 50
	s_and_saveexec_b64 s[0:1], vcc
	s_cbranch_execz .LBB62_167
; %bb.164:
	v_and_b32_e32 v7, -8, v6
	s_mov_b32 s12, 0
	s_mov_b64 s[10:11], 0
	v_mov_b32_e32 v198, 0
	s_mov_b32 s13, 0
.LBB62_165:                             ; =>This Inner Loop Header: Depth=1
	v_readfirstlane_b32 s14, v198
	s_add_i32 s14, s14, s12
	s_add_i32 s15, s14, 0x320
	v_mov_b32_e32 v199, s12
	ds_read_b128 v[200:203], v199 offset:1808
	ds_read_b128 v[204:207], v199 offset:1824
	;; [unrolled: 1-line block ×4, first 2 shown]
	scratch_load_dwordx4 v[216:219], off, s15
	s_add_i32 s15, s14, 0x330
	s_addk_i32 s12, 0x80
	s_waitcnt vmcnt(0) lgkmcnt(3)
	v_mul_f64 v[64:65], v[202:203], v[218:219]
	v_fma_f64 v[64:65], v[200:201], v[216:217], -v[64:65]
	v_mul_f64 v[200:201], v[200:201], v[218:219]
	v_fmac_f64_e32 v[200:201], v[202:203], v[216:217]
	v_add_f64 v[64:65], v[2:3], v[64:65]
	v_add_f64 v[200:201], v[4:5], v[200:201]
	scratch_load_dwordx4 v[2:5], off, s15
	s_add_i32 s15, s14, 0x340
	s_waitcnt vmcnt(0) lgkmcnt(2)
	v_mul_f64 v[202:203], v[206:207], v[4:5]
	v_mul_f64 v[4:5], v[204:205], v[4:5]
	v_fmac_f64_e32 v[4:5], v[206:207], v[2:3]
	v_fma_f64 v[202:203], v[204:205], v[2:3], -v[202:203]
	v_add_f64 v[200:201], v[200:201], v[4:5]
	scratch_load_dwordx4 v[2:5], off, s15
	v_add_f64 v[64:65], v[64:65], v[202:203]
	s_add_i32 s15, s14, 0x350
	s_waitcnt vmcnt(0) lgkmcnt(1)
	v_mul_f64 v[202:203], v[210:211], v[4:5]
	v_mul_f64 v[4:5], v[208:209], v[4:5]
	v_fmac_f64_e32 v[4:5], v[210:211], v[2:3]
	v_fma_f64 v[202:203], v[208:209], v[2:3], -v[202:203]
	v_add_f64 v[200:201], v[200:201], v[4:5]
	scratch_load_dwordx4 v[2:5], off, s15
	v_add_f64 v[64:65], v[64:65], v[202:203]
	s_add_i32 s15, s14, 0x360
	s_waitcnt vmcnt(0) lgkmcnt(0)
	v_mul_f64 v[202:203], v[214:215], v[4:5]
	v_mul_f64 v[4:5], v[212:213], v[4:5]
	v_fma_f64 v[202:203], v[212:213], v[2:3], -v[202:203]
	v_fmac_f64_e32 v[4:5], v[214:215], v[2:3]
	v_add_f64 v[64:65], v[64:65], v[202:203]
	v_add_f64 v[204:205], v[200:201], v[4:5]
	scratch_load_dwordx4 v[200:203], off, s15
	ds_read_b128 v[2:5], v199 offset:1872
	s_add_i32 s15, s14, 0x370
	s_waitcnt vmcnt(0) lgkmcnt(0)
	v_mul_f64 v[206:207], v[4:5], v[202:203]
	v_fma_f64 v[206:207], v[2:3], v[200:201], -v[206:207]
	v_mul_f64 v[2:3], v[2:3], v[202:203]
	v_fmac_f64_e32 v[2:3], v[4:5], v[200:201]
	scratch_load_dwordx4 v[200:203], off, s15
	v_add_f64 v[204:205], v[204:205], v[2:3]
	ds_read_b128 v[2:5], v199 offset:1888
	v_add_f64 v[64:65], v[64:65], v[206:207]
	s_add_i32 s15, s14, 0x380
	s_addk_i32 s14, 0x390
	s_waitcnt vmcnt(0) lgkmcnt(0)
	v_mul_f64 v[206:207], v[4:5], v[202:203]
	v_fma_f64 v[206:207], v[2:3], v[200:201], -v[206:207]
	v_mul_f64 v[2:3], v[2:3], v[202:203]
	v_fmac_f64_e32 v[2:3], v[4:5], v[200:201]
	scratch_load_dwordx4 v[200:203], off, s15
	v_add_f64 v[204:205], v[204:205], v[2:3]
	ds_read_b128 v[2:5], v199 offset:1904
	v_add_f64 v[64:65], v[64:65], v[206:207]
	s_waitcnt vmcnt(0) lgkmcnt(0)
	v_mul_f64 v[206:207], v[4:5], v[202:203]
	v_fma_f64 v[206:207], v[2:3], v[200:201], -v[206:207]
	v_mul_f64 v[2:3], v[2:3], v[202:203]
	v_fmac_f64_e32 v[2:3], v[4:5], v[200:201]
	scratch_load_dwordx4 v[200:203], off, s14
	v_add_f64 v[204:205], v[204:205], v[2:3]
	ds_read_b128 v[2:5], v199 offset:1920
	v_add_f64 v[64:65], v[64:65], v[206:207]
	s_add_i32 s14, s13, 8
	v_cmp_eq_u32_e32 vcc, s14, v7
	s_add_i32 s13, s13, 58
	s_or_b64 s[10:11], vcc, s[10:11]
	v_mov_b32_e32 v199, s13
	s_mov_b32 s13, s14
	s_waitcnt vmcnt(0) lgkmcnt(0)
	v_mul_f64 v[206:207], v[4:5], v[202:203]
	v_mul_f64 v[202:203], v[2:3], v[202:203]
	v_fma_f64 v[206:207], v[2:3], v[200:201], -v[206:207]
	v_fmac_f64_e32 v[202:203], v[4:5], v[200:201]
	v_add_f64 v[2:3], v[64:65], v[206:207]
	v_add_f64 v[4:5], v[204:205], v[202:203]
	s_andn2_b64 exec, exec, s[10:11]
	s_cbranch_execnz .LBB62_165
; %bb.166:
	s_or_b64 exec, exec, s[10:11]
.LBB62_167:
	s_or_b64 exec, exec, s[0:1]
	v_and_b32_e32 v6, 7, v6
	v_cmp_ne_u32_e32 vcc, 0, v6
	s_and_saveexec_b64 s[0:1], vcc
	s_cbranch_execz .LBB62_171
; %bb.168:
	v_lshlrev_b32_e32 v64, 4, v199
	v_add_u32_e32 v7, 0x3f0, v64
	v_add_u32_e32 v198, 0, v64
	s_mov_b64 s[10:11], 0
.LBB62_169:                             ; =>This Inner Loop Header: Depth=1
	scratch_load_dwordx4 v[200:203], v198, off
	ds_read_b128 v[204:207], v7
	v_add_u32_e32 v6, -1, v6
	v_cmp_eq_u32_e32 vcc, 0, v6
	v_add_u32_e32 v7, 16, v7
	v_add_u32_e32 v198, 16, v198
	s_or_b64 s[10:11], vcc, s[10:11]
	s_waitcnt vmcnt(0) lgkmcnt(0)
	v_mul_f64 v[64:65], v[206:207], v[202:203]
	v_mul_f64 v[202:203], v[204:205], v[202:203]
	v_fma_f64 v[64:65], v[204:205], v[200:201], -v[64:65]
	v_fmac_f64_e32 v[202:203], v[206:207], v[200:201]
	v_add_f64 v[2:3], v[2:3], v[64:65]
	v_add_f64 v[4:5], v[4:5], v[202:203]
	s_andn2_b64 exec, exec, s[10:11]
	s_cbranch_execnz .LBB62_169
; %bb.170:
	s_or_b64 exec, exec, s[10:11]
.LBB62_171:
	s_or_b64 exec, exec, s[0:1]
.LBB62_172:
	s_or_b64 exec, exec, s[8:9]
	v_mov_b32_e32 v6, 0
	ds_read_b128 v[198:201], v6 offset:784
	s_waitcnt lgkmcnt(0)
	v_mul_f64 v[6:7], v[4:5], v[200:201]
	v_mul_f64 v[202:203], v[2:3], v[200:201]
	v_fma_f64 v[200:201], v[2:3], v[198:199], -v[6:7]
	v_fmac_f64_e32 v[202:203], v[4:5], v[198:199]
	scratch_store_dwordx4 off, v[200:203], off offset:784
.LBB62_173:
	s_or_b64 exec, exec, s[4:5]
	scratch_load_dwordx4 v[2:5], v150, off
	v_cmp_lt_u32_e64 s[0:1], 48, v0
	s_waitcnt vmcnt(0)
	ds_write_b128 v9, v[2:5]
	s_waitcnt lgkmcnt(0)
	; wave barrier
	s_waitcnt lgkmcnt(0)
	s_and_saveexec_b64 s[4:5], s[0:1]
	s_cbranch_execz .LBB62_187
; %bb.174:
	ds_read_b128 v[2:5], v9
	s_andn2_b64 vcc, exec, s[6:7]
	s_cbranch_vccnz .LBB62_176
; %bb.175:
	scratch_load_dwordx4 v[198:201], v8, off
	s_waitcnt vmcnt(0) lgkmcnt(0)
	v_mul_f64 v[64:65], v[2:3], v[200:201]
	v_mul_f64 v[6:7], v[4:5], v[200:201]
	v_fmac_f64_e32 v[64:65], v[4:5], v[198:199]
	v_fma_f64 v[2:3], v[2:3], v[198:199], -v[6:7]
	v_mov_b64_e32 v[4:5], v[64:65]
.LBB62_176:
	s_and_saveexec_b64 s[8:9], s[2:3]
	s_cbranch_execz .LBB62_186
; %bb.177:
	v_subrev_u32_e32 v7, 50, v0
	v_subrev_u32_e32 v6, 49, v0
	v_cmp_lt_u32_e32 vcc, 6, v7
	v_mov_b32_e32 v199, 49
	s_and_saveexec_b64 s[2:3], vcc
	s_cbranch_execz .LBB62_181
; %bb.178:
	v_and_b32_e32 v7, -8, v6
	s_mov_b32 s12, 0
	s_mov_b64 s[10:11], 0
	v_mov_b32_e32 v198, 0
	s_mov_b32 s13, 0
.LBB62_179:                             ; =>This Inner Loop Header: Depth=1
	v_readfirstlane_b32 s14, v198
	s_add_i32 s14, s14, s12
	s_add_i32 s15, s14, 0x310
	v_mov_b32_e32 v199, s12
	ds_read_b128 v[200:203], v199 offset:1792
	ds_read_b128 v[204:207], v199 offset:1808
	ds_read_b128 v[208:211], v199 offset:1824
	ds_read_b128 v[212:215], v199 offset:1840
	scratch_load_dwordx4 v[216:219], off, s15
	s_add_i32 s15, s14, 0x320
	s_addk_i32 s12, 0x80
	s_waitcnt vmcnt(0) lgkmcnt(3)
	v_mul_f64 v[64:65], v[202:203], v[218:219]
	v_fma_f64 v[64:65], v[200:201], v[216:217], -v[64:65]
	v_mul_f64 v[200:201], v[200:201], v[218:219]
	v_fmac_f64_e32 v[200:201], v[202:203], v[216:217]
	v_add_f64 v[64:65], v[2:3], v[64:65]
	v_add_f64 v[200:201], v[4:5], v[200:201]
	scratch_load_dwordx4 v[2:5], off, s15
	s_add_i32 s15, s14, 0x330
	s_waitcnt vmcnt(0) lgkmcnt(2)
	v_mul_f64 v[202:203], v[206:207], v[4:5]
	v_mul_f64 v[4:5], v[204:205], v[4:5]
	v_fmac_f64_e32 v[4:5], v[206:207], v[2:3]
	v_fma_f64 v[202:203], v[204:205], v[2:3], -v[202:203]
	v_add_f64 v[200:201], v[200:201], v[4:5]
	scratch_load_dwordx4 v[2:5], off, s15
	v_add_f64 v[64:65], v[64:65], v[202:203]
	s_add_i32 s15, s14, 0x340
	s_waitcnt vmcnt(0) lgkmcnt(1)
	v_mul_f64 v[202:203], v[210:211], v[4:5]
	v_mul_f64 v[4:5], v[208:209], v[4:5]
	v_fmac_f64_e32 v[4:5], v[210:211], v[2:3]
	v_fma_f64 v[202:203], v[208:209], v[2:3], -v[202:203]
	v_add_f64 v[200:201], v[200:201], v[4:5]
	scratch_load_dwordx4 v[2:5], off, s15
	v_add_f64 v[64:65], v[64:65], v[202:203]
	s_add_i32 s15, s14, 0x350
	s_waitcnt vmcnt(0) lgkmcnt(0)
	v_mul_f64 v[202:203], v[214:215], v[4:5]
	v_mul_f64 v[4:5], v[212:213], v[4:5]
	v_fma_f64 v[202:203], v[212:213], v[2:3], -v[202:203]
	v_fmac_f64_e32 v[4:5], v[214:215], v[2:3]
	v_add_f64 v[64:65], v[64:65], v[202:203]
	v_add_f64 v[204:205], v[200:201], v[4:5]
	scratch_load_dwordx4 v[200:203], off, s15
	ds_read_b128 v[2:5], v199 offset:1856
	s_add_i32 s15, s14, 0x360
	s_waitcnt vmcnt(0) lgkmcnt(0)
	v_mul_f64 v[206:207], v[4:5], v[202:203]
	v_fma_f64 v[206:207], v[2:3], v[200:201], -v[206:207]
	v_mul_f64 v[2:3], v[2:3], v[202:203]
	v_fmac_f64_e32 v[2:3], v[4:5], v[200:201]
	scratch_load_dwordx4 v[200:203], off, s15
	v_add_f64 v[204:205], v[204:205], v[2:3]
	ds_read_b128 v[2:5], v199 offset:1872
	v_add_f64 v[64:65], v[64:65], v[206:207]
	s_add_i32 s15, s14, 0x370
	s_addk_i32 s14, 0x380
	s_waitcnt vmcnt(0) lgkmcnt(0)
	v_mul_f64 v[206:207], v[4:5], v[202:203]
	v_fma_f64 v[206:207], v[2:3], v[200:201], -v[206:207]
	v_mul_f64 v[2:3], v[2:3], v[202:203]
	v_fmac_f64_e32 v[2:3], v[4:5], v[200:201]
	scratch_load_dwordx4 v[200:203], off, s15
	v_add_f64 v[204:205], v[204:205], v[2:3]
	ds_read_b128 v[2:5], v199 offset:1888
	v_add_f64 v[64:65], v[64:65], v[206:207]
	s_waitcnt vmcnt(0) lgkmcnt(0)
	v_mul_f64 v[206:207], v[4:5], v[202:203]
	v_fma_f64 v[206:207], v[2:3], v[200:201], -v[206:207]
	v_mul_f64 v[2:3], v[2:3], v[202:203]
	v_fmac_f64_e32 v[2:3], v[4:5], v[200:201]
	scratch_load_dwordx4 v[200:203], off, s14
	v_add_f64 v[204:205], v[204:205], v[2:3]
	ds_read_b128 v[2:5], v199 offset:1904
	v_add_f64 v[64:65], v[64:65], v[206:207]
	s_add_i32 s14, s13, 8
	v_cmp_eq_u32_e32 vcc, s14, v7
	s_add_i32 s13, s13, 57
	s_or_b64 s[10:11], vcc, s[10:11]
	v_mov_b32_e32 v199, s13
	s_mov_b32 s13, s14
	s_waitcnt vmcnt(0) lgkmcnt(0)
	v_mul_f64 v[206:207], v[4:5], v[202:203]
	v_mul_f64 v[202:203], v[2:3], v[202:203]
	v_fma_f64 v[206:207], v[2:3], v[200:201], -v[206:207]
	v_fmac_f64_e32 v[202:203], v[4:5], v[200:201]
	v_add_f64 v[2:3], v[64:65], v[206:207]
	v_add_f64 v[4:5], v[204:205], v[202:203]
	s_andn2_b64 exec, exec, s[10:11]
	s_cbranch_execnz .LBB62_179
; %bb.180:
	s_or_b64 exec, exec, s[10:11]
.LBB62_181:
	s_or_b64 exec, exec, s[2:3]
	v_and_b32_e32 v6, 7, v6
	v_cmp_ne_u32_e32 vcc, 0, v6
	s_and_saveexec_b64 s[2:3], vcc
	s_cbranch_execz .LBB62_185
; %bb.182:
	v_lshlrev_b32_e32 v64, 4, v199
	v_add_u32_e32 v7, 0x3f0, v64
	v_add_u32_e32 v198, 0, v64
	s_mov_b64 s[10:11], 0
.LBB62_183:                             ; =>This Inner Loop Header: Depth=1
	scratch_load_dwordx4 v[200:203], v198, off
	ds_read_b128 v[204:207], v7
	v_add_u32_e32 v6, -1, v6
	v_cmp_eq_u32_e32 vcc, 0, v6
	v_add_u32_e32 v7, 16, v7
	v_add_u32_e32 v198, 16, v198
	s_or_b64 s[10:11], vcc, s[10:11]
	s_waitcnt vmcnt(0) lgkmcnt(0)
	v_mul_f64 v[64:65], v[206:207], v[202:203]
	v_mul_f64 v[202:203], v[204:205], v[202:203]
	v_fma_f64 v[64:65], v[204:205], v[200:201], -v[64:65]
	v_fmac_f64_e32 v[202:203], v[206:207], v[200:201]
	v_add_f64 v[2:3], v[2:3], v[64:65]
	v_add_f64 v[4:5], v[4:5], v[202:203]
	s_andn2_b64 exec, exec, s[10:11]
	s_cbranch_execnz .LBB62_183
; %bb.184:
	s_or_b64 exec, exec, s[10:11]
.LBB62_185:
	s_or_b64 exec, exec, s[2:3]
.LBB62_186:
	s_or_b64 exec, exec, s[8:9]
	v_mov_b32_e32 v6, 0
	ds_read_b128 v[198:201], v6 offset:768
	s_waitcnt lgkmcnt(0)
	v_mul_f64 v[6:7], v[4:5], v[200:201]
	v_mul_f64 v[202:203], v[2:3], v[200:201]
	v_fma_f64 v[200:201], v[2:3], v[198:199], -v[6:7]
	v_fmac_f64_e32 v[202:203], v[4:5], v[198:199]
	scratch_store_dwordx4 off, v[200:203], off offset:768
.LBB62_187:
	s_or_b64 exec, exec, s[4:5]
	scratch_load_dwordx4 v[2:5], v151, off
	v_cmp_lt_u32_e64 s[2:3], 47, v0
	s_waitcnt vmcnt(0)
	ds_write_b128 v9, v[2:5]
	s_waitcnt lgkmcnt(0)
	; wave barrier
	s_waitcnt lgkmcnt(0)
	s_and_saveexec_b64 s[4:5], s[2:3]
	s_cbranch_execz .LBB62_201
; %bb.188:
	ds_read_b128 v[2:5], v9
	s_andn2_b64 vcc, exec, s[6:7]
	s_cbranch_vccnz .LBB62_190
; %bb.189:
	scratch_load_dwordx4 v[198:201], v8, off
	s_waitcnt vmcnt(0) lgkmcnt(0)
	v_mul_f64 v[64:65], v[2:3], v[200:201]
	v_mul_f64 v[6:7], v[4:5], v[200:201]
	v_fmac_f64_e32 v[64:65], v[4:5], v[198:199]
	v_fma_f64 v[2:3], v[2:3], v[198:199], -v[6:7]
	v_mov_b64_e32 v[4:5], v[64:65]
.LBB62_190:
	s_and_saveexec_b64 s[8:9], s[0:1]
	s_cbranch_execz .LBB62_200
; %bb.191:
	v_subrev_u32_e32 v6, 49, v0
	v_cmp_lt_u32_e32 vcc, 6, v6
	v_mov_b32_e32 v6, 48
	s_and_saveexec_b64 s[0:1], vcc
	s_cbranch_execz .LBB62_195
; %bb.192:
	v_and_b32_e32 v6, 56, v0
	s_mov_b32 s12, 48
	s_mov_b32 s13, 0
	s_mov_b64 s[10:11], 0
	v_mov_b32_e32 v7, 0
.LBB62_193:                             ; =>This Inner Loop Header: Depth=1
	s_nop 0
	v_readfirstlane_b32 s14, v7
	s_add_i32 s14, s14, s13
	s_add_i32 s15, s14, 0x300
	v_mov_b32_e32 v218, s13
	ds_read_b128 v[198:201], v218 offset:1776
	ds_read_b128 v[202:205], v218 offset:1792
	ds_read_b128 v[206:209], v218 offset:1808
	ds_read_b128 v[210:213], v218 offset:1824
	scratch_load_dwordx4 v[214:217], off, s15
	s_add_i32 s15, s14, 0x310
	s_add_i32 s12, s12, 8
	s_addk_i32 s13, 0x80
	v_cmp_eq_u32_e32 vcc, s12, v6
	s_waitcnt vmcnt(0) lgkmcnt(3)
	v_mul_f64 v[64:65], v[200:201], v[216:217]
	v_fma_f64 v[64:65], v[198:199], v[214:215], -v[64:65]
	v_mul_f64 v[198:199], v[198:199], v[216:217]
	v_fmac_f64_e32 v[198:199], v[200:201], v[214:215]
	v_add_f64 v[64:65], v[2:3], v[64:65]
	v_add_f64 v[198:199], v[4:5], v[198:199]
	scratch_load_dwordx4 v[2:5], off, s15
	s_add_i32 s15, s14, 0x320
	s_waitcnt vmcnt(0) lgkmcnt(2)
	v_mul_f64 v[200:201], v[204:205], v[4:5]
	v_mul_f64 v[4:5], v[202:203], v[4:5]
	v_fmac_f64_e32 v[4:5], v[204:205], v[2:3]
	v_fma_f64 v[200:201], v[202:203], v[2:3], -v[200:201]
	v_add_f64 v[198:199], v[198:199], v[4:5]
	scratch_load_dwordx4 v[2:5], off, s15
	v_add_f64 v[64:65], v[64:65], v[200:201]
	s_add_i32 s15, s14, 0x330
	s_waitcnt vmcnt(0) lgkmcnt(1)
	v_mul_f64 v[200:201], v[208:209], v[4:5]
	v_mul_f64 v[4:5], v[206:207], v[4:5]
	v_fmac_f64_e32 v[4:5], v[208:209], v[2:3]
	v_fma_f64 v[200:201], v[206:207], v[2:3], -v[200:201]
	v_add_f64 v[198:199], v[198:199], v[4:5]
	scratch_load_dwordx4 v[2:5], off, s15
	v_add_f64 v[64:65], v[64:65], v[200:201]
	s_add_i32 s15, s14, 0x340
	s_waitcnt vmcnt(0) lgkmcnt(0)
	v_mul_f64 v[200:201], v[212:213], v[4:5]
	v_mul_f64 v[4:5], v[210:211], v[4:5]
	v_fma_f64 v[200:201], v[210:211], v[2:3], -v[200:201]
	v_fmac_f64_e32 v[4:5], v[212:213], v[2:3]
	v_add_f64 v[64:65], v[64:65], v[200:201]
	v_add_f64 v[202:203], v[198:199], v[4:5]
	scratch_load_dwordx4 v[198:201], off, s15
	ds_read_b128 v[2:5], v218 offset:1840
	s_add_i32 s15, s14, 0x350
	s_waitcnt vmcnt(0) lgkmcnt(0)
	v_mul_f64 v[204:205], v[4:5], v[200:201]
	v_fma_f64 v[204:205], v[2:3], v[198:199], -v[204:205]
	v_mul_f64 v[2:3], v[2:3], v[200:201]
	v_fmac_f64_e32 v[2:3], v[4:5], v[198:199]
	scratch_load_dwordx4 v[198:201], off, s15
	v_add_f64 v[202:203], v[202:203], v[2:3]
	ds_read_b128 v[2:5], v218 offset:1856
	v_add_f64 v[64:65], v[64:65], v[204:205]
	s_add_i32 s15, s14, 0x360
	s_addk_i32 s14, 0x370
	s_or_b64 s[10:11], vcc, s[10:11]
	s_waitcnt vmcnt(0) lgkmcnt(0)
	v_mul_f64 v[204:205], v[4:5], v[200:201]
	v_fma_f64 v[204:205], v[2:3], v[198:199], -v[204:205]
	v_mul_f64 v[2:3], v[2:3], v[200:201]
	v_fmac_f64_e32 v[2:3], v[4:5], v[198:199]
	scratch_load_dwordx4 v[198:201], off, s15
	v_add_f64 v[202:203], v[202:203], v[2:3]
	ds_read_b128 v[2:5], v218 offset:1872
	v_add_f64 v[64:65], v[64:65], v[204:205]
	s_waitcnt vmcnt(0) lgkmcnt(0)
	v_mul_f64 v[204:205], v[4:5], v[200:201]
	v_fma_f64 v[204:205], v[2:3], v[198:199], -v[204:205]
	v_mul_f64 v[2:3], v[2:3], v[200:201]
	v_fmac_f64_e32 v[2:3], v[4:5], v[198:199]
	scratch_load_dwordx4 v[198:201], off, s14
	v_add_f64 v[202:203], v[202:203], v[2:3]
	ds_read_b128 v[2:5], v218 offset:1888
	v_add_f64 v[64:65], v[64:65], v[204:205]
	s_waitcnt vmcnt(0) lgkmcnt(0)
	v_mul_f64 v[204:205], v[4:5], v[200:201]
	v_mul_f64 v[200:201], v[2:3], v[200:201]
	v_fma_f64 v[204:205], v[2:3], v[198:199], -v[204:205]
	v_fmac_f64_e32 v[200:201], v[4:5], v[198:199]
	v_add_f64 v[2:3], v[64:65], v[204:205]
	v_add_f64 v[4:5], v[202:203], v[200:201]
	s_andn2_b64 exec, exec, s[10:11]
	s_cbranch_execnz .LBB62_193
; %bb.194:
	s_or_b64 exec, exec, s[10:11]
.LBB62_195:
	s_or_b64 exec, exec, s[0:1]
	v_and_b32_e32 v7, 7, v0
	v_cmp_ne_u32_e32 vcc, 0, v7
	s_and_saveexec_b64 s[0:1], vcc
	s_cbranch_execz .LBB62_199
; %bb.196:
	v_lshlrev_b32_e32 v64, 4, v6
	v_add_u32_e32 v6, 0x3f0, v64
	v_add_u32_e32 v198, 0, v64
	s_mov_b64 s[10:11], 0
.LBB62_197:                             ; =>This Inner Loop Header: Depth=1
	scratch_load_dwordx4 v[200:203], v198, off
	ds_read_b128 v[204:207], v6
	v_add_u32_e32 v7, -1, v7
	v_cmp_eq_u32_e32 vcc, 0, v7
	v_add_u32_e32 v6, 16, v6
	v_add_u32_e32 v198, 16, v198
	s_or_b64 s[10:11], vcc, s[10:11]
	s_waitcnt vmcnt(0) lgkmcnt(0)
	v_mul_f64 v[64:65], v[206:207], v[202:203]
	v_mul_f64 v[202:203], v[204:205], v[202:203]
	v_fma_f64 v[64:65], v[204:205], v[200:201], -v[64:65]
	v_fmac_f64_e32 v[202:203], v[206:207], v[200:201]
	v_add_f64 v[2:3], v[2:3], v[64:65]
	v_add_f64 v[4:5], v[4:5], v[202:203]
	s_andn2_b64 exec, exec, s[10:11]
	s_cbranch_execnz .LBB62_197
; %bb.198:
	s_or_b64 exec, exec, s[10:11]
.LBB62_199:
	s_or_b64 exec, exec, s[0:1]
.LBB62_200:
	s_or_b64 exec, exec, s[8:9]
	v_mov_b32_e32 v6, 0
	ds_read_b128 v[198:201], v6 offset:752
	s_waitcnt lgkmcnt(0)
	v_mul_f64 v[6:7], v[4:5], v[200:201]
	v_mul_f64 v[202:203], v[2:3], v[200:201]
	v_fma_f64 v[200:201], v[2:3], v[198:199], -v[6:7]
	v_fmac_f64_e32 v[202:203], v[4:5], v[198:199]
	scratch_store_dwordx4 off, v[200:203], off offset:752
.LBB62_201:
	s_or_b64 exec, exec, s[4:5]
	scratch_load_dwordx4 v[2:5], v152, off
	v_cmp_lt_u32_e64 s[0:1], 46, v0
	s_waitcnt vmcnt(0)
	ds_write_b128 v9, v[2:5]
	s_waitcnt lgkmcnt(0)
	; wave barrier
	s_waitcnt lgkmcnt(0)
	s_and_saveexec_b64 s[4:5], s[0:1]
	s_cbranch_execz .LBB62_215
; %bb.202:
	ds_read_b128 v[2:5], v9
	s_andn2_b64 vcc, exec, s[6:7]
	s_cbranch_vccnz .LBB62_204
; %bb.203:
	scratch_load_dwordx4 v[198:201], v8, off
	s_waitcnt vmcnt(0) lgkmcnt(0)
	v_mul_f64 v[64:65], v[2:3], v[200:201]
	v_mul_f64 v[6:7], v[4:5], v[200:201]
	v_fmac_f64_e32 v[64:65], v[4:5], v[198:199]
	v_fma_f64 v[2:3], v[2:3], v[198:199], -v[6:7]
	v_mov_b64_e32 v[4:5], v[64:65]
.LBB62_204:
	s_and_saveexec_b64 s[8:9], s[2:3]
	s_cbranch_execz .LBB62_214
; %bb.205:
	v_subrev_u32_e32 v7, 48, v0
	v_subrev_u32_e32 v6, 47, v0
	v_cmp_lt_u32_e32 vcc, 6, v7
	v_mov_b32_e32 v199, 47
	s_and_saveexec_b64 s[2:3], vcc
	s_cbranch_execz .LBB62_209
; %bb.206:
	v_and_b32_e32 v7, -8, v6
	s_mov_b32 s12, 0
	s_mov_b64 s[10:11], 0
	v_mov_b32_e32 v198, 0
	s_mov_b32 s13, 0
.LBB62_207:                             ; =>This Inner Loop Header: Depth=1
	v_readfirstlane_b32 s14, v198
	s_add_i32 s14, s14, s12
	s_add_i32 s15, s14, 0x2f0
	v_mov_b32_e32 v199, s12
	ds_read_b128 v[200:203], v199 offset:1760
	ds_read_b128 v[204:207], v199 offset:1776
	;; [unrolled: 1-line block ×4, first 2 shown]
	scratch_load_dwordx4 v[216:219], off, s15
	s_add_i32 s15, s14, 0x300
	s_addk_i32 s12, 0x80
	s_waitcnt vmcnt(0) lgkmcnt(3)
	v_mul_f64 v[64:65], v[202:203], v[218:219]
	v_fma_f64 v[64:65], v[200:201], v[216:217], -v[64:65]
	v_mul_f64 v[200:201], v[200:201], v[218:219]
	v_fmac_f64_e32 v[200:201], v[202:203], v[216:217]
	v_add_f64 v[64:65], v[2:3], v[64:65]
	v_add_f64 v[200:201], v[4:5], v[200:201]
	scratch_load_dwordx4 v[2:5], off, s15
	s_add_i32 s15, s14, 0x310
	s_waitcnt vmcnt(0) lgkmcnt(2)
	v_mul_f64 v[202:203], v[206:207], v[4:5]
	v_mul_f64 v[4:5], v[204:205], v[4:5]
	v_fmac_f64_e32 v[4:5], v[206:207], v[2:3]
	v_fma_f64 v[202:203], v[204:205], v[2:3], -v[202:203]
	v_add_f64 v[200:201], v[200:201], v[4:5]
	scratch_load_dwordx4 v[2:5], off, s15
	v_add_f64 v[64:65], v[64:65], v[202:203]
	s_add_i32 s15, s14, 0x320
	s_waitcnt vmcnt(0) lgkmcnt(1)
	v_mul_f64 v[202:203], v[210:211], v[4:5]
	v_mul_f64 v[4:5], v[208:209], v[4:5]
	v_fmac_f64_e32 v[4:5], v[210:211], v[2:3]
	v_fma_f64 v[202:203], v[208:209], v[2:3], -v[202:203]
	v_add_f64 v[200:201], v[200:201], v[4:5]
	scratch_load_dwordx4 v[2:5], off, s15
	v_add_f64 v[64:65], v[64:65], v[202:203]
	s_add_i32 s15, s14, 0x330
	s_waitcnt vmcnt(0) lgkmcnt(0)
	v_mul_f64 v[202:203], v[214:215], v[4:5]
	v_mul_f64 v[4:5], v[212:213], v[4:5]
	v_fma_f64 v[202:203], v[212:213], v[2:3], -v[202:203]
	v_fmac_f64_e32 v[4:5], v[214:215], v[2:3]
	v_add_f64 v[64:65], v[64:65], v[202:203]
	v_add_f64 v[204:205], v[200:201], v[4:5]
	scratch_load_dwordx4 v[200:203], off, s15
	ds_read_b128 v[2:5], v199 offset:1824
	s_add_i32 s15, s14, 0x340
	s_waitcnt vmcnt(0) lgkmcnt(0)
	v_mul_f64 v[206:207], v[4:5], v[202:203]
	v_fma_f64 v[206:207], v[2:3], v[200:201], -v[206:207]
	v_mul_f64 v[2:3], v[2:3], v[202:203]
	v_fmac_f64_e32 v[2:3], v[4:5], v[200:201]
	scratch_load_dwordx4 v[200:203], off, s15
	v_add_f64 v[204:205], v[204:205], v[2:3]
	ds_read_b128 v[2:5], v199 offset:1840
	v_add_f64 v[64:65], v[64:65], v[206:207]
	s_add_i32 s15, s14, 0x350
	s_addk_i32 s14, 0x360
	s_waitcnt vmcnt(0) lgkmcnt(0)
	v_mul_f64 v[206:207], v[4:5], v[202:203]
	v_fma_f64 v[206:207], v[2:3], v[200:201], -v[206:207]
	v_mul_f64 v[2:3], v[2:3], v[202:203]
	v_fmac_f64_e32 v[2:3], v[4:5], v[200:201]
	scratch_load_dwordx4 v[200:203], off, s15
	v_add_f64 v[204:205], v[204:205], v[2:3]
	ds_read_b128 v[2:5], v199 offset:1856
	v_add_f64 v[64:65], v[64:65], v[206:207]
	s_waitcnt vmcnt(0) lgkmcnt(0)
	v_mul_f64 v[206:207], v[4:5], v[202:203]
	v_fma_f64 v[206:207], v[2:3], v[200:201], -v[206:207]
	v_mul_f64 v[2:3], v[2:3], v[202:203]
	v_fmac_f64_e32 v[2:3], v[4:5], v[200:201]
	scratch_load_dwordx4 v[200:203], off, s14
	v_add_f64 v[204:205], v[204:205], v[2:3]
	ds_read_b128 v[2:5], v199 offset:1872
	v_add_f64 v[64:65], v[64:65], v[206:207]
	s_add_i32 s14, s13, 8
	v_cmp_eq_u32_e32 vcc, s14, v7
	s_add_i32 s13, s13, 55
	s_or_b64 s[10:11], vcc, s[10:11]
	v_mov_b32_e32 v199, s13
	s_mov_b32 s13, s14
	s_waitcnt vmcnt(0) lgkmcnt(0)
	v_mul_f64 v[206:207], v[4:5], v[202:203]
	v_mul_f64 v[202:203], v[2:3], v[202:203]
	v_fma_f64 v[206:207], v[2:3], v[200:201], -v[206:207]
	v_fmac_f64_e32 v[202:203], v[4:5], v[200:201]
	v_add_f64 v[2:3], v[64:65], v[206:207]
	v_add_f64 v[4:5], v[204:205], v[202:203]
	s_andn2_b64 exec, exec, s[10:11]
	s_cbranch_execnz .LBB62_207
; %bb.208:
	s_or_b64 exec, exec, s[10:11]
.LBB62_209:
	s_or_b64 exec, exec, s[2:3]
	v_and_b32_e32 v6, 7, v6
	v_cmp_ne_u32_e32 vcc, 0, v6
	s_and_saveexec_b64 s[2:3], vcc
	s_cbranch_execz .LBB62_213
; %bb.210:
	v_lshlrev_b32_e32 v64, 4, v199
	v_add_u32_e32 v7, 0x3f0, v64
	v_add_u32_e32 v198, 0, v64
	s_mov_b64 s[10:11], 0
.LBB62_211:                             ; =>This Inner Loop Header: Depth=1
	scratch_load_dwordx4 v[200:203], v198, off
	ds_read_b128 v[204:207], v7
	v_add_u32_e32 v6, -1, v6
	v_cmp_eq_u32_e32 vcc, 0, v6
	v_add_u32_e32 v7, 16, v7
	v_add_u32_e32 v198, 16, v198
	s_or_b64 s[10:11], vcc, s[10:11]
	s_waitcnt vmcnt(0) lgkmcnt(0)
	v_mul_f64 v[64:65], v[206:207], v[202:203]
	v_mul_f64 v[202:203], v[204:205], v[202:203]
	v_fma_f64 v[64:65], v[204:205], v[200:201], -v[64:65]
	v_fmac_f64_e32 v[202:203], v[206:207], v[200:201]
	v_add_f64 v[2:3], v[2:3], v[64:65]
	v_add_f64 v[4:5], v[4:5], v[202:203]
	s_andn2_b64 exec, exec, s[10:11]
	s_cbranch_execnz .LBB62_211
; %bb.212:
	s_or_b64 exec, exec, s[10:11]
.LBB62_213:
	s_or_b64 exec, exec, s[2:3]
.LBB62_214:
	s_or_b64 exec, exec, s[8:9]
	v_mov_b32_e32 v6, 0
	ds_read_b128 v[198:201], v6 offset:736
	s_waitcnt lgkmcnt(0)
	v_mul_f64 v[6:7], v[4:5], v[200:201]
	v_mul_f64 v[202:203], v[2:3], v[200:201]
	v_fma_f64 v[200:201], v[2:3], v[198:199], -v[6:7]
	v_fmac_f64_e32 v[202:203], v[4:5], v[198:199]
	scratch_store_dwordx4 off, v[200:203], off offset:736
.LBB62_215:
	s_or_b64 exec, exec, s[4:5]
	scratch_load_dwordx4 v[2:5], v153, off
	v_cmp_lt_u32_e64 s[2:3], 45, v0
	s_waitcnt vmcnt(0)
	ds_write_b128 v9, v[2:5]
	s_waitcnt lgkmcnt(0)
	; wave barrier
	s_waitcnt lgkmcnt(0)
	s_and_saveexec_b64 s[4:5], s[2:3]
	s_cbranch_execz .LBB62_229
; %bb.216:
	ds_read_b128 v[2:5], v9
	s_andn2_b64 vcc, exec, s[6:7]
	s_cbranch_vccnz .LBB62_218
; %bb.217:
	scratch_load_dwordx4 v[198:201], v8, off
	s_waitcnt vmcnt(0) lgkmcnt(0)
	v_mul_f64 v[64:65], v[2:3], v[200:201]
	v_mul_f64 v[6:7], v[4:5], v[200:201]
	v_fmac_f64_e32 v[64:65], v[4:5], v[198:199]
	v_fma_f64 v[2:3], v[2:3], v[198:199], -v[6:7]
	v_mov_b64_e32 v[4:5], v[64:65]
.LBB62_218:
	s_and_saveexec_b64 s[8:9], s[0:1]
	s_cbranch_execz .LBB62_228
; %bb.219:
	v_subrev_u32_e32 v7, 47, v0
	v_subrev_u32_e32 v6, 46, v0
	v_cmp_lt_u32_e32 vcc, 6, v7
	v_mov_b32_e32 v199, 46
	s_and_saveexec_b64 s[0:1], vcc
	s_cbranch_execz .LBB62_223
; %bb.220:
	v_and_b32_e32 v7, -8, v6
	s_mov_b32 s12, 0
	s_mov_b64 s[10:11], 0
	v_mov_b32_e32 v198, 0
	s_mov_b32 s13, 0
.LBB62_221:                             ; =>This Inner Loop Header: Depth=1
	v_readfirstlane_b32 s14, v198
	s_add_i32 s14, s14, s12
	s_add_i32 s15, s14, 0x2e0
	v_mov_b32_e32 v199, s12
	ds_read_b128 v[200:203], v199 offset:1744
	ds_read_b128 v[204:207], v199 offset:1760
	;; [unrolled: 1-line block ×4, first 2 shown]
	scratch_load_dwordx4 v[216:219], off, s15
	s_add_i32 s15, s14, 0x2f0
	s_addk_i32 s12, 0x80
	s_waitcnt vmcnt(0) lgkmcnt(3)
	v_mul_f64 v[64:65], v[202:203], v[218:219]
	v_fma_f64 v[64:65], v[200:201], v[216:217], -v[64:65]
	v_mul_f64 v[200:201], v[200:201], v[218:219]
	v_fmac_f64_e32 v[200:201], v[202:203], v[216:217]
	v_add_f64 v[64:65], v[2:3], v[64:65]
	v_add_f64 v[200:201], v[4:5], v[200:201]
	scratch_load_dwordx4 v[2:5], off, s15
	s_add_i32 s15, s14, 0x300
	s_waitcnt vmcnt(0) lgkmcnt(2)
	v_mul_f64 v[202:203], v[206:207], v[4:5]
	v_mul_f64 v[4:5], v[204:205], v[4:5]
	v_fmac_f64_e32 v[4:5], v[206:207], v[2:3]
	v_fma_f64 v[202:203], v[204:205], v[2:3], -v[202:203]
	v_add_f64 v[200:201], v[200:201], v[4:5]
	scratch_load_dwordx4 v[2:5], off, s15
	v_add_f64 v[64:65], v[64:65], v[202:203]
	s_add_i32 s15, s14, 0x310
	s_waitcnt vmcnt(0) lgkmcnt(1)
	v_mul_f64 v[202:203], v[210:211], v[4:5]
	v_mul_f64 v[4:5], v[208:209], v[4:5]
	v_fmac_f64_e32 v[4:5], v[210:211], v[2:3]
	v_fma_f64 v[202:203], v[208:209], v[2:3], -v[202:203]
	v_add_f64 v[200:201], v[200:201], v[4:5]
	scratch_load_dwordx4 v[2:5], off, s15
	v_add_f64 v[64:65], v[64:65], v[202:203]
	s_add_i32 s15, s14, 0x320
	s_waitcnt vmcnt(0) lgkmcnt(0)
	v_mul_f64 v[202:203], v[214:215], v[4:5]
	v_mul_f64 v[4:5], v[212:213], v[4:5]
	v_fma_f64 v[202:203], v[212:213], v[2:3], -v[202:203]
	v_fmac_f64_e32 v[4:5], v[214:215], v[2:3]
	v_add_f64 v[64:65], v[64:65], v[202:203]
	v_add_f64 v[204:205], v[200:201], v[4:5]
	scratch_load_dwordx4 v[200:203], off, s15
	ds_read_b128 v[2:5], v199 offset:1808
	s_add_i32 s15, s14, 0x330
	s_waitcnt vmcnt(0) lgkmcnt(0)
	v_mul_f64 v[206:207], v[4:5], v[202:203]
	v_fma_f64 v[206:207], v[2:3], v[200:201], -v[206:207]
	v_mul_f64 v[2:3], v[2:3], v[202:203]
	v_fmac_f64_e32 v[2:3], v[4:5], v[200:201]
	scratch_load_dwordx4 v[200:203], off, s15
	v_add_f64 v[204:205], v[204:205], v[2:3]
	ds_read_b128 v[2:5], v199 offset:1824
	v_add_f64 v[64:65], v[64:65], v[206:207]
	s_add_i32 s15, s14, 0x340
	s_addk_i32 s14, 0x350
	s_waitcnt vmcnt(0) lgkmcnt(0)
	v_mul_f64 v[206:207], v[4:5], v[202:203]
	v_fma_f64 v[206:207], v[2:3], v[200:201], -v[206:207]
	v_mul_f64 v[2:3], v[2:3], v[202:203]
	v_fmac_f64_e32 v[2:3], v[4:5], v[200:201]
	scratch_load_dwordx4 v[200:203], off, s15
	v_add_f64 v[204:205], v[204:205], v[2:3]
	ds_read_b128 v[2:5], v199 offset:1840
	v_add_f64 v[64:65], v[64:65], v[206:207]
	s_waitcnt vmcnt(0) lgkmcnt(0)
	v_mul_f64 v[206:207], v[4:5], v[202:203]
	v_fma_f64 v[206:207], v[2:3], v[200:201], -v[206:207]
	v_mul_f64 v[2:3], v[2:3], v[202:203]
	v_fmac_f64_e32 v[2:3], v[4:5], v[200:201]
	scratch_load_dwordx4 v[200:203], off, s14
	v_add_f64 v[204:205], v[204:205], v[2:3]
	ds_read_b128 v[2:5], v199 offset:1856
	v_add_f64 v[64:65], v[64:65], v[206:207]
	s_add_i32 s14, s13, 8
	v_cmp_eq_u32_e32 vcc, s14, v7
	s_add_i32 s13, s13, 54
	s_or_b64 s[10:11], vcc, s[10:11]
	v_mov_b32_e32 v199, s13
	s_mov_b32 s13, s14
	s_waitcnt vmcnt(0) lgkmcnt(0)
	v_mul_f64 v[206:207], v[4:5], v[202:203]
	v_mul_f64 v[202:203], v[2:3], v[202:203]
	v_fma_f64 v[206:207], v[2:3], v[200:201], -v[206:207]
	v_fmac_f64_e32 v[202:203], v[4:5], v[200:201]
	v_add_f64 v[2:3], v[64:65], v[206:207]
	v_add_f64 v[4:5], v[204:205], v[202:203]
	s_andn2_b64 exec, exec, s[10:11]
	s_cbranch_execnz .LBB62_221
; %bb.222:
	s_or_b64 exec, exec, s[10:11]
.LBB62_223:
	s_or_b64 exec, exec, s[0:1]
	v_and_b32_e32 v6, 7, v6
	v_cmp_ne_u32_e32 vcc, 0, v6
	s_and_saveexec_b64 s[0:1], vcc
	s_cbranch_execz .LBB62_227
; %bb.224:
	v_lshlrev_b32_e32 v64, 4, v199
	v_add_u32_e32 v7, 0x3f0, v64
	v_add_u32_e32 v198, 0, v64
	s_mov_b64 s[10:11], 0
.LBB62_225:                             ; =>This Inner Loop Header: Depth=1
	scratch_load_dwordx4 v[200:203], v198, off
	ds_read_b128 v[204:207], v7
	v_add_u32_e32 v6, -1, v6
	v_cmp_eq_u32_e32 vcc, 0, v6
	v_add_u32_e32 v7, 16, v7
	v_add_u32_e32 v198, 16, v198
	s_or_b64 s[10:11], vcc, s[10:11]
	s_waitcnt vmcnt(0) lgkmcnt(0)
	v_mul_f64 v[64:65], v[206:207], v[202:203]
	v_mul_f64 v[202:203], v[204:205], v[202:203]
	v_fma_f64 v[64:65], v[204:205], v[200:201], -v[64:65]
	v_fmac_f64_e32 v[202:203], v[206:207], v[200:201]
	v_add_f64 v[2:3], v[2:3], v[64:65]
	v_add_f64 v[4:5], v[4:5], v[202:203]
	s_andn2_b64 exec, exec, s[10:11]
	s_cbranch_execnz .LBB62_225
; %bb.226:
	s_or_b64 exec, exec, s[10:11]
.LBB62_227:
	s_or_b64 exec, exec, s[0:1]
.LBB62_228:
	s_or_b64 exec, exec, s[8:9]
	v_mov_b32_e32 v6, 0
	ds_read_b128 v[198:201], v6 offset:720
	s_waitcnt lgkmcnt(0)
	v_mul_f64 v[6:7], v[4:5], v[200:201]
	v_mul_f64 v[202:203], v[2:3], v[200:201]
	v_fma_f64 v[200:201], v[2:3], v[198:199], -v[6:7]
	v_fmac_f64_e32 v[202:203], v[4:5], v[198:199]
	scratch_store_dwordx4 off, v[200:203], off offset:720
.LBB62_229:
	s_or_b64 exec, exec, s[4:5]
	scratch_load_dwordx4 v[2:5], v154, off
	v_cmp_lt_u32_e64 s[0:1], 44, v0
	s_waitcnt vmcnt(0)
	ds_write_b128 v9, v[2:5]
	s_waitcnt lgkmcnt(0)
	; wave barrier
	s_waitcnt lgkmcnt(0)
	s_and_saveexec_b64 s[4:5], s[0:1]
	s_cbranch_execz .LBB62_243
; %bb.230:
	ds_read_b128 v[2:5], v9
	s_andn2_b64 vcc, exec, s[6:7]
	s_cbranch_vccnz .LBB62_232
; %bb.231:
	scratch_load_dwordx4 v[198:201], v8, off
	s_waitcnt vmcnt(0) lgkmcnt(0)
	v_mul_f64 v[64:65], v[2:3], v[200:201]
	v_mul_f64 v[6:7], v[4:5], v[200:201]
	v_fmac_f64_e32 v[64:65], v[4:5], v[198:199]
	v_fma_f64 v[2:3], v[2:3], v[198:199], -v[6:7]
	v_mov_b64_e32 v[4:5], v[64:65]
.LBB62_232:
	s_and_saveexec_b64 s[8:9], s[2:3]
	s_cbranch_execz .LBB62_242
; %bb.233:
	v_subrev_u32_e32 v7, 46, v0
	v_subrev_u32_e32 v6, 45, v0
	v_cmp_lt_u32_e32 vcc, 6, v7
	v_mov_b32_e32 v199, 45
	s_and_saveexec_b64 s[2:3], vcc
	s_cbranch_execz .LBB62_237
; %bb.234:
	v_and_b32_e32 v7, -8, v6
	s_mov_b32 s12, 0
	s_mov_b64 s[10:11], 0
	v_mov_b32_e32 v198, 0
	s_mov_b32 s13, 0
.LBB62_235:                             ; =>This Inner Loop Header: Depth=1
	v_readfirstlane_b32 s14, v198
	s_add_i32 s14, s14, s12
	s_add_i32 s15, s14, 0x2d0
	v_mov_b32_e32 v199, s12
	ds_read_b128 v[200:203], v199 offset:1728
	ds_read_b128 v[204:207], v199 offset:1744
	;; [unrolled: 1-line block ×4, first 2 shown]
	scratch_load_dwordx4 v[216:219], off, s15
	s_add_i32 s15, s14, 0x2e0
	s_addk_i32 s12, 0x80
	s_waitcnt vmcnt(0) lgkmcnt(3)
	v_mul_f64 v[64:65], v[202:203], v[218:219]
	v_fma_f64 v[64:65], v[200:201], v[216:217], -v[64:65]
	v_mul_f64 v[200:201], v[200:201], v[218:219]
	v_fmac_f64_e32 v[200:201], v[202:203], v[216:217]
	v_add_f64 v[64:65], v[2:3], v[64:65]
	v_add_f64 v[200:201], v[4:5], v[200:201]
	scratch_load_dwordx4 v[2:5], off, s15
	s_add_i32 s15, s14, 0x2f0
	s_waitcnt vmcnt(0) lgkmcnt(2)
	v_mul_f64 v[202:203], v[206:207], v[4:5]
	v_mul_f64 v[4:5], v[204:205], v[4:5]
	v_fmac_f64_e32 v[4:5], v[206:207], v[2:3]
	v_fma_f64 v[202:203], v[204:205], v[2:3], -v[202:203]
	v_add_f64 v[200:201], v[200:201], v[4:5]
	scratch_load_dwordx4 v[2:5], off, s15
	v_add_f64 v[64:65], v[64:65], v[202:203]
	s_add_i32 s15, s14, 0x300
	s_waitcnt vmcnt(0) lgkmcnt(1)
	v_mul_f64 v[202:203], v[210:211], v[4:5]
	v_mul_f64 v[4:5], v[208:209], v[4:5]
	v_fmac_f64_e32 v[4:5], v[210:211], v[2:3]
	v_fma_f64 v[202:203], v[208:209], v[2:3], -v[202:203]
	v_add_f64 v[200:201], v[200:201], v[4:5]
	scratch_load_dwordx4 v[2:5], off, s15
	v_add_f64 v[64:65], v[64:65], v[202:203]
	s_add_i32 s15, s14, 0x310
	s_waitcnt vmcnt(0) lgkmcnt(0)
	v_mul_f64 v[202:203], v[214:215], v[4:5]
	v_mul_f64 v[4:5], v[212:213], v[4:5]
	v_fma_f64 v[202:203], v[212:213], v[2:3], -v[202:203]
	v_fmac_f64_e32 v[4:5], v[214:215], v[2:3]
	v_add_f64 v[64:65], v[64:65], v[202:203]
	v_add_f64 v[204:205], v[200:201], v[4:5]
	scratch_load_dwordx4 v[200:203], off, s15
	ds_read_b128 v[2:5], v199 offset:1792
	s_add_i32 s15, s14, 0x320
	s_waitcnt vmcnt(0) lgkmcnt(0)
	v_mul_f64 v[206:207], v[4:5], v[202:203]
	v_fma_f64 v[206:207], v[2:3], v[200:201], -v[206:207]
	v_mul_f64 v[2:3], v[2:3], v[202:203]
	v_fmac_f64_e32 v[2:3], v[4:5], v[200:201]
	scratch_load_dwordx4 v[200:203], off, s15
	v_add_f64 v[204:205], v[204:205], v[2:3]
	ds_read_b128 v[2:5], v199 offset:1808
	v_add_f64 v[64:65], v[64:65], v[206:207]
	s_add_i32 s15, s14, 0x330
	s_addk_i32 s14, 0x340
	s_waitcnt vmcnt(0) lgkmcnt(0)
	v_mul_f64 v[206:207], v[4:5], v[202:203]
	v_fma_f64 v[206:207], v[2:3], v[200:201], -v[206:207]
	v_mul_f64 v[2:3], v[2:3], v[202:203]
	v_fmac_f64_e32 v[2:3], v[4:5], v[200:201]
	scratch_load_dwordx4 v[200:203], off, s15
	v_add_f64 v[204:205], v[204:205], v[2:3]
	ds_read_b128 v[2:5], v199 offset:1824
	v_add_f64 v[64:65], v[64:65], v[206:207]
	s_waitcnt vmcnt(0) lgkmcnt(0)
	v_mul_f64 v[206:207], v[4:5], v[202:203]
	v_fma_f64 v[206:207], v[2:3], v[200:201], -v[206:207]
	v_mul_f64 v[2:3], v[2:3], v[202:203]
	v_fmac_f64_e32 v[2:3], v[4:5], v[200:201]
	scratch_load_dwordx4 v[200:203], off, s14
	v_add_f64 v[204:205], v[204:205], v[2:3]
	ds_read_b128 v[2:5], v199 offset:1840
	v_add_f64 v[64:65], v[64:65], v[206:207]
	s_add_i32 s14, s13, 8
	v_cmp_eq_u32_e32 vcc, s14, v7
	s_add_i32 s13, s13, 53
	s_or_b64 s[10:11], vcc, s[10:11]
	v_mov_b32_e32 v199, s13
	s_mov_b32 s13, s14
	s_waitcnt vmcnt(0) lgkmcnt(0)
	v_mul_f64 v[206:207], v[4:5], v[202:203]
	v_mul_f64 v[202:203], v[2:3], v[202:203]
	v_fma_f64 v[206:207], v[2:3], v[200:201], -v[206:207]
	v_fmac_f64_e32 v[202:203], v[4:5], v[200:201]
	v_add_f64 v[2:3], v[64:65], v[206:207]
	v_add_f64 v[4:5], v[204:205], v[202:203]
	s_andn2_b64 exec, exec, s[10:11]
	s_cbranch_execnz .LBB62_235
; %bb.236:
	s_or_b64 exec, exec, s[10:11]
.LBB62_237:
	s_or_b64 exec, exec, s[2:3]
	v_and_b32_e32 v6, 7, v6
	v_cmp_ne_u32_e32 vcc, 0, v6
	s_and_saveexec_b64 s[2:3], vcc
	s_cbranch_execz .LBB62_241
; %bb.238:
	v_lshlrev_b32_e32 v64, 4, v199
	v_add_u32_e32 v7, 0x3f0, v64
	v_add_u32_e32 v198, 0, v64
	s_mov_b64 s[10:11], 0
.LBB62_239:                             ; =>This Inner Loop Header: Depth=1
	scratch_load_dwordx4 v[200:203], v198, off
	ds_read_b128 v[204:207], v7
	v_add_u32_e32 v6, -1, v6
	v_cmp_eq_u32_e32 vcc, 0, v6
	v_add_u32_e32 v7, 16, v7
	v_add_u32_e32 v198, 16, v198
	s_or_b64 s[10:11], vcc, s[10:11]
	s_waitcnt vmcnt(0) lgkmcnt(0)
	v_mul_f64 v[64:65], v[206:207], v[202:203]
	v_mul_f64 v[202:203], v[204:205], v[202:203]
	v_fma_f64 v[64:65], v[204:205], v[200:201], -v[64:65]
	v_fmac_f64_e32 v[202:203], v[206:207], v[200:201]
	v_add_f64 v[2:3], v[2:3], v[64:65]
	v_add_f64 v[4:5], v[4:5], v[202:203]
	s_andn2_b64 exec, exec, s[10:11]
	s_cbranch_execnz .LBB62_239
; %bb.240:
	s_or_b64 exec, exec, s[10:11]
.LBB62_241:
	s_or_b64 exec, exec, s[2:3]
.LBB62_242:
	s_or_b64 exec, exec, s[8:9]
	v_mov_b32_e32 v6, 0
	ds_read_b128 v[198:201], v6 offset:704
	s_waitcnt lgkmcnt(0)
	v_mul_f64 v[6:7], v[4:5], v[200:201]
	v_mul_f64 v[202:203], v[2:3], v[200:201]
	v_fma_f64 v[200:201], v[2:3], v[198:199], -v[6:7]
	v_fmac_f64_e32 v[202:203], v[4:5], v[198:199]
	scratch_store_dwordx4 off, v[200:203], off offset:704
.LBB62_243:
	s_or_b64 exec, exec, s[4:5]
	scratch_load_dwordx4 v[2:5], v155, off
	v_cmp_lt_u32_e64 s[2:3], 43, v0
	s_waitcnt vmcnt(0)
	ds_write_b128 v9, v[2:5]
	s_waitcnt lgkmcnt(0)
	; wave barrier
	s_waitcnt lgkmcnt(0)
	s_and_saveexec_b64 s[4:5], s[2:3]
	s_cbranch_execz .LBB62_257
; %bb.244:
	ds_read_b128 v[2:5], v9
	s_andn2_b64 vcc, exec, s[6:7]
	s_cbranch_vccnz .LBB62_246
; %bb.245:
	scratch_load_dwordx4 v[198:201], v8, off
	s_waitcnt vmcnt(0) lgkmcnt(0)
	v_mul_f64 v[64:65], v[2:3], v[200:201]
	v_mul_f64 v[6:7], v[4:5], v[200:201]
	v_fmac_f64_e32 v[64:65], v[4:5], v[198:199]
	v_fma_f64 v[2:3], v[2:3], v[198:199], -v[6:7]
	v_mov_b64_e32 v[4:5], v[64:65]
.LBB62_246:
	s_and_saveexec_b64 s[8:9], s[0:1]
	s_cbranch_execz .LBB62_256
; %bb.247:
	v_subrev_u32_e32 v7, 45, v0
	v_subrev_u32_e32 v6, 44, v0
	v_cmp_lt_u32_e32 vcc, 6, v7
	v_mov_b32_e32 v199, 44
	s_and_saveexec_b64 s[0:1], vcc
	s_cbranch_execz .LBB62_251
; %bb.248:
	v_and_b32_e32 v7, -8, v6
	s_mov_b32 s12, 0
	s_mov_b64 s[10:11], 0
	v_mov_b32_e32 v198, 0
	s_mov_b32 s13, 0
.LBB62_249:                             ; =>This Inner Loop Header: Depth=1
	v_readfirstlane_b32 s14, v198
	s_add_i32 s14, s14, s12
	s_add_i32 s15, s14, 0x2c0
	v_mov_b32_e32 v199, s12
	ds_read_b128 v[200:203], v199 offset:1712
	ds_read_b128 v[204:207], v199 offset:1728
	;; [unrolled: 1-line block ×4, first 2 shown]
	scratch_load_dwordx4 v[216:219], off, s15
	s_add_i32 s15, s14, 0x2d0
	s_addk_i32 s12, 0x80
	s_waitcnt vmcnt(0) lgkmcnt(3)
	v_mul_f64 v[64:65], v[202:203], v[218:219]
	v_fma_f64 v[64:65], v[200:201], v[216:217], -v[64:65]
	v_mul_f64 v[200:201], v[200:201], v[218:219]
	v_fmac_f64_e32 v[200:201], v[202:203], v[216:217]
	v_add_f64 v[64:65], v[2:3], v[64:65]
	v_add_f64 v[200:201], v[4:5], v[200:201]
	scratch_load_dwordx4 v[2:5], off, s15
	s_add_i32 s15, s14, 0x2e0
	s_waitcnt vmcnt(0) lgkmcnt(2)
	v_mul_f64 v[202:203], v[206:207], v[4:5]
	v_mul_f64 v[4:5], v[204:205], v[4:5]
	v_fmac_f64_e32 v[4:5], v[206:207], v[2:3]
	v_fma_f64 v[202:203], v[204:205], v[2:3], -v[202:203]
	v_add_f64 v[200:201], v[200:201], v[4:5]
	scratch_load_dwordx4 v[2:5], off, s15
	v_add_f64 v[64:65], v[64:65], v[202:203]
	s_add_i32 s15, s14, 0x2f0
	s_waitcnt vmcnt(0) lgkmcnt(1)
	v_mul_f64 v[202:203], v[210:211], v[4:5]
	v_mul_f64 v[4:5], v[208:209], v[4:5]
	v_fmac_f64_e32 v[4:5], v[210:211], v[2:3]
	v_fma_f64 v[202:203], v[208:209], v[2:3], -v[202:203]
	v_add_f64 v[200:201], v[200:201], v[4:5]
	scratch_load_dwordx4 v[2:5], off, s15
	v_add_f64 v[64:65], v[64:65], v[202:203]
	s_add_i32 s15, s14, 0x300
	s_waitcnt vmcnt(0) lgkmcnt(0)
	v_mul_f64 v[202:203], v[214:215], v[4:5]
	v_mul_f64 v[4:5], v[212:213], v[4:5]
	v_fma_f64 v[202:203], v[212:213], v[2:3], -v[202:203]
	v_fmac_f64_e32 v[4:5], v[214:215], v[2:3]
	v_add_f64 v[64:65], v[64:65], v[202:203]
	v_add_f64 v[204:205], v[200:201], v[4:5]
	scratch_load_dwordx4 v[200:203], off, s15
	ds_read_b128 v[2:5], v199 offset:1776
	s_add_i32 s15, s14, 0x310
	s_waitcnt vmcnt(0) lgkmcnt(0)
	v_mul_f64 v[206:207], v[4:5], v[202:203]
	v_fma_f64 v[206:207], v[2:3], v[200:201], -v[206:207]
	v_mul_f64 v[2:3], v[2:3], v[202:203]
	v_fmac_f64_e32 v[2:3], v[4:5], v[200:201]
	scratch_load_dwordx4 v[200:203], off, s15
	v_add_f64 v[204:205], v[204:205], v[2:3]
	ds_read_b128 v[2:5], v199 offset:1792
	v_add_f64 v[64:65], v[64:65], v[206:207]
	s_add_i32 s15, s14, 0x320
	s_addk_i32 s14, 0x330
	s_waitcnt vmcnt(0) lgkmcnt(0)
	v_mul_f64 v[206:207], v[4:5], v[202:203]
	v_fma_f64 v[206:207], v[2:3], v[200:201], -v[206:207]
	v_mul_f64 v[2:3], v[2:3], v[202:203]
	v_fmac_f64_e32 v[2:3], v[4:5], v[200:201]
	scratch_load_dwordx4 v[200:203], off, s15
	v_add_f64 v[204:205], v[204:205], v[2:3]
	ds_read_b128 v[2:5], v199 offset:1808
	v_add_f64 v[64:65], v[64:65], v[206:207]
	s_waitcnt vmcnt(0) lgkmcnt(0)
	v_mul_f64 v[206:207], v[4:5], v[202:203]
	v_fma_f64 v[206:207], v[2:3], v[200:201], -v[206:207]
	v_mul_f64 v[2:3], v[2:3], v[202:203]
	v_fmac_f64_e32 v[2:3], v[4:5], v[200:201]
	scratch_load_dwordx4 v[200:203], off, s14
	v_add_f64 v[204:205], v[204:205], v[2:3]
	ds_read_b128 v[2:5], v199 offset:1824
	v_add_f64 v[64:65], v[64:65], v[206:207]
	s_add_i32 s14, s13, 8
	v_cmp_eq_u32_e32 vcc, s14, v7
	s_add_i32 s13, s13, 52
	s_or_b64 s[10:11], vcc, s[10:11]
	v_mov_b32_e32 v199, s13
	s_mov_b32 s13, s14
	s_waitcnt vmcnt(0) lgkmcnt(0)
	v_mul_f64 v[206:207], v[4:5], v[202:203]
	v_mul_f64 v[202:203], v[2:3], v[202:203]
	v_fma_f64 v[206:207], v[2:3], v[200:201], -v[206:207]
	v_fmac_f64_e32 v[202:203], v[4:5], v[200:201]
	v_add_f64 v[2:3], v[64:65], v[206:207]
	v_add_f64 v[4:5], v[204:205], v[202:203]
	s_andn2_b64 exec, exec, s[10:11]
	s_cbranch_execnz .LBB62_249
; %bb.250:
	s_or_b64 exec, exec, s[10:11]
.LBB62_251:
	s_or_b64 exec, exec, s[0:1]
	v_and_b32_e32 v6, 7, v6
	v_cmp_ne_u32_e32 vcc, 0, v6
	s_and_saveexec_b64 s[0:1], vcc
	s_cbranch_execz .LBB62_255
; %bb.252:
	v_lshlrev_b32_e32 v64, 4, v199
	v_add_u32_e32 v7, 0x3f0, v64
	v_add_u32_e32 v198, 0, v64
	s_mov_b64 s[10:11], 0
.LBB62_253:                             ; =>This Inner Loop Header: Depth=1
	scratch_load_dwordx4 v[200:203], v198, off
	ds_read_b128 v[204:207], v7
	v_add_u32_e32 v6, -1, v6
	v_cmp_eq_u32_e32 vcc, 0, v6
	v_add_u32_e32 v7, 16, v7
	v_add_u32_e32 v198, 16, v198
	s_or_b64 s[10:11], vcc, s[10:11]
	s_waitcnt vmcnt(0) lgkmcnt(0)
	v_mul_f64 v[64:65], v[206:207], v[202:203]
	v_mul_f64 v[202:203], v[204:205], v[202:203]
	v_fma_f64 v[64:65], v[204:205], v[200:201], -v[64:65]
	v_fmac_f64_e32 v[202:203], v[206:207], v[200:201]
	v_add_f64 v[2:3], v[2:3], v[64:65]
	v_add_f64 v[4:5], v[4:5], v[202:203]
	s_andn2_b64 exec, exec, s[10:11]
	s_cbranch_execnz .LBB62_253
; %bb.254:
	s_or_b64 exec, exec, s[10:11]
.LBB62_255:
	s_or_b64 exec, exec, s[0:1]
.LBB62_256:
	s_or_b64 exec, exec, s[8:9]
	v_mov_b32_e32 v6, 0
	ds_read_b128 v[198:201], v6 offset:688
	s_waitcnt lgkmcnt(0)
	v_mul_f64 v[6:7], v[4:5], v[200:201]
	v_mul_f64 v[202:203], v[2:3], v[200:201]
	v_fma_f64 v[200:201], v[2:3], v[198:199], -v[6:7]
	v_fmac_f64_e32 v[202:203], v[4:5], v[198:199]
	scratch_store_dwordx4 off, v[200:203], off offset:688
.LBB62_257:
	s_or_b64 exec, exec, s[4:5]
	scratch_load_dwordx4 v[2:5], v156, off
	v_cmp_lt_u32_e64 s[0:1], 42, v0
	s_waitcnt vmcnt(0)
	ds_write_b128 v9, v[2:5]
	s_waitcnt lgkmcnt(0)
	; wave barrier
	s_waitcnt lgkmcnt(0)
	s_and_saveexec_b64 s[4:5], s[0:1]
	s_cbranch_execz .LBB62_271
; %bb.258:
	ds_read_b128 v[2:5], v9
	s_andn2_b64 vcc, exec, s[6:7]
	s_cbranch_vccnz .LBB62_260
; %bb.259:
	scratch_load_dwordx4 v[198:201], v8, off
	s_waitcnt vmcnt(0) lgkmcnt(0)
	v_mul_f64 v[64:65], v[2:3], v[200:201]
	v_mul_f64 v[6:7], v[4:5], v[200:201]
	v_fmac_f64_e32 v[64:65], v[4:5], v[198:199]
	v_fma_f64 v[2:3], v[2:3], v[198:199], -v[6:7]
	v_mov_b64_e32 v[4:5], v[64:65]
.LBB62_260:
	s_and_saveexec_b64 s[8:9], s[2:3]
	s_cbranch_execz .LBB62_270
; %bb.261:
	v_subrev_u32_e32 v7, 44, v0
	v_subrev_u32_e32 v6, 43, v0
	v_cmp_lt_u32_e32 vcc, 6, v7
	v_mov_b32_e32 v199, 43
	s_and_saveexec_b64 s[2:3], vcc
	s_cbranch_execz .LBB62_265
; %bb.262:
	v_and_b32_e32 v7, -8, v6
	s_mov_b32 s12, 0
	s_mov_b64 s[10:11], 0
	v_mov_b32_e32 v198, 0
	s_mov_b32 s13, 0
.LBB62_263:                             ; =>This Inner Loop Header: Depth=1
	v_readfirstlane_b32 s14, v198
	s_add_i32 s14, s14, s12
	s_add_i32 s15, s14, 0x2b0
	v_mov_b32_e32 v199, s12
	ds_read_b128 v[200:203], v199 offset:1696
	ds_read_b128 v[204:207], v199 offset:1712
	;; [unrolled: 1-line block ×4, first 2 shown]
	scratch_load_dwordx4 v[216:219], off, s15
	s_add_i32 s15, s14, 0x2c0
	s_addk_i32 s12, 0x80
	s_waitcnt vmcnt(0) lgkmcnt(3)
	v_mul_f64 v[64:65], v[202:203], v[218:219]
	v_fma_f64 v[64:65], v[200:201], v[216:217], -v[64:65]
	v_mul_f64 v[200:201], v[200:201], v[218:219]
	v_fmac_f64_e32 v[200:201], v[202:203], v[216:217]
	v_add_f64 v[64:65], v[2:3], v[64:65]
	v_add_f64 v[200:201], v[4:5], v[200:201]
	scratch_load_dwordx4 v[2:5], off, s15
	s_add_i32 s15, s14, 0x2d0
	s_waitcnt vmcnt(0) lgkmcnt(2)
	v_mul_f64 v[202:203], v[206:207], v[4:5]
	v_mul_f64 v[4:5], v[204:205], v[4:5]
	v_fmac_f64_e32 v[4:5], v[206:207], v[2:3]
	v_fma_f64 v[202:203], v[204:205], v[2:3], -v[202:203]
	v_add_f64 v[200:201], v[200:201], v[4:5]
	scratch_load_dwordx4 v[2:5], off, s15
	v_add_f64 v[64:65], v[64:65], v[202:203]
	s_add_i32 s15, s14, 0x2e0
	s_waitcnt vmcnt(0) lgkmcnt(1)
	v_mul_f64 v[202:203], v[210:211], v[4:5]
	v_mul_f64 v[4:5], v[208:209], v[4:5]
	v_fmac_f64_e32 v[4:5], v[210:211], v[2:3]
	v_fma_f64 v[202:203], v[208:209], v[2:3], -v[202:203]
	v_add_f64 v[200:201], v[200:201], v[4:5]
	scratch_load_dwordx4 v[2:5], off, s15
	v_add_f64 v[64:65], v[64:65], v[202:203]
	s_add_i32 s15, s14, 0x2f0
	s_waitcnt vmcnt(0) lgkmcnt(0)
	v_mul_f64 v[202:203], v[214:215], v[4:5]
	v_mul_f64 v[4:5], v[212:213], v[4:5]
	v_fma_f64 v[202:203], v[212:213], v[2:3], -v[202:203]
	v_fmac_f64_e32 v[4:5], v[214:215], v[2:3]
	v_add_f64 v[64:65], v[64:65], v[202:203]
	v_add_f64 v[204:205], v[200:201], v[4:5]
	scratch_load_dwordx4 v[200:203], off, s15
	ds_read_b128 v[2:5], v199 offset:1760
	s_add_i32 s15, s14, 0x300
	s_waitcnt vmcnt(0) lgkmcnt(0)
	v_mul_f64 v[206:207], v[4:5], v[202:203]
	v_fma_f64 v[206:207], v[2:3], v[200:201], -v[206:207]
	v_mul_f64 v[2:3], v[2:3], v[202:203]
	v_fmac_f64_e32 v[2:3], v[4:5], v[200:201]
	scratch_load_dwordx4 v[200:203], off, s15
	v_add_f64 v[204:205], v[204:205], v[2:3]
	ds_read_b128 v[2:5], v199 offset:1776
	v_add_f64 v[64:65], v[64:65], v[206:207]
	s_add_i32 s15, s14, 0x310
	s_addk_i32 s14, 0x320
	s_waitcnt vmcnt(0) lgkmcnt(0)
	v_mul_f64 v[206:207], v[4:5], v[202:203]
	v_fma_f64 v[206:207], v[2:3], v[200:201], -v[206:207]
	v_mul_f64 v[2:3], v[2:3], v[202:203]
	v_fmac_f64_e32 v[2:3], v[4:5], v[200:201]
	scratch_load_dwordx4 v[200:203], off, s15
	v_add_f64 v[204:205], v[204:205], v[2:3]
	ds_read_b128 v[2:5], v199 offset:1792
	v_add_f64 v[64:65], v[64:65], v[206:207]
	s_waitcnt vmcnt(0) lgkmcnt(0)
	v_mul_f64 v[206:207], v[4:5], v[202:203]
	v_fma_f64 v[206:207], v[2:3], v[200:201], -v[206:207]
	v_mul_f64 v[2:3], v[2:3], v[202:203]
	v_fmac_f64_e32 v[2:3], v[4:5], v[200:201]
	scratch_load_dwordx4 v[200:203], off, s14
	v_add_f64 v[204:205], v[204:205], v[2:3]
	ds_read_b128 v[2:5], v199 offset:1808
	v_add_f64 v[64:65], v[64:65], v[206:207]
	s_add_i32 s14, s13, 8
	v_cmp_eq_u32_e32 vcc, s14, v7
	s_add_i32 s13, s13, 51
	s_or_b64 s[10:11], vcc, s[10:11]
	v_mov_b32_e32 v199, s13
	s_mov_b32 s13, s14
	s_waitcnt vmcnt(0) lgkmcnt(0)
	v_mul_f64 v[206:207], v[4:5], v[202:203]
	v_mul_f64 v[202:203], v[2:3], v[202:203]
	v_fma_f64 v[206:207], v[2:3], v[200:201], -v[206:207]
	v_fmac_f64_e32 v[202:203], v[4:5], v[200:201]
	v_add_f64 v[2:3], v[64:65], v[206:207]
	v_add_f64 v[4:5], v[204:205], v[202:203]
	s_andn2_b64 exec, exec, s[10:11]
	s_cbranch_execnz .LBB62_263
; %bb.264:
	s_or_b64 exec, exec, s[10:11]
.LBB62_265:
	s_or_b64 exec, exec, s[2:3]
	v_and_b32_e32 v6, 7, v6
	v_cmp_ne_u32_e32 vcc, 0, v6
	s_and_saveexec_b64 s[2:3], vcc
	s_cbranch_execz .LBB62_269
; %bb.266:
	v_lshlrev_b32_e32 v64, 4, v199
	v_add_u32_e32 v7, 0x3f0, v64
	v_add_u32_e32 v198, 0, v64
	s_mov_b64 s[10:11], 0
.LBB62_267:                             ; =>This Inner Loop Header: Depth=1
	scratch_load_dwordx4 v[200:203], v198, off
	ds_read_b128 v[204:207], v7
	v_add_u32_e32 v6, -1, v6
	v_cmp_eq_u32_e32 vcc, 0, v6
	v_add_u32_e32 v7, 16, v7
	v_add_u32_e32 v198, 16, v198
	s_or_b64 s[10:11], vcc, s[10:11]
	s_waitcnt vmcnt(0) lgkmcnt(0)
	v_mul_f64 v[64:65], v[206:207], v[202:203]
	v_mul_f64 v[202:203], v[204:205], v[202:203]
	v_fma_f64 v[64:65], v[204:205], v[200:201], -v[64:65]
	v_fmac_f64_e32 v[202:203], v[206:207], v[200:201]
	v_add_f64 v[2:3], v[2:3], v[64:65]
	v_add_f64 v[4:5], v[4:5], v[202:203]
	s_andn2_b64 exec, exec, s[10:11]
	s_cbranch_execnz .LBB62_267
; %bb.268:
	s_or_b64 exec, exec, s[10:11]
.LBB62_269:
	s_or_b64 exec, exec, s[2:3]
.LBB62_270:
	s_or_b64 exec, exec, s[8:9]
	v_mov_b32_e32 v6, 0
	ds_read_b128 v[198:201], v6 offset:672
	s_waitcnt lgkmcnt(0)
	v_mul_f64 v[6:7], v[4:5], v[200:201]
	v_mul_f64 v[202:203], v[2:3], v[200:201]
	v_fma_f64 v[200:201], v[2:3], v[198:199], -v[6:7]
	v_fmac_f64_e32 v[202:203], v[4:5], v[198:199]
	scratch_store_dwordx4 off, v[200:203], off offset:672
.LBB62_271:
	s_or_b64 exec, exec, s[4:5]
	scratch_load_dwordx4 v[2:5], v157, off
	v_cmp_lt_u32_e64 s[2:3], 41, v0
	s_waitcnt vmcnt(0)
	ds_write_b128 v9, v[2:5]
	s_waitcnt lgkmcnt(0)
	; wave barrier
	s_waitcnt lgkmcnt(0)
	s_and_saveexec_b64 s[4:5], s[2:3]
	s_cbranch_execz .LBB62_285
; %bb.272:
	ds_read_b128 v[2:5], v9
	s_andn2_b64 vcc, exec, s[6:7]
	s_cbranch_vccnz .LBB62_274
; %bb.273:
	scratch_load_dwordx4 v[198:201], v8, off
	s_waitcnt vmcnt(0) lgkmcnt(0)
	v_mul_f64 v[64:65], v[2:3], v[200:201]
	v_mul_f64 v[6:7], v[4:5], v[200:201]
	v_fmac_f64_e32 v[64:65], v[4:5], v[198:199]
	v_fma_f64 v[2:3], v[2:3], v[198:199], -v[6:7]
	v_mov_b64_e32 v[4:5], v[64:65]
.LBB62_274:
	s_and_saveexec_b64 s[8:9], s[0:1]
	s_cbranch_execz .LBB62_284
; %bb.275:
	v_subrev_u32_e32 v7, 43, v0
	v_subrev_u32_e32 v6, 42, v0
	v_cmp_lt_u32_e32 vcc, 6, v7
	v_mov_b32_e32 v199, 42
	s_and_saveexec_b64 s[0:1], vcc
	s_cbranch_execz .LBB62_279
; %bb.276:
	v_and_b32_e32 v7, -8, v6
	s_mov_b32 s12, 0
	s_mov_b64 s[10:11], 0
	v_mov_b32_e32 v198, 0
	s_mov_b32 s13, 0
.LBB62_277:                             ; =>This Inner Loop Header: Depth=1
	v_readfirstlane_b32 s14, v198
	s_add_i32 s14, s14, s12
	s_add_i32 s15, s14, 0x2a0
	v_mov_b32_e32 v199, s12
	ds_read_b128 v[200:203], v199 offset:1680
	ds_read_b128 v[204:207], v199 offset:1696
	;; [unrolled: 1-line block ×4, first 2 shown]
	scratch_load_dwordx4 v[216:219], off, s15
	s_add_i32 s15, s14, 0x2b0
	s_addk_i32 s12, 0x80
	s_waitcnt vmcnt(0) lgkmcnt(3)
	v_mul_f64 v[64:65], v[202:203], v[218:219]
	v_fma_f64 v[64:65], v[200:201], v[216:217], -v[64:65]
	v_mul_f64 v[200:201], v[200:201], v[218:219]
	v_fmac_f64_e32 v[200:201], v[202:203], v[216:217]
	v_add_f64 v[64:65], v[2:3], v[64:65]
	v_add_f64 v[200:201], v[4:5], v[200:201]
	scratch_load_dwordx4 v[2:5], off, s15
	s_add_i32 s15, s14, 0x2c0
	s_waitcnt vmcnt(0) lgkmcnt(2)
	v_mul_f64 v[202:203], v[206:207], v[4:5]
	v_mul_f64 v[4:5], v[204:205], v[4:5]
	v_fmac_f64_e32 v[4:5], v[206:207], v[2:3]
	v_fma_f64 v[202:203], v[204:205], v[2:3], -v[202:203]
	v_add_f64 v[200:201], v[200:201], v[4:5]
	scratch_load_dwordx4 v[2:5], off, s15
	v_add_f64 v[64:65], v[64:65], v[202:203]
	s_add_i32 s15, s14, 0x2d0
	s_waitcnt vmcnt(0) lgkmcnt(1)
	v_mul_f64 v[202:203], v[210:211], v[4:5]
	v_mul_f64 v[4:5], v[208:209], v[4:5]
	v_fmac_f64_e32 v[4:5], v[210:211], v[2:3]
	v_fma_f64 v[202:203], v[208:209], v[2:3], -v[202:203]
	v_add_f64 v[200:201], v[200:201], v[4:5]
	scratch_load_dwordx4 v[2:5], off, s15
	v_add_f64 v[64:65], v[64:65], v[202:203]
	s_add_i32 s15, s14, 0x2e0
	s_waitcnt vmcnt(0) lgkmcnt(0)
	v_mul_f64 v[202:203], v[214:215], v[4:5]
	v_mul_f64 v[4:5], v[212:213], v[4:5]
	v_fma_f64 v[202:203], v[212:213], v[2:3], -v[202:203]
	v_fmac_f64_e32 v[4:5], v[214:215], v[2:3]
	v_add_f64 v[64:65], v[64:65], v[202:203]
	v_add_f64 v[204:205], v[200:201], v[4:5]
	scratch_load_dwordx4 v[200:203], off, s15
	ds_read_b128 v[2:5], v199 offset:1744
	s_add_i32 s15, s14, 0x2f0
	s_waitcnt vmcnt(0) lgkmcnt(0)
	v_mul_f64 v[206:207], v[4:5], v[202:203]
	v_fma_f64 v[206:207], v[2:3], v[200:201], -v[206:207]
	v_mul_f64 v[2:3], v[2:3], v[202:203]
	v_fmac_f64_e32 v[2:3], v[4:5], v[200:201]
	scratch_load_dwordx4 v[200:203], off, s15
	v_add_f64 v[204:205], v[204:205], v[2:3]
	ds_read_b128 v[2:5], v199 offset:1760
	v_add_f64 v[64:65], v[64:65], v[206:207]
	s_add_i32 s15, s14, 0x300
	s_addk_i32 s14, 0x310
	s_waitcnt vmcnt(0) lgkmcnt(0)
	v_mul_f64 v[206:207], v[4:5], v[202:203]
	v_fma_f64 v[206:207], v[2:3], v[200:201], -v[206:207]
	v_mul_f64 v[2:3], v[2:3], v[202:203]
	v_fmac_f64_e32 v[2:3], v[4:5], v[200:201]
	scratch_load_dwordx4 v[200:203], off, s15
	v_add_f64 v[204:205], v[204:205], v[2:3]
	ds_read_b128 v[2:5], v199 offset:1776
	v_add_f64 v[64:65], v[64:65], v[206:207]
	s_waitcnt vmcnt(0) lgkmcnt(0)
	v_mul_f64 v[206:207], v[4:5], v[202:203]
	v_fma_f64 v[206:207], v[2:3], v[200:201], -v[206:207]
	v_mul_f64 v[2:3], v[2:3], v[202:203]
	v_fmac_f64_e32 v[2:3], v[4:5], v[200:201]
	scratch_load_dwordx4 v[200:203], off, s14
	v_add_f64 v[204:205], v[204:205], v[2:3]
	ds_read_b128 v[2:5], v199 offset:1792
	v_add_f64 v[64:65], v[64:65], v[206:207]
	s_add_i32 s14, s13, 8
	v_cmp_eq_u32_e32 vcc, s14, v7
	s_add_i32 s13, s13, 50
	s_or_b64 s[10:11], vcc, s[10:11]
	v_mov_b32_e32 v199, s13
	s_mov_b32 s13, s14
	s_waitcnt vmcnt(0) lgkmcnt(0)
	v_mul_f64 v[206:207], v[4:5], v[202:203]
	v_mul_f64 v[202:203], v[2:3], v[202:203]
	v_fma_f64 v[206:207], v[2:3], v[200:201], -v[206:207]
	v_fmac_f64_e32 v[202:203], v[4:5], v[200:201]
	v_add_f64 v[2:3], v[64:65], v[206:207]
	v_add_f64 v[4:5], v[204:205], v[202:203]
	s_andn2_b64 exec, exec, s[10:11]
	s_cbranch_execnz .LBB62_277
; %bb.278:
	s_or_b64 exec, exec, s[10:11]
.LBB62_279:
	s_or_b64 exec, exec, s[0:1]
	v_and_b32_e32 v6, 7, v6
	v_cmp_ne_u32_e32 vcc, 0, v6
	s_and_saveexec_b64 s[0:1], vcc
	s_cbranch_execz .LBB62_283
; %bb.280:
	v_lshlrev_b32_e32 v64, 4, v199
	v_add_u32_e32 v7, 0x3f0, v64
	v_add_u32_e32 v198, 0, v64
	s_mov_b64 s[10:11], 0
.LBB62_281:                             ; =>This Inner Loop Header: Depth=1
	scratch_load_dwordx4 v[200:203], v198, off
	ds_read_b128 v[204:207], v7
	v_add_u32_e32 v6, -1, v6
	v_cmp_eq_u32_e32 vcc, 0, v6
	v_add_u32_e32 v7, 16, v7
	v_add_u32_e32 v198, 16, v198
	s_or_b64 s[10:11], vcc, s[10:11]
	s_waitcnt vmcnt(0) lgkmcnt(0)
	v_mul_f64 v[64:65], v[206:207], v[202:203]
	v_mul_f64 v[202:203], v[204:205], v[202:203]
	v_fma_f64 v[64:65], v[204:205], v[200:201], -v[64:65]
	v_fmac_f64_e32 v[202:203], v[206:207], v[200:201]
	v_add_f64 v[2:3], v[2:3], v[64:65]
	v_add_f64 v[4:5], v[4:5], v[202:203]
	s_andn2_b64 exec, exec, s[10:11]
	s_cbranch_execnz .LBB62_281
; %bb.282:
	s_or_b64 exec, exec, s[10:11]
.LBB62_283:
	s_or_b64 exec, exec, s[0:1]
.LBB62_284:
	s_or_b64 exec, exec, s[8:9]
	v_mov_b32_e32 v6, 0
	ds_read_b128 v[198:201], v6 offset:656
	s_waitcnt lgkmcnt(0)
	v_mul_f64 v[6:7], v[4:5], v[200:201]
	v_mul_f64 v[202:203], v[2:3], v[200:201]
	v_fma_f64 v[200:201], v[2:3], v[198:199], -v[6:7]
	v_fmac_f64_e32 v[202:203], v[4:5], v[198:199]
	scratch_store_dwordx4 off, v[200:203], off offset:656
.LBB62_285:
	s_or_b64 exec, exec, s[4:5]
	scratch_load_dwordx4 v[2:5], v158, off
	v_cmp_lt_u32_e64 s[0:1], 40, v0
	s_waitcnt vmcnt(0)
	ds_write_b128 v9, v[2:5]
	s_waitcnt lgkmcnt(0)
	; wave barrier
	s_waitcnt lgkmcnt(0)
	s_and_saveexec_b64 s[4:5], s[0:1]
	s_cbranch_execz .LBB62_299
; %bb.286:
	ds_read_b128 v[2:5], v9
	s_andn2_b64 vcc, exec, s[6:7]
	s_cbranch_vccnz .LBB62_288
; %bb.287:
	scratch_load_dwordx4 v[198:201], v8, off
	s_waitcnt vmcnt(0) lgkmcnt(0)
	v_mul_f64 v[64:65], v[2:3], v[200:201]
	v_mul_f64 v[6:7], v[4:5], v[200:201]
	v_fmac_f64_e32 v[64:65], v[4:5], v[198:199]
	v_fma_f64 v[2:3], v[2:3], v[198:199], -v[6:7]
	v_mov_b64_e32 v[4:5], v[64:65]
.LBB62_288:
	s_and_saveexec_b64 s[8:9], s[2:3]
	s_cbranch_execz .LBB62_298
; %bb.289:
	v_subrev_u32_e32 v7, 42, v0
	v_subrev_u32_e32 v6, 41, v0
	v_cmp_lt_u32_e32 vcc, 6, v7
	v_mov_b32_e32 v199, 41
	s_and_saveexec_b64 s[2:3], vcc
	s_cbranch_execz .LBB62_293
; %bb.290:
	v_and_b32_e32 v7, -8, v6
	s_mov_b32 s12, 0
	s_mov_b64 s[10:11], 0
	v_mov_b32_e32 v198, 0
	s_mov_b32 s13, 0
.LBB62_291:                             ; =>This Inner Loop Header: Depth=1
	v_readfirstlane_b32 s14, v198
	s_add_i32 s14, s14, s12
	s_add_i32 s15, s14, 0x290
	v_mov_b32_e32 v199, s12
	ds_read_b128 v[200:203], v199 offset:1664
	ds_read_b128 v[204:207], v199 offset:1680
	;; [unrolled: 1-line block ×4, first 2 shown]
	scratch_load_dwordx4 v[216:219], off, s15
	s_add_i32 s15, s14, 0x2a0
	s_addk_i32 s12, 0x80
	s_waitcnt vmcnt(0) lgkmcnt(3)
	v_mul_f64 v[64:65], v[202:203], v[218:219]
	v_fma_f64 v[64:65], v[200:201], v[216:217], -v[64:65]
	v_mul_f64 v[200:201], v[200:201], v[218:219]
	v_fmac_f64_e32 v[200:201], v[202:203], v[216:217]
	v_add_f64 v[64:65], v[2:3], v[64:65]
	v_add_f64 v[200:201], v[4:5], v[200:201]
	scratch_load_dwordx4 v[2:5], off, s15
	s_add_i32 s15, s14, 0x2b0
	s_waitcnt vmcnt(0) lgkmcnt(2)
	v_mul_f64 v[202:203], v[206:207], v[4:5]
	v_mul_f64 v[4:5], v[204:205], v[4:5]
	v_fmac_f64_e32 v[4:5], v[206:207], v[2:3]
	v_fma_f64 v[202:203], v[204:205], v[2:3], -v[202:203]
	v_add_f64 v[200:201], v[200:201], v[4:5]
	scratch_load_dwordx4 v[2:5], off, s15
	v_add_f64 v[64:65], v[64:65], v[202:203]
	s_add_i32 s15, s14, 0x2c0
	s_waitcnt vmcnt(0) lgkmcnt(1)
	v_mul_f64 v[202:203], v[210:211], v[4:5]
	v_mul_f64 v[4:5], v[208:209], v[4:5]
	v_fmac_f64_e32 v[4:5], v[210:211], v[2:3]
	v_fma_f64 v[202:203], v[208:209], v[2:3], -v[202:203]
	v_add_f64 v[200:201], v[200:201], v[4:5]
	scratch_load_dwordx4 v[2:5], off, s15
	v_add_f64 v[64:65], v[64:65], v[202:203]
	s_add_i32 s15, s14, 0x2d0
	s_waitcnt vmcnt(0) lgkmcnt(0)
	v_mul_f64 v[202:203], v[214:215], v[4:5]
	v_mul_f64 v[4:5], v[212:213], v[4:5]
	v_fma_f64 v[202:203], v[212:213], v[2:3], -v[202:203]
	v_fmac_f64_e32 v[4:5], v[214:215], v[2:3]
	v_add_f64 v[64:65], v[64:65], v[202:203]
	v_add_f64 v[204:205], v[200:201], v[4:5]
	scratch_load_dwordx4 v[200:203], off, s15
	ds_read_b128 v[2:5], v199 offset:1728
	s_add_i32 s15, s14, 0x2e0
	s_waitcnt vmcnt(0) lgkmcnt(0)
	v_mul_f64 v[206:207], v[4:5], v[202:203]
	v_fma_f64 v[206:207], v[2:3], v[200:201], -v[206:207]
	v_mul_f64 v[2:3], v[2:3], v[202:203]
	v_fmac_f64_e32 v[2:3], v[4:5], v[200:201]
	scratch_load_dwordx4 v[200:203], off, s15
	v_add_f64 v[204:205], v[204:205], v[2:3]
	ds_read_b128 v[2:5], v199 offset:1744
	v_add_f64 v[64:65], v[64:65], v[206:207]
	s_add_i32 s15, s14, 0x2f0
	s_addk_i32 s14, 0x300
	s_waitcnt vmcnt(0) lgkmcnt(0)
	v_mul_f64 v[206:207], v[4:5], v[202:203]
	v_fma_f64 v[206:207], v[2:3], v[200:201], -v[206:207]
	v_mul_f64 v[2:3], v[2:3], v[202:203]
	v_fmac_f64_e32 v[2:3], v[4:5], v[200:201]
	scratch_load_dwordx4 v[200:203], off, s15
	v_add_f64 v[204:205], v[204:205], v[2:3]
	ds_read_b128 v[2:5], v199 offset:1760
	v_add_f64 v[64:65], v[64:65], v[206:207]
	s_waitcnt vmcnt(0) lgkmcnt(0)
	v_mul_f64 v[206:207], v[4:5], v[202:203]
	v_fma_f64 v[206:207], v[2:3], v[200:201], -v[206:207]
	v_mul_f64 v[2:3], v[2:3], v[202:203]
	v_fmac_f64_e32 v[2:3], v[4:5], v[200:201]
	scratch_load_dwordx4 v[200:203], off, s14
	v_add_f64 v[204:205], v[204:205], v[2:3]
	ds_read_b128 v[2:5], v199 offset:1776
	v_add_f64 v[64:65], v[64:65], v[206:207]
	s_add_i32 s14, s13, 8
	v_cmp_eq_u32_e32 vcc, s14, v7
	s_add_i32 s13, s13, 49
	s_or_b64 s[10:11], vcc, s[10:11]
	v_mov_b32_e32 v199, s13
	s_mov_b32 s13, s14
	s_waitcnt vmcnt(0) lgkmcnt(0)
	v_mul_f64 v[206:207], v[4:5], v[202:203]
	v_mul_f64 v[202:203], v[2:3], v[202:203]
	v_fma_f64 v[206:207], v[2:3], v[200:201], -v[206:207]
	v_fmac_f64_e32 v[202:203], v[4:5], v[200:201]
	v_add_f64 v[2:3], v[64:65], v[206:207]
	v_add_f64 v[4:5], v[204:205], v[202:203]
	s_andn2_b64 exec, exec, s[10:11]
	s_cbranch_execnz .LBB62_291
; %bb.292:
	s_or_b64 exec, exec, s[10:11]
.LBB62_293:
	s_or_b64 exec, exec, s[2:3]
	v_and_b32_e32 v6, 7, v6
	v_cmp_ne_u32_e32 vcc, 0, v6
	s_and_saveexec_b64 s[2:3], vcc
	s_cbranch_execz .LBB62_297
; %bb.294:
	v_lshlrev_b32_e32 v64, 4, v199
	v_add_u32_e32 v7, 0x3f0, v64
	v_add_u32_e32 v198, 0, v64
	s_mov_b64 s[10:11], 0
.LBB62_295:                             ; =>This Inner Loop Header: Depth=1
	scratch_load_dwordx4 v[200:203], v198, off
	ds_read_b128 v[204:207], v7
	v_add_u32_e32 v6, -1, v6
	v_cmp_eq_u32_e32 vcc, 0, v6
	v_add_u32_e32 v7, 16, v7
	v_add_u32_e32 v198, 16, v198
	s_or_b64 s[10:11], vcc, s[10:11]
	s_waitcnt vmcnt(0) lgkmcnt(0)
	v_mul_f64 v[64:65], v[206:207], v[202:203]
	v_mul_f64 v[202:203], v[204:205], v[202:203]
	v_fma_f64 v[64:65], v[204:205], v[200:201], -v[64:65]
	v_fmac_f64_e32 v[202:203], v[206:207], v[200:201]
	v_add_f64 v[2:3], v[2:3], v[64:65]
	v_add_f64 v[4:5], v[4:5], v[202:203]
	s_andn2_b64 exec, exec, s[10:11]
	s_cbranch_execnz .LBB62_295
; %bb.296:
	s_or_b64 exec, exec, s[10:11]
.LBB62_297:
	s_or_b64 exec, exec, s[2:3]
.LBB62_298:
	s_or_b64 exec, exec, s[8:9]
	v_mov_b32_e32 v6, 0
	ds_read_b128 v[198:201], v6 offset:640
	s_waitcnt lgkmcnt(0)
	v_mul_f64 v[6:7], v[4:5], v[200:201]
	v_mul_f64 v[202:203], v[2:3], v[200:201]
	v_fma_f64 v[200:201], v[2:3], v[198:199], -v[6:7]
	v_fmac_f64_e32 v[202:203], v[4:5], v[198:199]
	scratch_store_dwordx4 off, v[200:203], off offset:640
.LBB62_299:
	s_or_b64 exec, exec, s[4:5]
	scratch_load_dwordx4 v[2:5], v159, off
	v_cmp_lt_u32_e64 s[2:3], 39, v0
	s_waitcnt vmcnt(0)
	ds_write_b128 v9, v[2:5]
	s_waitcnt lgkmcnt(0)
	; wave barrier
	s_waitcnt lgkmcnt(0)
	s_and_saveexec_b64 s[4:5], s[2:3]
	s_cbranch_execz .LBB62_313
; %bb.300:
	ds_read_b128 v[2:5], v9
	s_andn2_b64 vcc, exec, s[6:7]
	s_cbranch_vccnz .LBB62_302
; %bb.301:
	scratch_load_dwordx4 v[198:201], v8, off
	s_waitcnt vmcnt(0) lgkmcnt(0)
	v_mul_f64 v[64:65], v[2:3], v[200:201]
	v_mul_f64 v[6:7], v[4:5], v[200:201]
	v_fmac_f64_e32 v[64:65], v[4:5], v[198:199]
	v_fma_f64 v[2:3], v[2:3], v[198:199], -v[6:7]
	v_mov_b64_e32 v[4:5], v[64:65]
.LBB62_302:
	s_and_saveexec_b64 s[8:9], s[0:1]
	s_cbranch_execz .LBB62_312
; %bb.303:
	v_subrev_u32_e32 v6, 41, v0
	v_cmp_lt_u32_e32 vcc, 6, v6
	v_mov_b32_e32 v6, 40
	s_and_saveexec_b64 s[0:1], vcc
	s_cbranch_execz .LBB62_307
; %bb.304:
	v_and_b32_e32 v6, 56, v0
	s_mov_b32 s12, 40
	s_mov_b32 s13, 0
	s_mov_b64 s[10:11], 0
	v_mov_b32_e32 v7, 0
.LBB62_305:                             ; =>This Inner Loop Header: Depth=1
	s_nop 0
	v_readfirstlane_b32 s14, v7
	s_add_i32 s14, s14, s13
	s_add_i32 s15, s14, 0x280
	v_mov_b32_e32 v218, s13
	ds_read_b128 v[198:201], v218 offset:1648
	ds_read_b128 v[202:205], v218 offset:1664
	;; [unrolled: 1-line block ×4, first 2 shown]
	scratch_load_dwordx4 v[214:217], off, s15
	s_add_i32 s15, s14, 0x290
	s_add_i32 s12, s12, 8
	s_addk_i32 s13, 0x80
	v_cmp_eq_u32_e32 vcc, s12, v6
	s_waitcnt vmcnt(0) lgkmcnt(3)
	v_mul_f64 v[64:65], v[200:201], v[216:217]
	v_fma_f64 v[64:65], v[198:199], v[214:215], -v[64:65]
	v_mul_f64 v[198:199], v[198:199], v[216:217]
	v_fmac_f64_e32 v[198:199], v[200:201], v[214:215]
	v_add_f64 v[64:65], v[2:3], v[64:65]
	v_add_f64 v[198:199], v[4:5], v[198:199]
	scratch_load_dwordx4 v[2:5], off, s15
	s_add_i32 s15, s14, 0x2a0
	s_waitcnt vmcnt(0) lgkmcnt(2)
	v_mul_f64 v[200:201], v[204:205], v[4:5]
	v_mul_f64 v[4:5], v[202:203], v[4:5]
	v_fmac_f64_e32 v[4:5], v[204:205], v[2:3]
	v_fma_f64 v[200:201], v[202:203], v[2:3], -v[200:201]
	v_add_f64 v[198:199], v[198:199], v[4:5]
	scratch_load_dwordx4 v[2:5], off, s15
	v_add_f64 v[64:65], v[64:65], v[200:201]
	s_add_i32 s15, s14, 0x2b0
	s_waitcnt vmcnt(0) lgkmcnt(1)
	v_mul_f64 v[200:201], v[208:209], v[4:5]
	v_mul_f64 v[4:5], v[206:207], v[4:5]
	v_fmac_f64_e32 v[4:5], v[208:209], v[2:3]
	v_fma_f64 v[200:201], v[206:207], v[2:3], -v[200:201]
	v_add_f64 v[198:199], v[198:199], v[4:5]
	scratch_load_dwordx4 v[2:5], off, s15
	v_add_f64 v[64:65], v[64:65], v[200:201]
	s_add_i32 s15, s14, 0x2c0
	s_waitcnt vmcnt(0) lgkmcnt(0)
	v_mul_f64 v[200:201], v[212:213], v[4:5]
	v_mul_f64 v[4:5], v[210:211], v[4:5]
	v_fma_f64 v[200:201], v[210:211], v[2:3], -v[200:201]
	v_fmac_f64_e32 v[4:5], v[212:213], v[2:3]
	v_add_f64 v[64:65], v[64:65], v[200:201]
	v_add_f64 v[202:203], v[198:199], v[4:5]
	scratch_load_dwordx4 v[198:201], off, s15
	ds_read_b128 v[2:5], v218 offset:1712
	s_add_i32 s15, s14, 0x2d0
	s_waitcnt vmcnt(0) lgkmcnt(0)
	v_mul_f64 v[204:205], v[4:5], v[200:201]
	v_fma_f64 v[204:205], v[2:3], v[198:199], -v[204:205]
	v_mul_f64 v[2:3], v[2:3], v[200:201]
	v_fmac_f64_e32 v[2:3], v[4:5], v[198:199]
	scratch_load_dwordx4 v[198:201], off, s15
	v_add_f64 v[202:203], v[202:203], v[2:3]
	ds_read_b128 v[2:5], v218 offset:1728
	v_add_f64 v[64:65], v[64:65], v[204:205]
	s_add_i32 s15, s14, 0x2e0
	s_addk_i32 s14, 0x2f0
	s_or_b64 s[10:11], vcc, s[10:11]
	s_waitcnt vmcnt(0) lgkmcnt(0)
	v_mul_f64 v[204:205], v[4:5], v[200:201]
	v_fma_f64 v[204:205], v[2:3], v[198:199], -v[204:205]
	v_mul_f64 v[2:3], v[2:3], v[200:201]
	v_fmac_f64_e32 v[2:3], v[4:5], v[198:199]
	scratch_load_dwordx4 v[198:201], off, s15
	v_add_f64 v[202:203], v[202:203], v[2:3]
	ds_read_b128 v[2:5], v218 offset:1744
	v_add_f64 v[64:65], v[64:65], v[204:205]
	s_waitcnt vmcnt(0) lgkmcnt(0)
	v_mul_f64 v[204:205], v[4:5], v[200:201]
	v_fma_f64 v[204:205], v[2:3], v[198:199], -v[204:205]
	v_mul_f64 v[2:3], v[2:3], v[200:201]
	v_fmac_f64_e32 v[2:3], v[4:5], v[198:199]
	scratch_load_dwordx4 v[198:201], off, s14
	v_add_f64 v[202:203], v[202:203], v[2:3]
	ds_read_b128 v[2:5], v218 offset:1760
	v_add_f64 v[64:65], v[64:65], v[204:205]
	s_waitcnt vmcnt(0) lgkmcnt(0)
	v_mul_f64 v[204:205], v[4:5], v[200:201]
	v_mul_f64 v[200:201], v[2:3], v[200:201]
	v_fma_f64 v[204:205], v[2:3], v[198:199], -v[204:205]
	v_fmac_f64_e32 v[200:201], v[4:5], v[198:199]
	v_add_f64 v[2:3], v[64:65], v[204:205]
	v_add_f64 v[4:5], v[202:203], v[200:201]
	s_andn2_b64 exec, exec, s[10:11]
	s_cbranch_execnz .LBB62_305
; %bb.306:
	s_or_b64 exec, exec, s[10:11]
.LBB62_307:
	s_or_b64 exec, exec, s[0:1]
	v_and_b32_e32 v7, 7, v0
	v_cmp_ne_u32_e32 vcc, 0, v7
	s_and_saveexec_b64 s[0:1], vcc
	s_cbranch_execz .LBB62_311
; %bb.308:
	v_lshlrev_b32_e32 v64, 4, v6
	v_add_u32_e32 v6, 0x3f0, v64
	v_add_u32_e32 v198, 0, v64
	s_mov_b64 s[10:11], 0
.LBB62_309:                             ; =>This Inner Loop Header: Depth=1
	scratch_load_dwordx4 v[200:203], v198, off
	ds_read_b128 v[204:207], v6
	v_add_u32_e32 v7, -1, v7
	v_cmp_eq_u32_e32 vcc, 0, v7
	v_add_u32_e32 v6, 16, v6
	v_add_u32_e32 v198, 16, v198
	s_or_b64 s[10:11], vcc, s[10:11]
	s_waitcnt vmcnt(0) lgkmcnt(0)
	v_mul_f64 v[64:65], v[206:207], v[202:203]
	v_mul_f64 v[202:203], v[204:205], v[202:203]
	v_fma_f64 v[64:65], v[204:205], v[200:201], -v[64:65]
	v_fmac_f64_e32 v[202:203], v[206:207], v[200:201]
	v_add_f64 v[2:3], v[2:3], v[64:65]
	v_add_f64 v[4:5], v[4:5], v[202:203]
	s_andn2_b64 exec, exec, s[10:11]
	s_cbranch_execnz .LBB62_309
; %bb.310:
	s_or_b64 exec, exec, s[10:11]
.LBB62_311:
	s_or_b64 exec, exec, s[0:1]
.LBB62_312:
	s_or_b64 exec, exec, s[8:9]
	v_mov_b32_e32 v6, 0
	ds_read_b128 v[198:201], v6 offset:624
	s_waitcnt lgkmcnt(0)
	v_mul_f64 v[6:7], v[4:5], v[200:201]
	v_mul_f64 v[202:203], v[2:3], v[200:201]
	v_fma_f64 v[200:201], v[2:3], v[198:199], -v[6:7]
	v_fmac_f64_e32 v[202:203], v[4:5], v[198:199]
	scratch_store_dwordx4 off, v[200:203], off offset:624
.LBB62_313:
	s_or_b64 exec, exec, s[4:5]
	scratch_load_dwordx4 v[2:5], v160, off
	v_cmp_lt_u32_e64 s[0:1], 38, v0
	s_waitcnt vmcnt(0)
	ds_write_b128 v9, v[2:5]
	s_waitcnt lgkmcnt(0)
	; wave barrier
	s_waitcnt lgkmcnt(0)
	s_and_saveexec_b64 s[4:5], s[0:1]
	s_cbranch_execz .LBB62_327
; %bb.314:
	ds_read_b128 v[2:5], v9
	s_andn2_b64 vcc, exec, s[6:7]
	s_cbranch_vccnz .LBB62_316
; %bb.315:
	scratch_load_dwordx4 v[198:201], v8, off
	s_waitcnt vmcnt(0) lgkmcnt(0)
	v_mul_f64 v[64:65], v[2:3], v[200:201]
	v_mul_f64 v[6:7], v[4:5], v[200:201]
	v_fmac_f64_e32 v[64:65], v[4:5], v[198:199]
	v_fma_f64 v[2:3], v[2:3], v[198:199], -v[6:7]
	v_mov_b64_e32 v[4:5], v[64:65]
.LBB62_316:
	s_and_saveexec_b64 s[8:9], s[2:3]
	s_cbranch_execz .LBB62_326
; %bb.317:
	v_subrev_u32_e32 v7, 40, v0
	v_subrev_u32_e32 v6, 39, v0
	v_cmp_lt_u32_e32 vcc, 6, v7
	v_mov_b32_e32 v199, 39
	s_and_saveexec_b64 s[2:3], vcc
	s_cbranch_execz .LBB62_321
; %bb.318:
	v_and_b32_e32 v7, -8, v6
	s_mov_b32 s12, 0
	s_mov_b64 s[10:11], 0
	v_mov_b32_e32 v198, 0
	s_mov_b32 s13, 0
.LBB62_319:                             ; =>This Inner Loop Header: Depth=1
	v_readfirstlane_b32 s14, v198
	s_add_i32 s14, s14, s12
	s_add_i32 s15, s14, 0x270
	v_mov_b32_e32 v199, s12
	ds_read_b128 v[200:203], v199 offset:1632
	ds_read_b128 v[204:207], v199 offset:1648
	;; [unrolled: 1-line block ×4, first 2 shown]
	scratch_load_dwordx4 v[216:219], off, s15
	s_add_i32 s15, s14, 0x280
	s_addk_i32 s12, 0x80
	s_waitcnt vmcnt(0) lgkmcnt(3)
	v_mul_f64 v[64:65], v[202:203], v[218:219]
	v_fma_f64 v[64:65], v[200:201], v[216:217], -v[64:65]
	v_mul_f64 v[200:201], v[200:201], v[218:219]
	v_fmac_f64_e32 v[200:201], v[202:203], v[216:217]
	v_add_f64 v[64:65], v[2:3], v[64:65]
	v_add_f64 v[200:201], v[4:5], v[200:201]
	scratch_load_dwordx4 v[2:5], off, s15
	s_add_i32 s15, s14, 0x290
	s_waitcnt vmcnt(0) lgkmcnt(2)
	v_mul_f64 v[202:203], v[206:207], v[4:5]
	v_mul_f64 v[4:5], v[204:205], v[4:5]
	v_fmac_f64_e32 v[4:5], v[206:207], v[2:3]
	v_fma_f64 v[202:203], v[204:205], v[2:3], -v[202:203]
	v_add_f64 v[200:201], v[200:201], v[4:5]
	scratch_load_dwordx4 v[2:5], off, s15
	v_add_f64 v[64:65], v[64:65], v[202:203]
	s_add_i32 s15, s14, 0x2a0
	s_waitcnt vmcnt(0) lgkmcnt(1)
	v_mul_f64 v[202:203], v[210:211], v[4:5]
	v_mul_f64 v[4:5], v[208:209], v[4:5]
	v_fmac_f64_e32 v[4:5], v[210:211], v[2:3]
	v_fma_f64 v[202:203], v[208:209], v[2:3], -v[202:203]
	v_add_f64 v[200:201], v[200:201], v[4:5]
	scratch_load_dwordx4 v[2:5], off, s15
	v_add_f64 v[64:65], v[64:65], v[202:203]
	s_add_i32 s15, s14, 0x2b0
	s_waitcnt vmcnt(0) lgkmcnt(0)
	v_mul_f64 v[202:203], v[214:215], v[4:5]
	v_mul_f64 v[4:5], v[212:213], v[4:5]
	v_fma_f64 v[202:203], v[212:213], v[2:3], -v[202:203]
	v_fmac_f64_e32 v[4:5], v[214:215], v[2:3]
	v_add_f64 v[64:65], v[64:65], v[202:203]
	v_add_f64 v[204:205], v[200:201], v[4:5]
	scratch_load_dwordx4 v[200:203], off, s15
	ds_read_b128 v[2:5], v199 offset:1696
	s_add_i32 s15, s14, 0x2c0
	s_waitcnt vmcnt(0) lgkmcnt(0)
	v_mul_f64 v[206:207], v[4:5], v[202:203]
	v_fma_f64 v[206:207], v[2:3], v[200:201], -v[206:207]
	v_mul_f64 v[2:3], v[2:3], v[202:203]
	v_fmac_f64_e32 v[2:3], v[4:5], v[200:201]
	scratch_load_dwordx4 v[200:203], off, s15
	v_add_f64 v[204:205], v[204:205], v[2:3]
	ds_read_b128 v[2:5], v199 offset:1712
	v_add_f64 v[64:65], v[64:65], v[206:207]
	s_add_i32 s15, s14, 0x2d0
	s_addk_i32 s14, 0x2e0
	s_waitcnt vmcnt(0) lgkmcnt(0)
	v_mul_f64 v[206:207], v[4:5], v[202:203]
	v_fma_f64 v[206:207], v[2:3], v[200:201], -v[206:207]
	v_mul_f64 v[2:3], v[2:3], v[202:203]
	v_fmac_f64_e32 v[2:3], v[4:5], v[200:201]
	scratch_load_dwordx4 v[200:203], off, s15
	v_add_f64 v[204:205], v[204:205], v[2:3]
	ds_read_b128 v[2:5], v199 offset:1728
	v_add_f64 v[64:65], v[64:65], v[206:207]
	s_waitcnt vmcnt(0) lgkmcnt(0)
	v_mul_f64 v[206:207], v[4:5], v[202:203]
	v_fma_f64 v[206:207], v[2:3], v[200:201], -v[206:207]
	v_mul_f64 v[2:3], v[2:3], v[202:203]
	v_fmac_f64_e32 v[2:3], v[4:5], v[200:201]
	scratch_load_dwordx4 v[200:203], off, s14
	v_add_f64 v[204:205], v[204:205], v[2:3]
	ds_read_b128 v[2:5], v199 offset:1744
	v_add_f64 v[64:65], v[64:65], v[206:207]
	s_add_i32 s14, s13, 8
	v_cmp_eq_u32_e32 vcc, s14, v7
	s_add_i32 s13, s13, 47
	s_or_b64 s[10:11], vcc, s[10:11]
	v_mov_b32_e32 v199, s13
	s_mov_b32 s13, s14
	s_waitcnt vmcnt(0) lgkmcnt(0)
	v_mul_f64 v[206:207], v[4:5], v[202:203]
	v_mul_f64 v[202:203], v[2:3], v[202:203]
	v_fma_f64 v[206:207], v[2:3], v[200:201], -v[206:207]
	v_fmac_f64_e32 v[202:203], v[4:5], v[200:201]
	v_add_f64 v[2:3], v[64:65], v[206:207]
	v_add_f64 v[4:5], v[204:205], v[202:203]
	s_andn2_b64 exec, exec, s[10:11]
	s_cbranch_execnz .LBB62_319
; %bb.320:
	s_or_b64 exec, exec, s[10:11]
.LBB62_321:
	s_or_b64 exec, exec, s[2:3]
	v_and_b32_e32 v6, 7, v6
	v_cmp_ne_u32_e32 vcc, 0, v6
	s_and_saveexec_b64 s[2:3], vcc
	s_cbranch_execz .LBB62_325
; %bb.322:
	v_lshlrev_b32_e32 v64, 4, v199
	v_add_u32_e32 v7, 0x3f0, v64
	v_add_u32_e32 v198, 0, v64
	s_mov_b64 s[10:11], 0
.LBB62_323:                             ; =>This Inner Loop Header: Depth=1
	scratch_load_dwordx4 v[200:203], v198, off
	ds_read_b128 v[204:207], v7
	v_add_u32_e32 v6, -1, v6
	v_cmp_eq_u32_e32 vcc, 0, v6
	v_add_u32_e32 v7, 16, v7
	v_add_u32_e32 v198, 16, v198
	s_or_b64 s[10:11], vcc, s[10:11]
	s_waitcnt vmcnt(0) lgkmcnt(0)
	v_mul_f64 v[64:65], v[206:207], v[202:203]
	v_mul_f64 v[202:203], v[204:205], v[202:203]
	v_fma_f64 v[64:65], v[204:205], v[200:201], -v[64:65]
	v_fmac_f64_e32 v[202:203], v[206:207], v[200:201]
	v_add_f64 v[2:3], v[2:3], v[64:65]
	v_add_f64 v[4:5], v[4:5], v[202:203]
	s_andn2_b64 exec, exec, s[10:11]
	s_cbranch_execnz .LBB62_323
; %bb.324:
	s_or_b64 exec, exec, s[10:11]
.LBB62_325:
	s_or_b64 exec, exec, s[2:3]
.LBB62_326:
	s_or_b64 exec, exec, s[8:9]
	v_mov_b32_e32 v6, 0
	ds_read_b128 v[198:201], v6 offset:608
	s_waitcnt lgkmcnt(0)
	v_mul_f64 v[6:7], v[4:5], v[200:201]
	v_mul_f64 v[202:203], v[2:3], v[200:201]
	v_fma_f64 v[200:201], v[2:3], v[198:199], -v[6:7]
	v_fmac_f64_e32 v[202:203], v[4:5], v[198:199]
	scratch_store_dwordx4 off, v[200:203], off offset:608
.LBB62_327:
	s_or_b64 exec, exec, s[4:5]
	scratch_load_dwordx4 v[2:5], v161, off
	v_cmp_lt_u32_e64 s[2:3], 37, v0
	s_waitcnt vmcnt(0)
	ds_write_b128 v9, v[2:5]
	s_waitcnt lgkmcnt(0)
	; wave barrier
	s_waitcnt lgkmcnt(0)
	s_and_saveexec_b64 s[4:5], s[2:3]
	s_cbranch_execz .LBB62_341
; %bb.328:
	ds_read_b128 v[2:5], v9
	s_andn2_b64 vcc, exec, s[6:7]
	s_cbranch_vccnz .LBB62_330
; %bb.329:
	scratch_load_dwordx4 v[198:201], v8, off
	s_waitcnt vmcnt(0) lgkmcnt(0)
	v_mul_f64 v[64:65], v[2:3], v[200:201]
	v_mul_f64 v[6:7], v[4:5], v[200:201]
	v_fmac_f64_e32 v[64:65], v[4:5], v[198:199]
	v_fma_f64 v[2:3], v[2:3], v[198:199], -v[6:7]
	v_mov_b64_e32 v[4:5], v[64:65]
.LBB62_330:
	s_and_saveexec_b64 s[8:9], s[0:1]
	s_cbranch_execz .LBB62_340
; %bb.331:
	v_subrev_u32_e32 v7, 39, v0
	v_subrev_u32_e32 v6, 38, v0
	v_cmp_lt_u32_e32 vcc, 6, v7
	v_mov_b32_e32 v199, 38
	s_and_saveexec_b64 s[0:1], vcc
	s_cbranch_execz .LBB62_335
; %bb.332:
	v_and_b32_e32 v7, -8, v6
	s_mov_b32 s12, 0
	s_mov_b64 s[10:11], 0
	v_mov_b32_e32 v198, 0
	s_mov_b32 s13, 0
.LBB62_333:                             ; =>This Inner Loop Header: Depth=1
	v_readfirstlane_b32 s14, v198
	s_add_i32 s14, s14, s12
	s_add_i32 s15, s14, 0x260
	v_mov_b32_e32 v199, s12
	ds_read_b128 v[200:203], v199 offset:1616
	ds_read_b128 v[204:207], v199 offset:1632
	ds_read_b128 v[208:211], v199 offset:1648
	ds_read_b128 v[212:215], v199 offset:1664
	scratch_load_dwordx4 v[216:219], off, s15
	s_add_i32 s15, s14, 0x270
	s_addk_i32 s12, 0x80
	s_waitcnt vmcnt(0) lgkmcnt(3)
	v_mul_f64 v[64:65], v[202:203], v[218:219]
	v_fma_f64 v[64:65], v[200:201], v[216:217], -v[64:65]
	v_mul_f64 v[200:201], v[200:201], v[218:219]
	v_fmac_f64_e32 v[200:201], v[202:203], v[216:217]
	v_add_f64 v[64:65], v[2:3], v[64:65]
	v_add_f64 v[200:201], v[4:5], v[200:201]
	scratch_load_dwordx4 v[2:5], off, s15
	s_add_i32 s15, s14, 0x280
	s_waitcnt vmcnt(0) lgkmcnt(2)
	v_mul_f64 v[202:203], v[206:207], v[4:5]
	v_mul_f64 v[4:5], v[204:205], v[4:5]
	v_fmac_f64_e32 v[4:5], v[206:207], v[2:3]
	v_fma_f64 v[202:203], v[204:205], v[2:3], -v[202:203]
	v_add_f64 v[200:201], v[200:201], v[4:5]
	scratch_load_dwordx4 v[2:5], off, s15
	v_add_f64 v[64:65], v[64:65], v[202:203]
	s_add_i32 s15, s14, 0x290
	s_waitcnt vmcnt(0) lgkmcnt(1)
	v_mul_f64 v[202:203], v[210:211], v[4:5]
	v_mul_f64 v[4:5], v[208:209], v[4:5]
	v_fmac_f64_e32 v[4:5], v[210:211], v[2:3]
	v_fma_f64 v[202:203], v[208:209], v[2:3], -v[202:203]
	v_add_f64 v[200:201], v[200:201], v[4:5]
	scratch_load_dwordx4 v[2:5], off, s15
	v_add_f64 v[64:65], v[64:65], v[202:203]
	s_add_i32 s15, s14, 0x2a0
	s_waitcnt vmcnt(0) lgkmcnt(0)
	v_mul_f64 v[202:203], v[214:215], v[4:5]
	v_mul_f64 v[4:5], v[212:213], v[4:5]
	v_fma_f64 v[202:203], v[212:213], v[2:3], -v[202:203]
	v_fmac_f64_e32 v[4:5], v[214:215], v[2:3]
	v_add_f64 v[64:65], v[64:65], v[202:203]
	v_add_f64 v[204:205], v[200:201], v[4:5]
	scratch_load_dwordx4 v[200:203], off, s15
	ds_read_b128 v[2:5], v199 offset:1680
	s_add_i32 s15, s14, 0x2b0
	s_waitcnt vmcnt(0) lgkmcnt(0)
	v_mul_f64 v[206:207], v[4:5], v[202:203]
	v_fma_f64 v[206:207], v[2:3], v[200:201], -v[206:207]
	v_mul_f64 v[2:3], v[2:3], v[202:203]
	v_fmac_f64_e32 v[2:3], v[4:5], v[200:201]
	scratch_load_dwordx4 v[200:203], off, s15
	v_add_f64 v[204:205], v[204:205], v[2:3]
	ds_read_b128 v[2:5], v199 offset:1696
	v_add_f64 v[64:65], v[64:65], v[206:207]
	s_add_i32 s15, s14, 0x2c0
	s_addk_i32 s14, 0x2d0
	s_waitcnt vmcnt(0) lgkmcnt(0)
	v_mul_f64 v[206:207], v[4:5], v[202:203]
	v_fma_f64 v[206:207], v[2:3], v[200:201], -v[206:207]
	v_mul_f64 v[2:3], v[2:3], v[202:203]
	v_fmac_f64_e32 v[2:3], v[4:5], v[200:201]
	scratch_load_dwordx4 v[200:203], off, s15
	v_add_f64 v[204:205], v[204:205], v[2:3]
	ds_read_b128 v[2:5], v199 offset:1712
	v_add_f64 v[64:65], v[64:65], v[206:207]
	s_waitcnt vmcnt(0) lgkmcnt(0)
	v_mul_f64 v[206:207], v[4:5], v[202:203]
	v_fma_f64 v[206:207], v[2:3], v[200:201], -v[206:207]
	v_mul_f64 v[2:3], v[2:3], v[202:203]
	v_fmac_f64_e32 v[2:3], v[4:5], v[200:201]
	scratch_load_dwordx4 v[200:203], off, s14
	v_add_f64 v[204:205], v[204:205], v[2:3]
	ds_read_b128 v[2:5], v199 offset:1728
	v_add_f64 v[64:65], v[64:65], v[206:207]
	s_add_i32 s14, s13, 8
	v_cmp_eq_u32_e32 vcc, s14, v7
	s_add_i32 s13, s13, 46
	s_or_b64 s[10:11], vcc, s[10:11]
	v_mov_b32_e32 v199, s13
	s_mov_b32 s13, s14
	s_waitcnt vmcnt(0) lgkmcnt(0)
	v_mul_f64 v[206:207], v[4:5], v[202:203]
	v_mul_f64 v[202:203], v[2:3], v[202:203]
	v_fma_f64 v[206:207], v[2:3], v[200:201], -v[206:207]
	v_fmac_f64_e32 v[202:203], v[4:5], v[200:201]
	v_add_f64 v[2:3], v[64:65], v[206:207]
	v_add_f64 v[4:5], v[204:205], v[202:203]
	s_andn2_b64 exec, exec, s[10:11]
	s_cbranch_execnz .LBB62_333
; %bb.334:
	s_or_b64 exec, exec, s[10:11]
.LBB62_335:
	s_or_b64 exec, exec, s[0:1]
	v_and_b32_e32 v6, 7, v6
	v_cmp_ne_u32_e32 vcc, 0, v6
	s_and_saveexec_b64 s[0:1], vcc
	s_cbranch_execz .LBB62_339
; %bb.336:
	v_lshlrev_b32_e32 v64, 4, v199
	v_add_u32_e32 v7, 0x3f0, v64
	v_add_u32_e32 v198, 0, v64
	s_mov_b64 s[10:11], 0
.LBB62_337:                             ; =>This Inner Loop Header: Depth=1
	scratch_load_dwordx4 v[200:203], v198, off
	ds_read_b128 v[204:207], v7
	v_add_u32_e32 v6, -1, v6
	v_cmp_eq_u32_e32 vcc, 0, v6
	v_add_u32_e32 v7, 16, v7
	v_add_u32_e32 v198, 16, v198
	s_or_b64 s[10:11], vcc, s[10:11]
	s_waitcnt vmcnt(0) lgkmcnt(0)
	v_mul_f64 v[64:65], v[206:207], v[202:203]
	v_mul_f64 v[202:203], v[204:205], v[202:203]
	v_fma_f64 v[64:65], v[204:205], v[200:201], -v[64:65]
	v_fmac_f64_e32 v[202:203], v[206:207], v[200:201]
	v_add_f64 v[2:3], v[2:3], v[64:65]
	v_add_f64 v[4:5], v[4:5], v[202:203]
	s_andn2_b64 exec, exec, s[10:11]
	s_cbranch_execnz .LBB62_337
; %bb.338:
	s_or_b64 exec, exec, s[10:11]
.LBB62_339:
	s_or_b64 exec, exec, s[0:1]
.LBB62_340:
	s_or_b64 exec, exec, s[8:9]
	v_mov_b32_e32 v6, 0
	ds_read_b128 v[198:201], v6 offset:592
	s_waitcnt lgkmcnt(0)
	v_mul_f64 v[6:7], v[4:5], v[200:201]
	v_mul_f64 v[202:203], v[2:3], v[200:201]
	v_fma_f64 v[200:201], v[2:3], v[198:199], -v[6:7]
	v_fmac_f64_e32 v[202:203], v[4:5], v[198:199]
	scratch_store_dwordx4 off, v[200:203], off offset:592
.LBB62_341:
	s_or_b64 exec, exec, s[4:5]
	scratch_load_dwordx4 v[2:5], v162, off
	v_cmp_lt_u32_e64 s[0:1], 36, v0
	s_waitcnt vmcnt(0)
	ds_write_b128 v9, v[2:5]
	s_waitcnt lgkmcnt(0)
	; wave barrier
	s_waitcnt lgkmcnt(0)
	s_and_saveexec_b64 s[4:5], s[0:1]
	s_cbranch_execz .LBB62_355
; %bb.342:
	ds_read_b128 v[2:5], v9
	s_andn2_b64 vcc, exec, s[6:7]
	s_cbranch_vccnz .LBB62_344
; %bb.343:
	scratch_load_dwordx4 v[198:201], v8, off
	s_waitcnt vmcnt(0) lgkmcnt(0)
	v_mul_f64 v[64:65], v[2:3], v[200:201]
	v_mul_f64 v[6:7], v[4:5], v[200:201]
	v_fmac_f64_e32 v[64:65], v[4:5], v[198:199]
	v_fma_f64 v[2:3], v[2:3], v[198:199], -v[6:7]
	v_mov_b64_e32 v[4:5], v[64:65]
.LBB62_344:
	s_and_saveexec_b64 s[8:9], s[2:3]
	s_cbranch_execz .LBB62_354
; %bb.345:
	v_subrev_u32_e32 v7, 38, v0
	v_subrev_u32_e32 v6, 37, v0
	v_cmp_lt_u32_e32 vcc, 6, v7
	v_mov_b32_e32 v199, 37
	s_and_saveexec_b64 s[2:3], vcc
	s_cbranch_execz .LBB62_349
; %bb.346:
	v_and_b32_e32 v7, -8, v6
	s_mov_b32 s12, 0
	s_mov_b64 s[10:11], 0
	v_mov_b32_e32 v198, 0
	s_mov_b32 s13, 0
.LBB62_347:                             ; =>This Inner Loop Header: Depth=1
	v_readfirstlane_b32 s14, v198
	s_add_i32 s14, s14, s12
	s_add_i32 s15, s14, 0x250
	v_mov_b32_e32 v199, s12
	ds_read_b128 v[200:203], v199 offset:1600
	ds_read_b128 v[204:207], v199 offset:1616
	;; [unrolled: 1-line block ×4, first 2 shown]
	scratch_load_dwordx4 v[216:219], off, s15
	s_add_i32 s15, s14, 0x260
	s_addk_i32 s12, 0x80
	s_waitcnt vmcnt(0) lgkmcnt(3)
	v_mul_f64 v[64:65], v[202:203], v[218:219]
	v_fma_f64 v[64:65], v[200:201], v[216:217], -v[64:65]
	v_mul_f64 v[200:201], v[200:201], v[218:219]
	v_fmac_f64_e32 v[200:201], v[202:203], v[216:217]
	v_add_f64 v[64:65], v[2:3], v[64:65]
	v_add_f64 v[200:201], v[4:5], v[200:201]
	scratch_load_dwordx4 v[2:5], off, s15
	s_add_i32 s15, s14, 0x270
	s_waitcnt vmcnt(0) lgkmcnt(2)
	v_mul_f64 v[202:203], v[206:207], v[4:5]
	v_mul_f64 v[4:5], v[204:205], v[4:5]
	v_fmac_f64_e32 v[4:5], v[206:207], v[2:3]
	v_fma_f64 v[202:203], v[204:205], v[2:3], -v[202:203]
	v_add_f64 v[200:201], v[200:201], v[4:5]
	scratch_load_dwordx4 v[2:5], off, s15
	v_add_f64 v[64:65], v[64:65], v[202:203]
	s_add_i32 s15, s14, 0x280
	s_waitcnt vmcnt(0) lgkmcnt(1)
	v_mul_f64 v[202:203], v[210:211], v[4:5]
	v_mul_f64 v[4:5], v[208:209], v[4:5]
	v_fmac_f64_e32 v[4:5], v[210:211], v[2:3]
	v_fma_f64 v[202:203], v[208:209], v[2:3], -v[202:203]
	v_add_f64 v[200:201], v[200:201], v[4:5]
	scratch_load_dwordx4 v[2:5], off, s15
	v_add_f64 v[64:65], v[64:65], v[202:203]
	s_add_i32 s15, s14, 0x290
	s_waitcnt vmcnt(0) lgkmcnt(0)
	v_mul_f64 v[202:203], v[214:215], v[4:5]
	v_mul_f64 v[4:5], v[212:213], v[4:5]
	v_fma_f64 v[202:203], v[212:213], v[2:3], -v[202:203]
	v_fmac_f64_e32 v[4:5], v[214:215], v[2:3]
	v_add_f64 v[64:65], v[64:65], v[202:203]
	v_add_f64 v[204:205], v[200:201], v[4:5]
	scratch_load_dwordx4 v[200:203], off, s15
	ds_read_b128 v[2:5], v199 offset:1664
	s_add_i32 s15, s14, 0x2a0
	s_waitcnt vmcnt(0) lgkmcnt(0)
	v_mul_f64 v[206:207], v[4:5], v[202:203]
	v_fma_f64 v[206:207], v[2:3], v[200:201], -v[206:207]
	v_mul_f64 v[2:3], v[2:3], v[202:203]
	v_fmac_f64_e32 v[2:3], v[4:5], v[200:201]
	scratch_load_dwordx4 v[200:203], off, s15
	v_add_f64 v[204:205], v[204:205], v[2:3]
	ds_read_b128 v[2:5], v199 offset:1680
	v_add_f64 v[64:65], v[64:65], v[206:207]
	s_add_i32 s15, s14, 0x2b0
	s_addk_i32 s14, 0x2c0
	s_waitcnt vmcnt(0) lgkmcnt(0)
	v_mul_f64 v[206:207], v[4:5], v[202:203]
	v_fma_f64 v[206:207], v[2:3], v[200:201], -v[206:207]
	v_mul_f64 v[2:3], v[2:3], v[202:203]
	v_fmac_f64_e32 v[2:3], v[4:5], v[200:201]
	scratch_load_dwordx4 v[200:203], off, s15
	v_add_f64 v[204:205], v[204:205], v[2:3]
	ds_read_b128 v[2:5], v199 offset:1696
	v_add_f64 v[64:65], v[64:65], v[206:207]
	s_waitcnt vmcnt(0) lgkmcnt(0)
	v_mul_f64 v[206:207], v[4:5], v[202:203]
	v_fma_f64 v[206:207], v[2:3], v[200:201], -v[206:207]
	v_mul_f64 v[2:3], v[2:3], v[202:203]
	v_fmac_f64_e32 v[2:3], v[4:5], v[200:201]
	scratch_load_dwordx4 v[200:203], off, s14
	v_add_f64 v[204:205], v[204:205], v[2:3]
	ds_read_b128 v[2:5], v199 offset:1712
	v_add_f64 v[64:65], v[64:65], v[206:207]
	s_add_i32 s14, s13, 8
	v_cmp_eq_u32_e32 vcc, s14, v7
	s_add_i32 s13, s13, 45
	s_or_b64 s[10:11], vcc, s[10:11]
	v_mov_b32_e32 v199, s13
	s_mov_b32 s13, s14
	s_waitcnt vmcnt(0) lgkmcnt(0)
	v_mul_f64 v[206:207], v[4:5], v[202:203]
	v_mul_f64 v[202:203], v[2:3], v[202:203]
	v_fma_f64 v[206:207], v[2:3], v[200:201], -v[206:207]
	v_fmac_f64_e32 v[202:203], v[4:5], v[200:201]
	v_add_f64 v[2:3], v[64:65], v[206:207]
	v_add_f64 v[4:5], v[204:205], v[202:203]
	s_andn2_b64 exec, exec, s[10:11]
	s_cbranch_execnz .LBB62_347
; %bb.348:
	s_or_b64 exec, exec, s[10:11]
.LBB62_349:
	s_or_b64 exec, exec, s[2:3]
	v_and_b32_e32 v6, 7, v6
	v_cmp_ne_u32_e32 vcc, 0, v6
	s_and_saveexec_b64 s[2:3], vcc
	s_cbranch_execz .LBB62_353
; %bb.350:
	v_lshlrev_b32_e32 v64, 4, v199
	v_add_u32_e32 v7, 0x3f0, v64
	v_add_u32_e32 v198, 0, v64
	s_mov_b64 s[10:11], 0
.LBB62_351:                             ; =>This Inner Loop Header: Depth=1
	scratch_load_dwordx4 v[200:203], v198, off
	ds_read_b128 v[204:207], v7
	v_add_u32_e32 v6, -1, v6
	v_cmp_eq_u32_e32 vcc, 0, v6
	v_add_u32_e32 v7, 16, v7
	v_add_u32_e32 v198, 16, v198
	s_or_b64 s[10:11], vcc, s[10:11]
	s_waitcnt vmcnt(0) lgkmcnt(0)
	v_mul_f64 v[64:65], v[206:207], v[202:203]
	v_mul_f64 v[202:203], v[204:205], v[202:203]
	v_fma_f64 v[64:65], v[204:205], v[200:201], -v[64:65]
	v_fmac_f64_e32 v[202:203], v[206:207], v[200:201]
	v_add_f64 v[2:3], v[2:3], v[64:65]
	v_add_f64 v[4:5], v[4:5], v[202:203]
	s_andn2_b64 exec, exec, s[10:11]
	s_cbranch_execnz .LBB62_351
; %bb.352:
	s_or_b64 exec, exec, s[10:11]
.LBB62_353:
	s_or_b64 exec, exec, s[2:3]
.LBB62_354:
	s_or_b64 exec, exec, s[8:9]
	v_mov_b32_e32 v6, 0
	ds_read_b128 v[198:201], v6 offset:576
	s_waitcnt lgkmcnt(0)
	v_mul_f64 v[6:7], v[4:5], v[200:201]
	v_mul_f64 v[202:203], v[2:3], v[200:201]
	v_fma_f64 v[200:201], v[2:3], v[198:199], -v[6:7]
	v_fmac_f64_e32 v[202:203], v[4:5], v[198:199]
	scratch_store_dwordx4 off, v[200:203], off offset:576
.LBB62_355:
	s_or_b64 exec, exec, s[4:5]
	scratch_load_dwordx4 v[2:5], v163, off
	v_cmp_lt_u32_e64 s[2:3], 35, v0
	s_waitcnt vmcnt(0)
	ds_write_b128 v9, v[2:5]
	s_waitcnt lgkmcnt(0)
	; wave barrier
	s_waitcnt lgkmcnt(0)
	s_and_saveexec_b64 s[4:5], s[2:3]
	s_cbranch_execz .LBB62_369
; %bb.356:
	ds_read_b128 v[2:5], v9
	s_andn2_b64 vcc, exec, s[6:7]
	s_cbranch_vccnz .LBB62_358
; %bb.357:
	scratch_load_dwordx4 v[198:201], v8, off
	s_waitcnt vmcnt(0) lgkmcnt(0)
	v_mul_f64 v[64:65], v[2:3], v[200:201]
	v_mul_f64 v[6:7], v[4:5], v[200:201]
	v_fmac_f64_e32 v[64:65], v[4:5], v[198:199]
	v_fma_f64 v[2:3], v[2:3], v[198:199], -v[6:7]
	v_mov_b64_e32 v[4:5], v[64:65]
.LBB62_358:
	s_and_saveexec_b64 s[8:9], s[0:1]
	s_cbranch_execz .LBB62_368
; %bb.359:
	v_subrev_u32_e32 v7, 37, v0
	v_subrev_u32_e32 v6, 36, v0
	v_cmp_lt_u32_e32 vcc, 6, v7
	v_mov_b32_e32 v199, 36
	s_and_saveexec_b64 s[0:1], vcc
	s_cbranch_execz .LBB62_363
; %bb.360:
	v_and_b32_e32 v7, -8, v6
	s_mov_b32 s12, 0
	s_mov_b64 s[10:11], 0
	v_mov_b32_e32 v198, 0
	s_mov_b32 s13, 0
.LBB62_361:                             ; =>This Inner Loop Header: Depth=1
	v_readfirstlane_b32 s14, v198
	s_add_i32 s14, s14, s12
	s_add_i32 s15, s14, 0x240
	v_mov_b32_e32 v199, s12
	ds_read_b128 v[200:203], v199 offset:1584
	ds_read_b128 v[204:207], v199 offset:1600
	;; [unrolled: 1-line block ×4, first 2 shown]
	scratch_load_dwordx4 v[216:219], off, s15
	s_add_i32 s15, s14, 0x250
	s_addk_i32 s12, 0x80
	s_waitcnt vmcnt(0) lgkmcnt(3)
	v_mul_f64 v[64:65], v[202:203], v[218:219]
	v_fma_f64 v[64:65], v[200:201], v[216:217], -v[64:65]
	v_mul_f64 v[200:201], v[200:201], v[218:219]
	v_fmac_f64_e32 v[200:201], v[202:203], v[216:217]
	v_add_f64 v[64:65], v[2:3], v[64:65]
	v_add_f64 v[200:201], v[4:5], v[200:201]
	scratch_load_dwordx4 v[2:5], off, s15
	s_add_i32 s15, s14, 0x260
	s_waitcnt vmcnt(0) lgkmcnt(2)
	v_mul_f64 v[202:203], v[206:207], v[4:5]
	v_mul_f64 v[4:5], v[204:205], v[4:5]
	v_fmac_f64_e32 v[4:5], v[206:207], v[2:3]
	v_fma_f64 v[202:203], v[204:205], v[2:3], -v[202:203]
	v_add_f64 v[200:201], v[200:201], v[4:5]
	scratch_load_dwordx4 v[2:5], off, s15
	v_add_f64 v[64:65], v[64:65], v[202:203]
	s_add_i32 s15, s14, 0x270
	s_waitcnt vmcnt(0) lgkmcnt(1)
	v_mul_f64 v[202:203], v[210:211], v[4:5]
	v_mul_f64 v[4:5], v[208:209], v[4:5]
	v_fmac_f64_e32 v[4:5], v[210:211], v[2:3]
	v_fma_f64 v[202:203], v[208:209], v[2:3], -v[202:203]
	v_add_f64 v[200:201], v[200:201], v[4:5]
	scratch_load_dwordx4 v[2:5], off, s15
	v_add_f64 v[64:65], v[64:65], v[202:203]
	s_add_i32 s15, s14, 0x280
	s_waitcnt vmcnt(0) lgkmcnt(0)
	v_mul_f64 v[202:203], v[214:215], v[4:5]
	v_mul_f64 v[4:5], v[212:213], v[4:5]
	v_fma_f64 v[202:203], v[212:213], v[2:3], -v[202:203]
	v_fmac_f64_e32 v[4:5], v[214:215], v[2:3]
	v_add_f64 v[64:65], v[64:65], v[202:203]
	v_add_f64 v[204:205], v[200:201], v[4:5]
	scratch_load_dwordx4 v[200:203], off, s15
	ds_read_b128 v[2:5], v199 offset:1648
	s_add_i32 s15, s14, 0x290
	s_waitcnt vmcnt(0) lgkmcnt(0)
	v_mul_f64 v[206:207], v[4:5], v[202:203]
	v_fma_f64 v[206:207], v[2:3], v[200:201], -v[206:207]
	v_mul_f64 v[2:3], v[2:3], v[202:203]
	v_fmac_f64_e32 v[2:3], v[4:5], v[200:201]
	scratch_load_dwordx4 v[200:203], off, s15
	v_add_f64 v[204:205], v[204:205], v[2:3]
	ds_read_b128 v[2:5], v199 offset:1664
	v_add_f64 v[64:65], v[64:65], v[206:207]
	s_add_i32 s15, s14, 0x2a0
	s_addk_i32 s14, 0x2b0
	s_waitcnt vmcnt(0) lgkmcnt(0)
	v_mul_f64 v[206:207], v[4:5], v[202:203]
	v_fma_f64 v[206:207], v[2:3], v[200:201], -v[206:207]
	v_mul_f64 v[2:3], v[2:3], v[202:203]
	v_fmac_f64_e32 v[2:3], v[4:5], v[200:201]
	scratch_load_dwordx4 v[200:203], off, s15
	v_add_f64 v[204:205], v[204:205], v[2:3]
	ds_read_b128 v[2:5], v199 offset:1680
	v_add_f64 v[64:65], v[64:65], v[206:207]
	s_waitcnt vmcnt(0) lgkmcnt(0)
	v_mul_f64 v[206:207], v[4:5], v[202:203]
	v_fma_f64 v[206:207], v[2:3], v[200:201], -v[206:207]
	v_mul_f64 v[2:3], v[2:3], v[202:203]
	v_fmac_f64_e32 v[2:3], v[4:5], v[200:201]
	scratch_load_dwordx4 v[200:203], off, s14
	v_add_f64 v[204:205], v[204:205], v[2:3]
	ds_read_b128 v[2:5], v199 offset:1696
	v_add_f64 v[64:65], v[64:65], v[206:207]
	s_add_i32 s14, s13, 8
	v_cmp_eq_u32_e32 vcc, s14, v7
	s_add_i32 s13, s13, 44
	s_or_b64 s[10:11], vcc, s[10:11]
	v_mov_b32_e32 v199, s13
	s_mov_b32 s13, s14
	s_waitcnt vmcnt(0) lgkmcnt(0)
	v_mul_f64 v[206:207], v[4:5], v[202:203]
	v_mul_f64 v[202:203], v[2:3], v[202:203]
	v_fma_f64 v[206:207], v[2:3], v[200:201], -v[206:207]
	v_fmac_f64_e32 v[202:203], v[4:5], v[200:201]
	v_add_f64 v[2:3], v[64:65], v[206:207]
	v_add_f64 v[4:5], v[204:205], v[202:203]
	s_andn2_b64 exec, exec, s[10:11]
	s_cbranch_execnz .LBB62_361
; %bb.362:
	s_or_b64 exec, exec, s[10:11]
.LBB62_363:
	s_or_b64 exec, exec, s[0:1]
	v_and_b32_e32 v6, 7, v6
	v_cmp_ne_u32_e32 vcc, 0, v6
	s_and_saveexec_b64 s[0:1], vcc
	s_cbranch_execz .LBB62_367
; %bb.364:
	v_lshlrev_b32_e32 v64, 4, v199
	v_add_u32_e32 v7, 0x3f0, v64
	v_add_u32_e32 v198, 0, v64
	s_mov_b64 s[10:11], 0
.LBB62_365:                             ; =>This Inner Loop Header: Depth=1
	scratch_load_dwordx4 v[200:203], v198, off
	ds_read_b128 v[204:207], v7
	v_add_u32_e32 v6, -1, v6
	v_cmp_eq_u32_e32 vcc, 0, v6
	v_add_u32_e32 v7, 16, v7
	v_add_u32_e32 v198, 16, v198
	s_or_b64 s[10:11], vcc, s[10:11]
	s_waitcnt vmcnt(0) lgkmcnt(0)
	v_mul_f64 v[64:65], v[206:207], v[202:203]
	v_mul_f64 v[202:203], v[204:205], v[202:203]
	v_fma_f64 v[64:65], v[204:205], v[200:201], -v[64:65]
	v_fmac_f64_e32 v[202:203], v[206:207], v[200:201]
	v_add_f64 v[2:3], v[2:3], v[64:65]
	v_add_f64 v[4:5], v[4:5], v[202:203]
	s_andn2_b64 exec, exec, s[10:11]
	s_cbranch_execnz .LBB62_365
; %bb.366:
	s_or_b64 exec, exec, s[10:11]
.LBB62_367:
	s_or_b64 exec, exec, s[0:1]
.LBB62_368:
	s_or_b64 exec, exec, s[8:9]
	v_mov_b32_e32 v6, 0
	ds_read_b128 v[198:201], v6 offset:560
	s_waitcnt lgkmcnt(0)
	v_mul_f64 v[6:7], v[4:5], v[200:201]
	v_mul_f64 v[202:203], v[2:3], v[200:201]
	v_fma_f64 v[200:201], v[2:3], v[198:199], -v[6:7]
	v_fmac_f64_e32 v[202:203], v[4:5], v[198:199]
	scratch_store_dwordx4 off, v[200:203], off offset:560
.LBB62_369:
	s_or_b64 exec, exec, s[4:5]
	scratch_load_dwordx4 v[2:5], v164, off
	v_cmp_lt_u32_e64 s[0:1], 34, v0
	s_waitcnt vmcnt(0)
	ds_write_b128 v9, v[2:5]
	s_waitcnt lgkmcnt(0)
	; wave barrier
	s_waitcnt lgkmcnt(0)
	s_and_saveexec_b64 s[4:5], s[0:1]
	s_cbranch_execz .LBB62_383
; %bb.370:
	ds_read_b128 v[2:5], v9
	s_andn2_b64 vcc, exec, s[6:7]
	s_cbranch_vccnz .LBB62_372
; %bb.371:
	scratch_load_dwordx4 v[198:201], v8, off
	s_waitcnt vmcnt(0) lgkmcnt(0)
	v_mul_f64 v[64:65], v[2:3], v[200:201]
	v_mul_f64 v[6:7], v[4:5], v[200:201]
	v_fmac_f64_e32 v[64:65], v[4:5], v[198:199]
	v_fma_f64 v[2:3], v[2:3], v[198:199], -v[6:7]
	v_mov_b64_e32 v[4:5], v[64:65]
.LBB62_372:
	s_and_saveexec_b64 s[8:9], s[2:3]
	s_cbranch_execz .LBB62_382
; %bb.373:
	v_subrev_u32_e32 v7, 36, v0
	v_subrev_u32_e32 v6, 35, v0
	v_cmp_lt_u32_e32 vcc, 6, v7
	v_mov_b32_e32 v199, 35
	s_and_saveexec_b64 s[2:3], vcc
	s_cbranch_execz .LBB62_377
; %bb.374:
	v_and_b32_e32 v7, -8, v6
	s_mov_b32 s12, 0
	s_mov_b64 s[10:11], 0
	v_mov_b32_e32 v198, 0
	s_mov_b32 s13, 0
.LBB62_375:                             ; =>This Inner Loop Header: Depth=1
	v_readfirstlane_b32 s14, v198
	s_add_i32 s14, s14, s12
	s_add_i32 s15, s14, 0x230
	v_mov_b32_e32 v199, s12
	ds_read_b128 v[200:203], v199 offset:1568
	ds_read_b128 v[204:207], v199 offset:1584
	;; [unrolled: 1-line block ×4, first 2 shown]
	scratch_load_dwordx4 v[216:219], off, s15
	s_add_i32 s15, s14, 0x240
	s_addk_i32 s12, 0x80
	s_waitcnt vmcnt(0) lgkmcnt(3)
	v_mul_f64 v[64:65], v[202:203], v[218:219]
	v_fma_f64 v[64:65], v[200:201], v[216:217], -v[64:65]
	v_mul_f64 v[200:201], v[200:201], v[218:219]
	v_fmac_f64_e32 v[200:201], v[202:203], v[216:217]
	v_add_f64 v[64:65], v[2:3], v[64:65]
	v_add_f64 v[200:201], v[4:5], v[200:201]
	scratch_load_dwordx4 v[2:5], off, s15
	s_add_i32 s15, s14, 0x250
	s_waitcnt vmcnt(0) lgkmcnt(2)
	v_mul_f64 v[202:203], v[206:207], v[4:5]
	v_mul_f64 v[4:5], v[204:205], v[4:5]
	v_fmac_f64_e32 v[4:5], v[206:207], v[2:3]
	v_fma_f64 v[202:203], v[204:205], v[2:3], -v[202:203]
	v_add_f64 v[200:201], v[200:201], v[4:5]
	scratch_load_dwordx4 v[2:5], off, s15
	v_add_f64 v[64:65], v[64:65], v[202:203]
	s_add_i32 s15, s14, 0x260
	s_waitcnt vmcnt(0) lgkmcnt(1)
	v_mul_f64 v[202:203], v[210:211], v[4:5]
	v_mul_f64 v[4:5], v[208:209], v[4:5]
	v_fmac_f64_e32 v[4:5], v[210:211], v[2:3]
	v_fma_f64 v[202:203], v[208:209], v[2:3], -v[202:203]
	v_add_f64 v[200:201], v[200:201], v[4:5]
	scratch_load_dwordx4 v[2:5], off, s15
	v_add_f64 v[64:65], v[64:65], v[202:203]
	s_add_i32 s15, s14, 0x270
	s_waitcnt vmcnt(0) lgkmcnt(0)
	v_mul_f64 v[202:203], v[214:215], v[4:5]
	v_mul_f64 v[4:5], v[212:213], v[4:5]
	v_fma_f64 v[202:203], v[212:213], v[2:3], -v[202:203]
	v_fmac_f64_e32 v[4:5], v[214:215], v[2:3]
	v_add_f64 v[64:65], v[64:65], v[202:203]
	v_add_f64 v[204:205], v[200:201], v[4:5]
	scratch_load_dwordx4 v[200:203], off, s15
	ds_read_b128 v[2:5], v199 offset:1632
	s_add_i32 s15, s14, 0x280
	s_waitcnt vmcnt(0) lgkmcnt(0)
	v_mul_f64 v[206:207], v[4:5], v[202:203]
	v_fma_f64 v[206:207], v[2:3], v[200:201], -v[206:207]
	v_mul_f64 v[2:3], v[2:3], v[202:203]
	v_fmac_f64_e32 v[2:3], v[4:5], v[200:201]
	scratch_load_dwordx4 v[200:203], off, s15
	v_add_f64 v[204:205], v[204:205], v[2:3]
	ds_read_b128 v[2:5], v199 offset:1648
	v_add_f64 v[64:65], v[64:65], v[206:207]
	s_add_i32 s15, s14, 0x290
	s_addk_i32 s14, 0x2a0
	s_waitcnt vmcnt(0) lgkmcnt(0)
	v_mul_f64 v[206:207], v[4:5], v[202:203]
	v_fma_f64 v[206:207], v[2:3], v[200:201], -v[206:207]
	v_mul_f64 v[2:3], v[2:3], v[202:203]
	v_fmac_f64_e32 v[2:3], v[4:5], v[200:201]
	scratch_load_dwordx4 v[200:203], off, s15
	v_add_f64 v[204:205], v[204:205], v[2:3]
	ds_read_b128 v[2:5], v199 offset:1664
	v_add_f64 v[64:65], v[64:65], v[206:207]
	s_waitcnt vmcnt(0) lgkmcnt(0)
	v_mul_f64 v[206:207], v[4:5], v[202:203]
	v_fma_f64 v[206:207], v[2:3], v[200:201], -v[206:207]
	v_mul_f64 v[2:3], v[2:3], v[202:203]
	v_fmac_f64_e32 v[2:3], v[4:5], v[200:201]
	scratch_load_dwordx4 v[200:203], off, s14
	v_add_f64 v[204:205], v[204:205], v[2:3]
	ds_read_b128 v[2:5], v199 offset:1680
	v_add_f64 v[64:65], v[64:65], v[206:207]
	s_add_i32 s14, s13, 8
	v_cmp_eq_u32_e32 vcc, s14, v7
	s_add_i32 s13, s13, 43
	s_or_b64 s[10:11], vcc, s[10:11]
	v_mov_b32_e32 v199, s13
	s_mov_b32 s13, s14
	s_waitcnt vmcnt(0) lgkmcnt(0)
	v_mul_f64 v[206:207], v[4:5], v[202:203]
	v_mul_f64 v[202:203], v[2:3], v[202:203]
	v_fma_f64 v[206:207], v[2:3], v[200:201], -v[206:207]
	v_fmac_f64_e32 v[202:203], v[4:5], v[200:201]
	v_add_f64 v[2:3], v[64:65], v[206:207]
	v_add_f64 v[4:5], v[204:205], v[202:203]
	s_andn2_b64 exec, exec, s[10:11]
	s_cbranch_execnz .LBB62_375
; %bb.376:
	s_or_b64 exec, exec, s[10:11]
.LBB62_377:
	s_or_b64 exec, exec, s[2:3]
	v_and_b32_e32 v6, 7, v6
	v_cmp_ne_u32_e32 vcc, 0, v6
	s_and_saveexec_b64 s[2:3], vcc
	s_cbranch_execz .LBB62_381
; %bb.378:
	v_lshlrev_b32_e32 v64, 4, v199
	v_add_u32_e32 v7, 0x3f0, v64
	v_add_u32_e32 v198, 0, v64
	s_mov_b64 s[10:11], 0
.LBB62_379:                             ; =>This Inner Loop Header: Depth=1
	scratch_load_dwordx4 v[200:203], v198, off
	ds_read_b128 v[204:207], v7
	v_add_u32_e32 v6, -1, v6
	v_cmp_eq_u32_e32 vcc, 0, v6
	v_add_u32_e32 v7, 16, v7
	v_add_u32_e32 v198, 16, v198
	s_or_b64 s[10:11], vcc, s[10:11]
	s_waitcnt vmcnt(0) lgkmcnt(0)
	v_mul_f64 v[64:65], v[206:207], v[202:203]
	v_mul_f64 v[202:203], v[204:205], v[202:203]
	v_fma_f64 v[64:65], v[204:205], v[200:201], -v[64:65]
	v_fmac_f64_e32 v[202:203], v[206:207], v[200:201]
	v_add_f64 v[2:3], v[2:3], v[64:65]
	v_add_f64 v[4:5], v[4:5], v[202:203]
	s_andn2_b64 exec, exec, s[10:11]
	s_cbranch_execnz .LBB62_379
; %bb.380:
	s_or_b64 exec, exec, s[10:11]
.LBB62_381:
	s_or_b64 exec, exec, s[2:3]
.LBB62_382:
	s_or_b64 exec, exec, s[8:9]
	v_mov_b32_e32 v6, 0
	ds_read_b128 v[198:201], v6 offset:544
	s_waitcnt lgkmcnt(0)
	v_mul_f64 v[6:7], v[4:5], v[200:201]
	v_mul_f64 v[202:203], v[2:3], v[200:201]
	v_fma_f64 v[200:201], v[2:3], v[198:199], -v[6:7]
	v_fmac_f64_e32 v[202:203], v[4:5], v[198:199]
	scratch_store_dwordx4 off, v[200:203], off offset:544
.LBB62_383:
	s_or_b64 exec, exec, s[4:5]
	scratch_load_dwordx4 v[2:5], v165, off
	v_cmp_lt_u32_e64 s[2:3], 33, v0
	s_waitcnt vmcnt(0)
	ds_write_b128 v9, v[2:5]
	s_waitcnt lgkmcnt(0)
	; wave barrier
	s_waitcnt lgkmcnt(0)
	s_and_saveexec_b64 s[4:5], s[2:3]
	s_cbranch_execz .LBB62_397
; %bb.384:
	ds_read_b128 v[2:5], v9
	s_andn2_b64 vcc, exec, s[6:7]
	s_cbranch_vccnz .LBB62_386
; %bb.385:
	scratch_load_dwordx4 v[198:201], v8, off
	s_waitcnt vmcnt(0) lgkmcnt(0)
	v_mul_f64 v[64:65], v[2:3], v[200:201]
	v_mul_f64 v[6:7], v[4:5], v[200:201]
	v_fmac_f64_e32 v[64:65], v[4:5], v[198:199]
	v_fma_f64 v[2:3], v[2:3], v[198:199], -v[6:7]
	v_mov_b64_e32 v[4:5], v[64:65]
.LBB62_386:
	s_and_saveexec_b64 s[8:9], s[0:1]
	s_cbranch_execz .LBB62_396
; %bb.387:
	v_subrev_u32_e32 v7, 35, v0
	v_subrev_u32_e32 v6, 34, v0
	v_cmp_lt_u32_e32 vcc, 6, v7
	v_mov_b32_e32 v199, 34
	s_and_saveexec_b64 s[0:1], vcc
	s_cbranch_execz .LBB62_391
; %bb.388:
	v_and_b32_e32 v7, -8, v6
	s_mov_b32 s12, 0
	s_mov_b64 s[10:11], 0
	v_mov_b32_e32 v198, 0
	s_mov_b32 s13, 0
.LBB62_389:                             ; =>This Inner Loop Header: Depth=1
	v_readfirstlane_b32 s14, v198
	s_add_i32 s14, s14, s12
	s_add_i32 s15, s14, 0x220
	v_mov_b32_e32 v199, s12
	ds_read_b128 v[200:203], v199 offset:1552
	ds_read_b128 v[204:207], v199 offset:1568
	;; [unrolled: 1-line block ×4, first 2 shown]
	scratch_load_dwordx4 v[216:219], off, s15
	s_add_i32 s15, s14, 0x230
	s_addk_i32 s12, 0x80
	s_waitcnt vmcnt(0) lgkmcnt(3)
	v_mul_f64 v[64:65], v[202:203], v[218:219]
	v_fma_f64 v[64:65], v[200:201], v[216:217], -v[64:65]
	v_mul_f64 v[200:201], v[200:201], v[218:219]
	v_fmac_f64_e32 v[200:201], v[202:203], v[216:217]
	v_add_f64 v[64:65], v[2:3], v[64:65]
	v_add_f64 v[200:201], v[4:5], v[200:201]
	scratch_load_dwordx4 v[2:5], off, s15
	s_add_i32 s15, s14, 0x240
	s_waitcnt vmcnt(0) lgkmcnt(2)
	v_mul_f64 v[202:203], v[206:207], v[4:5]
	v_mul_f64 v[4:5], v[204:205], v[4:5]
	v_fmac_f64_e32 v[4:5], v[206:207], v[2:3]
	v_fma_f64 v[202:203], v[204:205], v[2:3], -v[202:203]
	v_add_f64 v[200:201], v[200:201], v[4:5]
	scratch_load_dwordx4 v[2:5], off, s15
	v_add_f64 v[64:65], v[64:65], v[202:203]
	s_add_i32 s15, s14, 0x250
	s_waitcnt vmcnt(0) lgkmcnt(1)
	v_mul_f64 v[202:203], v[210:211], v[4:5]
	v_mul_f64 v[4:5], v[208:209], v[4:5]
	v_fmac_f64_e32 v[4:5], v[210:211], v[2:3]
	v_fma_f64 v[202:203], v[208:209], v[2:3], -v[202:203]
	v_add_f64 v[200:201], v[200:201], v[4:5]
	scratch_load_dwordx4 v[2:5], off, s15
	v_add_f64 v[64:65], v[64:65], v[202:203]
	s_add_i32 s15, s14, 0x260
	s_waitcnt vmcnt(0) lgkmcnt(0)
	v_mul_f64 v[202:203], v[214:215], v[4:5]
	v_mul_f64 v[4:5], v[212:213], v[4:5]
	v_fma_f64 v[202:203], v[212:213], v[2:3], -v[202:203]
	v_fmac_f64_e32 v[4:5], v[214:215], v[2:3]
	v_add_f64 v[64:65], v[64:65], v[202:203]
	v_add_f64 v[204:205], v[200:201], v[4:5]
	scratch_load_dwordx4 v[200:203], off, s15
	ds_read_b128 v[2:5], v199 offset:1616
	s_add_i32 s15, s14, 0x270
	s_waitcnt vmcnt(0) lgkmcnt(0)
	v_mul_f64 v[206:207], v[4:5], v[202:203]
	v_fma_f64 v[206:207], v[2:3], v[200:201], -v[206:207]
	v_mul_f64 v[2:3], v[2:3], v[202:203]
	v_fmac_f64_e32 v[2:3], v[4:5], v[200:201]
	scratch_load_dwordx4 v[200:203], off, s15
	v_add_f64 v[204:205], v[204:205], v[2:3]
	ds_read_b128 v[2:5], v199 offset:1632
	v_add_f64 v[64:65], v[64:65], v[206:207]
	s_add_i32 s15, s14, 0x280
	s_addk_i32 s14, 0x290
	s_waitcnt vmcnt(0) lgkmcnt(0)
	v_mul_f64 v[206:207], v[4:5], v[202:203]
	v_fma_f64 v[206:207], v[2:3], v[200:201], -v[206:207]
	v_mul_f64 v[2:3], v[2:3], v[202:203]
	v_fmac_f64_e32 v[2:3], v[4:5], v[200:201]
	scratch_load_dwordx4 v[200:203], off, s15
	v_add_f64 v[204:205], v[204:205], v[2:3]
	ds_read_b128 v[2:5], v199 offset:1648
	v_add_f64 v[64:65], v[64:65], v[206:207]
	s_waitcnt vmcnt(0) lgkmcnt(0)
	v_mul_f64 v[206:207], v[4:5], v[202:203]
	v_fma_f64 v[206:207], v[2:3], v[200:201], -v[206:207]
	v_mul_f64 v[2:3], v[2:3], v[202:203]
	v_fmac_f64_e32 v[2:3], v[4:5], v[200:201]
	scratch_load_dwordx4 v[200:203], off, s14
	v_add_f64 v[204:205], v[204:205], v[2:3]
	ds_read_b128 v[2:5], v199 offset:1664
	v_add_f64 v[64:65], v[64:65], v[206:207]
	s_add_i32 s14, s13, 8
	v_cmp_eq_u32_e32 vcc, s14, v7
	s_add_i32 s13, s13, 42
	s_or_b64 s[10:11], vcc, s[10:11]
	v_mov_b32_e32 v199, s13
	s_mov_b32 s13, s14
	s_waitcnt vmcnt(0) lgkmcnt(0)
	v_mul_f64 v[206:207], v[4:5], v[202:203]
	v_mul_f64 v[202:203], v[2:3], v[202:203]
	v_fma_f64 v[206:207], v[2:3], v[200:201], -v[206:207]
	v_fmac_f64_e32 v[202:203], v[4:5], v[200:201]
	v_add_f64 v[2:3], v[64:65], v[206:207]
	v_add_f64 v[4:5], v[204:205], v[202:203]
	s_andn2_b64 exec, exec, s[10:11]
	s_cbranch_execnz .LBB62_389
; %bb.390:
	s_or_b64 exec, exec, s[10:11]
.LBB62_391:
	s_or_b64 exec, exec, s[0:1]
	v_and_b32_e32 v6, 7, v6
	v_cmp_ne_u32_e32 vcc, 0, v6
	s_and_saveexec_b64 s[0:1], vcc
	s_cbranch_execz .LBB62_395
; %bb.392:
	v_lshlrev_b32_e32 v64, 4, v199
	v_add_u32_e32 v7, 0x3f0, v64
	v_add_u32_e32 v198, 0, v64
	s_mov_b64 s[10:11], 0
.LBB62_393:                             ; =>This Inner Loop Header: Depth=1
	scratch_load_dwordx4 v[200:203], v198, off
	ds_read_b128 v[204:207], v7
	v_add_u32_e32 v6, -1, v6
	v_cmp_eq_u32_e32 vcc, 0, v6
	v_add_u32_e32 v7, 16, v7
	v_add_u32_e32 v198, 16, v198
	s_or_b64 s[10:11], vcc, s[10:11]
	s_waitcnt vmcnt(0) lgkmcnt(0)
	v_mul_f64 v[64:65], v[206:207], v[202:203]
	v_mul_f64 v[202:203], v[204:205], v[202:203]
	v_fma_f64 v[64:65], v[204:205], v[200:201], -v[64:65]
	v_fmac_f64_e32 v[202:203], v[206:207], v[200:201]
	v_add_f64 v[2:3], v[2:3], v[64:65]
	v_add_f64 v[4:5], v[4:5], v[202:203]
	s_andn2_b64 exec, exec, s[10:11]
	s_cbranch_execnz .LBB62_393
; %bb.394:
	s_or_b64 exec, exec, s[10:11]
.LBB62_395:
	s_or_b64 exec, exec, s[0:1]
.LBB62_396:
	s_or_b64 exec, exec, s[8:9]
	v_mov_b32_e32 v6, 0
	ds_read_b128 v[198:201], v6 offset:528
	s_waitcnt lgkmcnt(0)
	v_mul_f64 v[6:7], v[4:5], v[200:201]
	v_mul_f64 v[202:203], v[2:3], v[200:201]
	v_fma_f64 v[200:201], v[2:3], v[198:199], -v[6:7]
	v_fmac_f64_e32 v[202:203], v[4:5], v[198:199]
	scratch_store_dwordx4 off, v[200:203], off offset:528
.LBB62_397:
	s_or_b64 exec, exec, s[4:5]
	scratch_load_dwordx4 v[2:5], v166, off
	v_cmp_lt_u32_e64 s[0:1], 32, v0
	s_waitcnt vmcnt(0)
	ds_write_b128 v9, v[2:5]
	s_waitcnt lgkmcnt(0)
	; wave barrier
	s_waitcnt lgkmcnt(0)
	s_and_saveexec_b64 s[4:5], s[0:1]
	s_cbranch_execz .LBB62_411
; %bb.398:
	ds_read_b128 v[2:5], v9
	s_andn2_b64 vcc, exec, s[6:7]
	s_cbranch_vccnz .LBB62_400
; %bb.399:
	scratch_load_dwordx4 v[198:201], v8, off
	s_waitcnt vmcnt(0) lgkmcnt(0)
	v_mul_f64 v[64:65], v[2:3], v[200:201]
	v_mul_f64 v[6:7], v[4:5], v[200:201]
	v_fmac_f64_e32 v[64:65], v[4:5], v[198:199]
	v_fma_f64 v[2:3], v[2:3], v[198:199], -v[6:7]
	v_mov_b64_e32 v[4:5], v[64:65]
.LBB62_400:
	s_and_saveexec_b64 s[8:9], s[2:3]
	s_cbranch_execz .LBB62_410
; %bb.401:
	v_subrev_u32_e32 v7, 34, v0
	v_subrev_u32_e32 v6, 33, v0
	v_cmp_lt_u32_e32 vcc, 6, v7
	v_mov_b32_e32 v199, 33
	s_and_saveexec_b64 s[2:3], vcc
	s_cbranch_execz .LBB62_405
; %bb.402:
	v_and_b32_e32 v7, -8, v6
	s_mov_b32 s12, 0
	s_mov_b64 s[10:11], 0
	v_mov_b32_e32 v198, 0
	s_mov_b32 s13, 0
.LBB62_403:                             ; =>This Inner Loop Header: Depth=1
	v_readfirstlane_b32 s14, v198
	s_add_i32 s14, s14, s12
	s_add_i32 s15, s14, 0x210
	v_mov_b32_e32 v199, s12
	ds_read_b128 v[200:203], v199 offset:1536
	ds_read_b128 v[204:207], v199 offset:1552
	;; [unrolled: 1-line block ×4, first 2 shown]
	scratch_load_dwordx4 v[216:219], off, s15
	s_add_i32 s15, s14, 0x220
	s_addk_i32 s12, 0x80
	s_waitcnt vmcnt(0) lgkmcnt(3)
	v_mul_f64 v[64:65], v[202:203], v[218:219]
	v_fma_f64 v[64:65], v[200:201], v[216:217], -v[64:65]
	v_mul_f64 v[200:201], v[200:201], v[218:219]
	v_fmac_f64_e32 v[200:201], v[202:203], v[216:217]
	v_add_f64 v[64:65], v[2:3], v[64:65]
	v_add_f64 v[200:201], v[4:5], v[200:201]
	scratch_load_dwordx4 v[2:5], off, s15
	s_add_i32 s15, s14, 0x230
	s_waitcnt vmcnt(0) lgkmcnt(2)
	v_mul_f64 v[202:203], v[206:207], v[4:5]
	v_mul_f64 v[4:5], v[204:205], v[4:5]
	v_fmac_f64_e32 v[4:5], v[206:207], v[2:3]
	v_fma_f64 v[202:203], v[204:205], v[2:3], -v[202:203]
	v_add_f64 v[200:201], v[200:201], v[4:5]
	scratch_load_dwordx4 v[2:5], off, s15
	v_add_f64 v[64:65], v[64:65], v[202:203]
	s_add_i32 s15, s14, 0x240
	s_waitcnt vmcnt(0) lgkmcnt(1)
	v_mul_f64 v[202:203], v[210:211], v[4:5]
	v_mul_f64 v[4:5], v[208:209], v[4:5]
	v_fmac_f64_e32 v[4:5], v[210:211], v[2:3]
	v_fma_f64 v[202:203], v[208:209], v[2:3], -v[202:203]
	v_add_f64 v[200:201], v[200:201], v[4:5]
	scratch_load_dwordx4 v[2:5], off, s15
	v_add_f64 v[64:65], v[64:65], v[202:203]
	s_add_i32 s15, s14, 0x250
	s_waitcnt vmcnt(0) lgkmcnt(0)
	v_mul_f64 v[202:203], v[214:215], v[4:5]
	v_mul_f64 v[4:5], v[212:213], v[4:5]
	v_fma_f64 v[202:203], v[212:213], v[2:3], -v[202:203]
	v_fmac_f64_e32 v[4:5], v[214:215], v[2:3]
	v_add_f64 v[64:65], v[64:65], v[202:203]
	v_add_f64 v[204:205], v[200:201], v[4:5]
	scratch_load_dwordx4 v[200:203], off, s15
	ds_read_b128 v[2:5], v199 offset:1600
	s_add_i32 s15, s14, 0x260
	s_waitcnt vmcnt(0) lgkmcnt(0)
	v_mul_f64 v[206:207], v[4:5], v[202:203]
	v_fma_f64 v[206:207], v[2:3], v[200:201], -v[206:207]
	v_mul_f64 v[2:3], v[2:3], v[202:203]
	v_fmac_f64_e32 v[2:3], v[4:5], v[200:201]
	scratch_load_dwordx4 v[200:203], off, s15
	v_add_f64 v[204:205], v[204:205], v[2:3]
	ds_read_b128 v[2:5], v199 offset:1616
	v_add_f64 v[64:65], v[64:65], v[206:207]
	s_add_i32 s15, s14, 0x270
	s_addk_i32 s14, 0x280
	s_waitcnt vmcnt(0) lgkmcnt(0)
	v_mul_f64 v[206:207], v[4:5], v[202:203]
	v_fma_f64 v[206:207], v[2:3], v[200:201], -v[206:207]
	v_mul_f64 v[2:3], v[2:3], v[202:203]
	v_fmac_f64_e32 v[2:3], v[4:5], v[200:201]
	scratch_load_dwordx4 v[200:203], off, s15
	v_add_f64 v[204:205], v[204:205], v[2:3]
	ds_read_b128 v[2:5], v199 offset:1632
	v_add_f64 v[64:65], v[64:65], v[206:207]
	s_waitcnt vmcnt(0) lgkmcnt(0)
	v_mul_f64 v[206:207], v[4:5], v[202:203]
	v_fma_f64 v[206:207], v[2:3], v[200:201], -v[206:207]
	v_mul_f64 v[2:3], v[2:3], v[202:203]
	v_fmac_f64_e32 v[2:3], v[4:5], v[200:201]
	scratch_load_dwordx4 v[200:203], off, s14
	v_add_f64 v[204:205], v[204:205], v[2:3]
	ds_read_b128 v[2:5], v199 offset:1648
	v_add_f64 v[64:65], v[64:65], v[206:207]
	s_add_i32 s14, s13, 8
	v_cmp_eq_u32_e32 vcc, s14, v7
	s_add_i32 s13, s13, 41
	s_or_b64 s[10:11], vcc, s[10:11]
	v_mov_b32_e32 v199, s13
	s_mov_b32 s13, s14
	s_waitcnt vmcnt(0) lgkmcnt(0)
	v_mul_f64 v[206:207], v[4:5], v[202:203]
	v_mul_f64 v[202:203], v[2:3], v[202:203]
	v_fma_f64 v[206:207], v[2:3], v[200:201], -v[206:207]
	v_fmac_f64_e32 v[202:203], v[4:5], v[200:201]
	v_add_f64 v[2:3], v[64:65], v[206:207]
	v_add_f64 v[4:5], v[204:205], v[202:203]
	s_andn2_b64 exec, exec, s[10:11]
	s_cbranch_execnz .LBB62_403
; %bb.404:
	s_or_b64 exec, exec, s[10:11]
.LBB62_405:
	s_or_b64 exec, exec, s[2:3]
	v_and_b32_e32 v6, 7, v6
	v_cmp_ne_u32_e32 vcc, 0, v6
	s_and_saveexec_b64 s[2:3], vcc
	s_cbranch_execz .LBB62_409
; %bb.406:
	v_lshlrev_b32_e32 v64, 4, v199
	v_add_u32_e32 v7, 0x3f0, v64
	v_add_u32_e32 v198, 0, v64
	s_mov_b64 s[10:11], 0
.LBB62_407:                             ; =>This Inner Loop Header: Depth=1
	scratch_load_dwordx4 v[200:203], v198, off
	ds_read_b128 v[204:207], v7
	v_add_u32_e32 v6, -1, v6
	v_cmp_eq_u32_e32 vcc, 0, v6
	v_add_u32_e32 v7, 16, v7
	v_add_u32_e32 v198, 16, v198
	s_or_b64 s[10:11], vcc, s[10:11]
	s_waitcnt vmcnt(0) lgkmcnt(0)
	v_mul_f64 v[64:65], v[206:207], v[202:203]
	v_mul_f64 v[202:203], v[204:205], v[202:203]
	v_fma_f64 v[64:65], v[204:205], v[200:201], -v[64:65]
	v_fmac_f64_e32 v[202:203], v[206:207], v[200:201]
	v_add_f64 v[2:3], v[2:3], v[64:65]
	v_add_f64 v[4:5], v[4:5], v[202:203]
	s_andn2_b64 exec, exec, s[10:11]
	s_cbranch_execnz .LBB62_407
; %bb.408:
	s_or_b64 exec, exec, s[10:11]
.LBB62_409:
	s_or_b64 exec, exec, s[2:3]
.LBB62_410:
	s_or_b64 exec, exec, s[8:9]
	v_mov_b32_e32 v6, 0
	ds_read_b128 v[198:201], v6 offset:512
	s_waitcnt lgkmcnt(0)
	v_mul_f64 v[6:7], v[4:5], v[200:201]
	v_mul_f64 v[202:203], v[2:3], v[200:201]
	v_fma_f64 v[200:201], v[2:3], v[198:199], -v[6:7]
	v_fmac_f64_e32 v[202:203], v[4:5], v[198:199]
	scratch_store_dwordx4 off, v[200:203], off offset:512
.LBB62_411:
	s_or_b64 exec, exec, s[4:5]
	scratch_load_dwordx4 v[2:5], v167, off
	v_cmp_lt_u32_e64 s[2:3], 31, v0
	s_waitcnt vmcnt(0)
	ds_write_b128 v9, v[2:5]
	s_waitcnt lgkmcnt(0)
	; wave barrier
	s_waitcnt lgkmcnt(0)
	s_and_saveexec_b64 s[4:5], s[2:3]
	s_cbranch_execz .LBB62_425
; %bb.412:
	ds_read_b128 v[2:5], v9
	s_andn2_b64 vcc, exec, s[6:7]
	s_cbranch_vccnz .LBB62_414
; %bb.413:
	scratch_load_dwordx4 v[198:201], v8, off
	s_waitcnt vmcnt(0) lgkmcnt(0)
	v_mul_f64 v[64:65], v[2:3], v[200:201]
	v_mul_f64 v[6:7], v[4:5], v[200:201]
	v_fmac_f64_e32 v[64:65], v[4:5], v[198:199]
	v_fma_f64 v[2:3], v[2:3], v[198:199], -v[6:7]
	v_mov_b64_e32 v[4:5], v[64:65]
.LBB62_414:
	s_and_saveexec_b64 s[8:9], s[0:1]
	s_cbranch_execz .LBB62_424
; %bb.415:
	v_subrev_u32_e32 v6, 33, v0
	v_cmp_lt_u32_e32 vcc, 6, v6
	v_mov_b32_e32 v6, 32
	s_and_saveexec_b64 s[0:1], vcc
	s_cbranch_execz .LBB62_419
; %bb.416:
	v_and_b32_e32 v6, 56, v0
	s_mov_b32 s12, 32
	s_mov_b32 s13, 0
	s_mov_b64 s[10:11], 0
	v_mov_b32_e32 v7, 0
.LBB62_417:                             ; =>This Inner Loop Header: Depth=1
	s_nop 0
	v_readfirstlane_b32 s14, v7
	s_add_i32 s14, s14, s13
	s_add_i32 s15, s14, 0x200
	v_mov_b32_e32 v218, s13
	ds_read_b128 v[198:201], v218 offset:1520
	ds_read_b128 v[202:205], v218 offset:1536
	;; [unrolled: 1-line block ×4, first 2 shown]
	scratch_load_dwordx4 v[214:217], off, s15
	s_add_i32 s15, s14, 0x210
	s_add_i32 s12, s12, 8
	s_addk_i32 s13, 0x80
	v_cmp_eq_u32_e32 vcc, s12, v6
	s_waitcnt vmcnt(0) lgkmcnt(3)
	v_mul_f64 v[64:65], v[200:201], v[216:217]
	v_fma_f64 v[64:65], v[198:199], v[214:215], -v[64:65]
	v_mul_f64 v[198:199], v[198:199], v[216:217]
	v_fmac_f64_e32 v[198:199], v[200:201], v[214:215]
	v_add_f64 v[64:65], v[2:3], v[64:65]
	v_add_f64 v[198:199], v[4:5], v[198:199]
	scratch_load_dwordx4 v[2:5], off, s15
	s_add_i32 s15, s14, 0x220
	s_waitcnt vmcnt(0) lgkmcnt(2)
	v_mul_f64 v[200:201], v[204:205], v[4:5]
	v_mul_f64 v[4:5], v[202:203], v[4:5]
	v_fmac_f64_e32 v[4:5], v[204:205], v[2:3]
	v_fma_f64 v[200:201], v[202:203], v[2:3], -v[200:201]
	v_add_f64 v[198:199], v[198:199], v[4:5]
	scratch_load_dwordx4 v[2:5], off, s15
	v_add_f64 v[64:65], v[64:65], v[200:201]
	s_add_i32 s15, s14, 0x230
	s_waitcnt vmcnt(0) lgkmcnt(1)
	v_mul_f64 v[200:201], v[208:209], v[4:5]
	v_mul_f64 v[4:5], v[206:207], v[4:5]
	v_fmac_f64_e32 v[4:5], v[208:209], v[2:3]
	v_fma_f64 v[200:201], v[206:207], v[2:3], -v[200:201]
	v_add_f64 v[198:199], v[198:199], v[4:5]
	scratch_load_dwordx4 v[2:5], off, s15
	v_add_f64 v[64:65], v[64:65], v[200:201]
	s_add_i32 s15, s14, 0x240
	s_waitcnt vmcnt(0) lgkmcnt(0)
	v_mul_f64 v[200:201], v[212:213], v[4:5]
	v_mul_f64 v[4:5], v[210:211], v[4:5]
	v_fma_f64 v[200:201], v[210:211], v[2:3], -v[200:201]
	v_fmac_f64_e32 v[4:5], v[212:213], v[2:3]
	v_add_f64 v[64:65], v[64:65], v[200:201]
	v_add_f64 v[202:203], v[198:199], v[4:5]
	scratch_load_dwordx4 v[198:201], off, s15
	ds_read_b128 v[2:5], v218 offset:1584
	s_add_i32 s15, s14, 0x250
	s_waitcnt vmcnt(0) lgkmcnt(0)
	v_mul_f64 v[204:205], v[4:5], v[200:201]
	v_fma_f64 v[204:205], v[2:3], v[198:199], -v[204:205]
	v_mul_f64 v[2:3], v[2:3], v[200:201]
	v_fmac_f64_e32 v[2:3], v[4:5], v[198:199]
	scratch_load_dwordx4 v[198:201], off, s15
	v_add_f64 v[202:203], v[202:203], v[2:3]
	ds_read_b128 v[2:5], v218 offset:1600
	v_add_f64 v[64:65], v[64:65], v[204:205]
	s_add_i32 s15, s14, 0x260
	s_addk_i32 s14, 0x270
	s_or_b64 s[10:11], vcc, s[10:11]
	s_waitcnt vmcnt(0) lgkmcnt(0)
	v_mul_f64 v[204:205], v[4:5], v[200:201]
	v_fma_f64 v[204:205], v[2:3], v[198:199], -v[204:205]
	v_mul_f64 v[2:3], v[2:3], v[200:201]
	v_fmac_f64_e32 v[2:3], v[4:5], v[198:199]
	scratch_load_dwordx4 v[198:201], off, s15
	v_add_f64 v[202:203], v[202:203], v[2:3]
	ds_read_b128 v[2:5], v218 offset:1616
	v_add_f64 v[64:65], v[64:65], v[204:205]
	s_waitcnt vmcnt(0) lgkmcnt(0)
	v_mul_f64 v[204:205], v[4:5], v[200:201]
	v_fma_f64 v[204:205], v[2:3], v[198:199], -v[204:205]
	v_mul_f64 v[2:3], v[2:3], v[200:201]
	v_fmac_f64_e32 v[2:3], v[4:5], v[198:199]
	scratch_load_dwordx4 v[198:201], off, s14
	v_add_f64 v[202:203], v[202:203], v[2:3]
	ds_read_b128 v[2:5], v218 offset:1632
	v_add_f64 v[64:65], v[64:65], v[204:205]
	s_waitcnt vmcnt(0) lgkmcnt(0)
	v_mul_f64 v[204:205], v[4:5], v[200:201]
	v_mul_f64 v[200:201], v[2:3], v[200:201]
	v_fma_f64 v[204:205], v[2:3], v[198:199], -v[204:205]
	v_fmac_f64_e32 v[200:201], v[4:5], v[198:199]
	v_add_f64 v[2:3], v[64:65], v[204:205]
	v_add_f64 v[4:5], v[202:203], v[200:201]
	s_andn2_b64 exec, exec, s[10:11]
	s_cbranch_execnz .LBB62_417
; %bb.418:
	s_or_b64 exec, exec, s[10:11]
.LBB62_419:
	s_or_b64 exec, exec, s[0:1]
	v_and_b32_e32 v7, 7, v0
	v_cmp_ne_u32_e32 vcc, 0, v7
	s_and_saveexec_b64 s[0:1], vcc
	s_cbranch_execz .LBB62_423
; %bb.420:
	v_lshlrev_b32_e32 v64, 4, v6
	v_add_u32_e32 v6, 0x3f0, v64
	v_add_u32_e32 v198, 0, v64
	s_mov_b64 s[10:11], 0
.LBB62_421:                             ; =>This Inner Loop Header: Depth=1
	scratch_load_dwordx4 v[200:203], v198, off
	ds_read_b128 v[204:207], v6
	v_add_u32_e32 v7, -1, v7
	v_cmp_eq_u32_e32 vcc, 0, v7
	v_add_u32_e32 v6, 16, v6
	v_add_u32_e32 v198, 16, v198
	s_or_b64 s[10:11], vcc, s[10:11]
	s_waitcnt vmcnt(0) lgkmcnt(0)
	v_mul_f64 v[64:65], v[206:207], v[202:203]
	v_mul_f64 v[202:203], v[204:205], v[202:203]
	v_fma_f64 v[64:65], v[204:205], v[200:201], -v[64:65]
	v_fmac_f64_e32 v[202:203], v[206:207], v[200:201]
	v_add_f64 v[2:3], v[2:3], v[64:65]
	v_add_f64 v[4:5], v[4:5], v[202:203]
	s_andn2_b64 exec, exec, s[10:11]
	s_cbranch_execnz .LBB62_421
; %bb.422:
	s_or_b64 exec, exec, s[10:11]
.LBB62_423:
	s_or_b64 exec, exec, s[0:1]
.LBB62_424:
	s_or_b64 exec, exec, s[8:9]
	v_mov_b32_e32 v6, 0
	ds_read_b128 v[198:201], v6 offset:496
	s_waitcnt lgkmcnt(0)
	v_mul_f64 v[6:7], v[4:5], v[200:201]
	v_mul_f64 v[202:203], v[2:3], v[200:201]
	v_fma_f64 v[200:201], v[2:3], v[198:199], -v[6:7]
	v_fmac_f64_e32 v[202:203], v[4:5], v[198:199]
	scratch_store_dwordx4 off, v[200:203], off offset:496
.LBB62_425:
	s_or_b64 exec, exec, s[4:5]
	scratch_load_dwordx4 v[2:5], v168, off
	v_cmp_lt_u32_e64 s[0:1], 30, v0
	s_waitcnt vmcnt(0)
	ds_write_b128 v9, v[2:5]
	s_waitcnt lgkmcnt(0)
	; wave barrier
	s_waitcnt lgkmcnt(0)
	s_and_saveexec_b64 s[4:5], s[0:1]
	s_cbranch_execz .LBB62_439
; %bb.426:
	ds_read_b128 v[2:5], v9
	s_andn2_b64 vcc, exec, s[6:7]
	s_cbranch_vccnz .LBB62_428
; %bb.427:
	scratch_load_dwordx4 v[198:201], v8, off
	s_waitcnt vmcnt(0) lgkmcnt(0)
	v_mul_f64 v[64:65], v[2:3], v[200:201]
	v_mul_f64 v[6:7], v[4:5], v[200:201]
	v_fmac_f64_e32 v[64:65], v[4:5], v[198:199]
	v_fma_f64 v[2:3], v[2:3], v[198:199], -v[6:7]
	v_mov_b64_e32 v[4:5], v[64:65]
.LBB62_428:
	s_and_saveexec_b64 s[8:9], s[2:3]
	s_cbranch_execz .LBB62_438
; %bb.429:
	v_subrev_u32_e32 v7, 32, v0
	v_subrev_u32_e32 v6, 31, v0
	v_cmp_lt_u32_e32 vcc, 6, v7
	v_mov_b32_e32 v199, 31
	s_and_saveexec_b64 s[2:3], vcc
	s_cbranch_execz .LBB62_433
; %bb.430:
	v_and_b32_e32 v7, -8, v6
	s_mov_b32 s12, 0
	s_mov_b64 s[10:11], 0
	v_mov_b32_e32 v198, 0
	s_mov_b32 s13, 0
.LBB62_431:                             ; =>This Inner Loop Header: Depth=1
	v_readfirstlane_b32 s14, v198
	s_add_i32 s14, s14, s12
	s_add_i32 s15, s14, 0x1f0
	v_mov_b32_e32 v199, s12
	ds_read_b128 v[200:203], v199 offset:1504
	ds_read_b128 v[204:207], v199 offset:1520
	;; [unrolled: 1-line block ×4, first 2 shown]
	scratch_load_dwordx4 v[216:219], off, s15
	s_add_i32 s15, s14, 0x200
	s_addk_i32 s12, 0x80
	s_waitcnt vmcnt(0) lgkmcnt(3)
	v_mul_f64 v[64:65], v[202:203], v[218:219]
	v_fma_f64 v[64:65], v[200:201], v[216:217], -v[64:65]
	v_mul_f64 v[200:201], v[200:201], v[218:219]
	v_fmac_f64_e32 v[200:201], v[202:203], v[216:217]
	v_add_f64 v[64:65], v[2:3], v[64:65]
	v_add_f64 v[200:201], v[4:5], v[200:201]
	scratch_load_dwordx4 v[2:5], off, s15
	s_add_i32 s15, s14, 0x210
	s_waitcnt vmcnt(0) lgkmcnt(2)
	v_mul_f64 v[202:203], v[206:207], v[4:5]
	v_mul_f64 v[4:5], v[204:205], v[4:5]
	v_fmac_f64_e32 v[4:5], v[206:207], v[2:3]
	v_fma_f64 v[202:203], v[204:205], v[2:3], -v[202:203]
	v_add_f64 v[200:201], v[200:201], v[4:5]
	scratch_load_dwordx4 v[2:5], off, s15
	v_add_f64 v[64:65], v[64:65], v[202:203]
	s_add_i32 s15, s14, 0x220
	s_waitcnt vmcnt(0) lgkmcnt(1)
	v_mul_f64 v[202:203], v[210:211], v[4:5]
	v_mul_f64 v[4:5], v[208:209], v[4:5]
	v_fmac_f64_e32 v[4:5], v[210:211], v[2:3]
	v_fma_f64 v[202:203], v[208:209], v[2:3], -v[202:203]
	v_add_f64 v[200:201], v[200:201], v[4:5]
	scratch_load_dwordx4 v[2:5], off, s15
	v_add_f64 v[64:65], v[64:65], v[202:203]
	s_add_i32 s15, s14, 0x230
	s_waitcnt vmcnt(0) lgkmcnt(0)
	v_mul_f64 v[202:203], v[214:215], v[4:5]
	v_mul_f64 v[4:5], v[212:213], v[4:5]
	v_fma_f64 v[202:203], v[212:213], v[2:3], -v[202:203]
	v_fmac_f64_e32 v[4:5], v[214:215], v[2:3]
	v_add_f64 v[64:65], v[64:65], v[202:203]
	v_add_f64 v[204:205], v[200:201], v[4:5]
	scratch_load_dwordx4 v[200:203], off, s15
	ds_read_b128 v[2:5], v199 offset:1568
	s_add_i32 s15, s14, 0x240
	s_waitcnt vmcnt(0) lgkmcnt(0)
	v_mul_f64 v[206:207], v[4:5], v[202:203]
	v_fma_f64 v[206:207], v[2:3], v[200:201], -v[206:207]
	v_mul_f64 v[2:3], v[2:3], v[202:203]
	v_fmac_f64_e32 v[2:3], v[4:5], v[200:201]
	scratch_load_dwordx4 v[200:203], off, s15
	v_add_f64 v[204:205], v[204:205], v[2:3]
	ds_read_b128 v[2:5], v199 offset:1584
	v_add_f64 v[64:65], v[64:65], v[206:207]
	s_add_i32 s15, s14, 0x250
	s_addk_i32 s14, 0x260
	s_waitcnt vmcnt(0) lgkmcnt(0)
	v_mul_f64 v[206:207], v[4:5], v[202:203]
	v_fma_f64 v[206:207], v[2:3], v[200:201], -v[206:207]
	v_mul_f64 v[2:3], v[2:3], v[202:203]
	v_fmac_f64_e32 v[2:3], v[4:5], v[200:201]
	scratch_load_dwordx4 v[200:203], off, s15
	v_add_f64 v[204:205], v[204:205], v[2:3]
	ds_read_b128 v[2:5], v199 offset:1600
	v_add_f64 v[64:65], v[64:65], v[206:207]
	s_waitcnt vmcnt(0) lgkmcnt(0)
	v_mul_f64 v[206:207], v[4:5], v[202:203]
	v_fma_f64 v[206:207], v[2:3], v[200:201], -v[206:207]
	v_mul_f64 v[2:3], v[2:3], v[202:203]
	v_fmac_f64_e32 v[2:3], v[4:5], v[200:201]
	scratch_load_dwordx4 v[200:203], off, s14
	v_add_f64 v[204:205], v[204:205], v[2:3]
	ds_read_b128 v[2:5], v199 offset:1616
	v_add_f64 v[64:65], v[64:65], v[206:207]
	s_add_i32 s14, s13, 8
	v_cmp_eq_u32_e32 vcc, s14, v7
	s_add_i32 s13, s13, 39
	s_or_b64 s[10:11], vcc, s[10:11]
	v_mov_b32_e32 v199, s13
	s_mov_b32 s13, s14
	s_waitcnt vmcnt(0) lgkmcnt(0)
	v_mul_f64 v[206:207], v[4:5], v[202:203]
	v_mul_f64 v[202:203], v[2:3], v[202:203]
	v_fma_f64 v[206:207], v[2:3], v[200:201], -v[206:207]
	v_fmac_f64_e32 v[202:203], v[4:5], v[200:201]
	v_add_f64 v[2:3], v[64:65], v[206:207]
	v_add_f64 v[4:5], v[204:205], v[202:203]
	s_andn2_b64 exec, exec, s[10:11]
	s_cbranch_execnz .LBB62_431
; %bb.432:
	s_or_b64 exec, exec, s[10:11]
.LBB62_433:
	s_or_b64 exec, exec, s[2:3]
	v_and_b32_e32 v6, 7, v6
	v_cmp_ne_u32_e32 vcc, 0, v6
	s_and_saveexec_b64 s[2:3], vcc
	s_cbranch_execz .LBB62_437
; %bb.434:
	v_lshlrev_b32_e32 v64, 4, v199
	v_add_u32_e32 v7, 0x3f0, v64
	v_add_u32_e32 v198, 0, v64
	s_mov_b64 s[10:11], 0
.LBB62_435:                             ; =>This Inner Loop Header: Depth=1
	scratch_load_dwordx4 v[200:203], v198, off
	ds_read_b128 v[204:207], v7
	v_add_u32_e32 v6, -1, v6
	v_cmp_eq_u32_e32 vcc, 0, v6
	v_add_u32_e32 v7, 16, v7
	v_add_u32_e32 v198, 16, v198
	s_or_b64 s[10:11], vcc, s[10:11]
	s_waitcnt vmcnt(0) lgkmcnt(0)
	v_mul_f64 v[64:65], v[206:207], v[202:203]
	v_mul_f64 v[202:203], v[204:205], v[202:203]
	v_fma_f64 v[64:65], v[204:205], v[200:201], -v[64:65]
	v_fmac_f64_e32 v[202:203], v[206:207], v[200:201]
	v_add_f64 v[2:3], v[2:3], v[64:65]
	v_add_f64 v[4:5], v[4:5], v[202:203]
	s_andn2_b64 exec, exec, s[10:11]
	s_cbranch_execnz .LBB62_435
; %bb.436:
	s_or_b64 exec, exec, s[10:11]
.LBB62_437:
	s_or_b64 exec, exec, s[2:3]
.LBB62_438:
	s_or_b64 exec, exec, s[8:9]
	v_mov_b32_e32 v6, 0
	ds_read_b128 v[198:201], v6 offset:480
	s_waitcnt lgkmcnt(0)
	v_mul_f64 v[6:7], v[4:5], v[200:201]
	v_mul_f64 v[202:203], v[2:3], v[200:201]
	v_fma_f64 v[200:201], v[2:3], v[198:199], -v[6:7]
	v_fmac_f64_e32 v[202:203], v[4:5], v[198:199]
	scratch_store_dwordx4 off, v[200:203], off offset:480
.LBB62_439:
	s_or_b64 exec, exec, s[4:5]
	scratch_load_dwordx4 v[2:5], v169, off
	v_cmp_lt_u32_e64 s[2:3], 29, v0
	s_waitcnt vmcnt(0)
	ds_write_b128 v9, v[2:5]
	s_waitcnt lgkmcnt(0)
	; wave barrier
	s_waitcnt lgkmcnt(0)
	s_and_saveexec_b64 s[4:5], s[2:3]
	s_cbranch_execz .LBB62_453
; %bb.440:
	ds_read_b128 v[2:5], v9
	s_andn2_b64 vcc, exec, s[6:7]
	s_cbranch_vccnz .LBB62_442
; %bb.441:
	scratch_load_dwordx4 v[198:201], v8, off
	s_waitcnt vmcnt(0) lgkmcnt(0)
	v_mul_f64 v[64:65], v[2:3], v[200:201]
	v_mul_f64 v[6:7], v[4:5], v[200:201]
	v_fmac_f64_e32 v[64:65], v[4:5], v[198:199]
	v_fma_f64 v[2:3], v[2:3], v[198:199], -v[6:7]
	v_mov_b64_e32 v[4:5], v[64:65]
.LBB62_442:
	s_and_saveexec_b64 s[8:9], s[0:1]
	s_cbranch_execz .LBB62_452
; %bb.443:
	v_subrev_u32_e32 v7, 31, v0
	v_subrev_u32_e32 v6, 30, v0
	v_cmp_lt_u32_e32 vcc, 6, v7
	v_mov_b32_e32 v199, 30
	s_and_saveexec_b64 s[0:1], vcc
	s_cbranch_execz .LBB62_447
; %bb.444:
	v_and_b32_e32 v7, -8, v6
	s_mov_b32 s12, 0
	s_mov_b64 s[10:11], 0
	v_mov_b32_e32 v198, 0
	s_mov_b32 s13, 0
.LBB62_445:                             ; =>This Inner Loop Header: Depth=1
	v_readfirstlane_b32 s14, v198
	s_add_i32 s14, s14, s12
	s_add_i32 s15, s14, 0x1e0
	v_mov_b32_e32 v199, s12
	ds_read_b128 v[200:203], v199 offset:1488
	ds_read_b128 v[204:207], v199 offset:1504
	;; [unrolled: 1-line block ×4, first 2 shown]
	scratch_load_dwordx4 v[216:219], off, s15
	s_add_i32 s15, s14, 0x1f0
	s_addk_i32 s12, 0x80
	s_waitcnt vmcnt(0) lgkmcnt(3)
	v_mul_f64 v[64:65], v[202:203], v[218:219]
	v_fma_f64 v[64:65], v[200:201], v[216:217], -v[64:65]
	v_mul_f64 v[200:201], v[200:201], v[218:219]
	v_fmac_f64_e32 v[200:201], v[202:203], v[216:217]
	v_add_f64 v[64:65], v[2:3], v[64:65]
	v_add_f64 v[200:201], v[4:5], v[200:201]
	scratch_load_dwordx4 v[2:5], off, s15
	s_add_i32 s15, s14, 0x200
	s_waitcnt vmcnt(0) lgkmcnt(2)
	v_mul_f64 v[202:203], v[206:207], v[4:5]
	v_mul_f64 v[4:5], v[204:205], v[4:5]
	v_fmac_f64_e32 v[4:5], v[206:207], v[2:3]
	v_fma_f64 v[202:203], v[204:205], v[2:3], -v[202:203]
	v_add_f64 v[200:201], v[200:201], v[4:5]
	scratch_load_dwordx4 v[2:5], off, s15
	v_add_f64 v[64:65], v[64:65], v[202:203]
	s_add_i32 s15, s14, 0x210
	s_waitcnt vmcnt(0) lgkmcnt(1)
	v_mul_f64 v[202:203], v[210:211], v[4:5]
	v_mul_f64 v[4:5], v[208:209], v[4:5]
	v_fmac_f64_e32 v[4:5], v[210:211], v[2:3]
	v_fma_f64 v[202:203], v[208:209], v[2:3], -v[202:203]
	v_add_f64 v[200:201], v[200:201], v[4:5]
	scratch_load_dwordx4 v[2:5], off, s15
	v_add_f64 v[64:65], v[64:65], v[202:203]
	s_add_i32 s15, s14, 0x220
	s_waitcnt vmcnt(0) lgkmcnt(0)
	v_mul_f64 v[202:203], v[214:215], v[4:5]
	v_mul_f64 v[4:5], v[212:213], v[4:5]
	v_fma_f64 v[202:203], v[212:213], v[2:3], -v[202:203]
	v_fmac_f64_e32 v[4:5], v[214:215], v[2:3]
	v_add_f64 v[64:65], v[64:65], v[202:203]
	v_add_f64 v[204:205], v[200:201], v[4:5]
	scratch_load_dwordx4 v[200:203], off, s15
	ds_read_b128 v[2:5], v199 offset:1552
	s_add_i32 s15, s14, 0x230
	s_waitcnt vmcnt(0) lgkmcnt(0)
	v_mul_f64 v[206:207], v[4:5], v[202:203]
	v_fma_f64 v[206:207], v[2:3], v[200:201], -v[206:207]
	v_mul_f64 v[2:3], v[2:3], v[202:203]
	v_fmac_f64_e32 v[2:3], v[4:5], v[200:201]
	scratch_load_dwordx4 v[200:203], off, s15
	v_add_f64 v[204:205], v[204:205], v[2:3]
	ds_read_b128 v[2:5], v199 offset:1568
	v_add_f64 v[64:65], v[64:65], v[206:207]
	s_add_i32 s15, s14, 0x240
	s_addk_i32 s14, 0x250
	s_waitcnt vmcnt(0) lgkmcnt(0)
	v_mul_f64 v[206:207], v[4:5], v[202:203]
	v_fma_f64 v[206:207], v[2:3], v[200:201], -v[206:207]
	v_mul_f64 v[2:3], v[2:3], v[202:203]
	v_fmac_f64_e32 v[2:3], v[4:5], v[200:201]
	scratch_load_dwordx4 v[200:203], off, s15
	v_add_f64 v[204:205], v[204:205], v[2:3]
	ds_read_b128 v[2:5], v199 offset:1584
	v_add_f64 v[64:65], v[64:65], v[206:207]
	s_waitcnt vmcnt(0) lgkmcnt(0)
	v_mul_f64 v[206:207], v[4:5], v[202:203]
	v_fma_f64 v[206:207], v[2:3], v[200:201], -v[206:207]
	v_mul_f64 v[2:3], v[2:3], v[202:203]
	v_fmac_f64_e32 v[2:3], v[4:5], v[200:201]
	scratch_load_dwordx4 v[200:203], off, s14
	v_add_f64 v[204:205], v[204:205], v[2:3]
	ds_read_b128 v[2:5], v199 offset:1600
	v_add_f64 v[64:65], v[64:65], v[206:207]
	s_add_i32 s14, s13, 8
	v_cmp_eq_u32_e32 vcc, s14, v7
	s_add_i32 s13, s13, 38
	s_or_b64 s[10:11], vcc, s[10:11]
	v_mov_b32_e32 v199, s13
	s_mov_b32 s13, s14
	s_waitcnt vmcnt(0) lgkmcnt(0)
	v_mul_f64 v[206:207], v[4:5], v[202:203]
	v_mul_f64 v[202:203], v[2:3], v[202:203]
	v_fma_f64 v[206:207], v[2:3], v[200:201], -v[206:207]
	v_fmac_f64_e32 v[202:203], v[4:5], v[200:201]
	v_add_f64 v[2:3], v[64:65], v[206:207]
	v_add_f64 v[4:5], v[204:205], v[202:203]
	s_andn2_b64 exec, exec, s[10:11]
	s_cbranch_execnz .LBB62_445
; %bb.446:
	s_or_b64 exec, exec, s[10:11]
.LBB62_447:
	s_or_b64 exec, exec, s[0:1]
	v_and_b32_e32 v6, 7, v6
	v_cmp_ne_u32_e32 vcc, 0, v6
	s_and_saveexec_b64 s[0:1], vcc
	s_cbranch_execz .LBB62_451
; %bb.448:
	v_lshlrev_b32_e32 v64, 4, v199
	v_add_u32_e32 v7, 0x3f0, v64
	v_add_u32_e32 v198, 0, v64
	s_mov_b64 s[10:11], 0
.LBB62_449:                             ; =>This Inner Loop Header: Depth=1
	scratch_load_dwordx4 v[200:203], v198, off
	ds_read_b128 v[204:207], v7
	v_add_u32_e32 v6, -1, v6
	v_cmp_eq_u32_e32 vcc, 0, v6
	v_add_u32_e32 v7, 16, v7
	v_add_u32_e32 v198, 16, v198
	s_or_b64 s[10:11], vcc, s[10:11]
	s_waitcnt vmcnt(0) lgkmcnt(0)
	v_mul_f64 v[64:65], v[206:207], v[202:203]
	v_mul_f64 v[202:203], v[204:205], v[202:203]
	v_fma_f64 v[64:65], v[204:205], v[200:201], -v[64:65]
	v_fmac_f64_e32 v[202:203], v[206:207], v[200:201]
	v_add_f64 v[2:3], v[2:3], v[64:65]
	v_add_f64 v[4:5], v[4:5], v[202:203]
	s_andn2_b64 exec, exec, s[10:11]
	s_cbranch_execnz .LBB62_449
; %bb.450:
	s_or_b64 exec, exec, s[10:11]
.LBB62_451:
	s_or_b64 exec, exec, s[0:1]
.LBB62_452:
	s_or_b64 exec, exec, s[8:9]
	v_mov_b32_e32 v6, 0
	ds_read_b128 v[198:201], v6 offset:464
	s_waitcnt lgkmcnt(0)
	v_mul_f64 v[6:7], v[4:5], v[200:201]
	v_mul_f64 v[202:203], v[2:3], v[200:201]
	v_fma_f64 v[200:201], v[2:3], v[198:199], -v[6:7]
	v_fmac_f64_e32 v[202:203], v[4:5], v[198:199]
	scratch_store_dwordx4 off, v[200:203], off offset:464
.LBB62_453:
	s_or_b64 exec, exec, s[4:5]
	scratch_load_dwordx4 v[2:5], v170, off
	v_cmp_lt_u32_e64 s[0:1], 28, v0
	s_waitcnt vmcnt(0)
	ds_write_b128 v9, v[2:5]
	s_waitcnt lgkmcnt(0)
	; wave barrier
	s_waitcnt lgkmcnt(0)
	s_and_saveexec_b64 s[4:5], s[0:1]
	s_cbranch_execz .LBB62_467
; %bb.454:
	ds_read_b128 v[2:5], v9
	s_andn2_b64 vcc, exec, s[6:7]
	s_cbranch_vccnz .LBB62_456
; %bb.455:
	scratch_load_dwordx4 v[198:201], v8, off
	s_waitcnt vmcnt(0) lgkmcnt(0)
	v_mul_f64 v[64:65], v[2:3], v[200:201]
	v_mul_f64 v[6:7], v[4:5], v[200:201]
	v_fmac_f64_e32 v[64:65], v[4:5], v[198:199]
	v_fma_f64 v[2:3], v[2:3], v[198:199], -v[6:7]
	v_mov_b64_e32 v[4:5], v[64:65]
.LBB62_456:
	s_and_saveexec_b64 s[8:9], s[2:3]
	s_cbranch_execz .LBB62_466
; %bb.457:
	v_subrev_u32_e32 v7, 30, v0
	v_subrev_u32_e32 v6, 29, v0
	v_cmp_lt_u32_e32 vcc, 6, v7
	v_mov_b32_e32 v199, 29
	s_and_saveexec_b64 s[2:3], vcc
	s_cbranch_execz .LBB62_461
; %bb.458:
	v_and_b32_e32 v7, -8, v6
	s_mov_b32 s12, 0
	s_mov_b64 s[10:11], 0
	v_mov_b32_e32 v198, 0
	s_mov_b32 s13, 0
.LBB62_459:                             ; =>This Inner Loop Header: Depth=1
	v_readfirstlane_b32 s14, v198
	s_add_i32 s14, s14, s12
	s_add_i32 s15, s14, 0x1d0
	v_mov_b32_e32 v199, s12
	ds_read_b128 v[200:203], v199 offset:1472
	ds_read_b128 v[204:207], v199 offset:1488
	;; [unrolled: 1-line block ×4, first 2 shown]
	scratch_load_dwordx4 v[216:219], off, s15
	s_add_i32 s15, s14, 0x1e0
	s_addk_i32 s12, 0x80
	s_waitcnt vmcnt(0) lgkmcnt(3)
	v_mul_f64 v[64:65], v[202:203], v[218:219]
	v_fma_f64 v[64:65], v[200:201], v[216:217], -v[64:65]
	v_mul_f64 v[200:201], v[200:201], v[218:219]
	v_fmac_f64_e32 v[200:201], v[202:203], v[216:217]
	v_add_f64 v[64:65], v[2:3], v[64:65]
	v_add_f64 v[200:201], v[4:5], v[200:201]
	scratch_load_dwordx4 v[2:5], off, s15
	s_add_i32 s15, s14, 0x1f0
	s_waitcnt vmcnt(0) lgkmcnt(2)
	v_mul_f64 v[202:203], v[206:207], v[4:5]
	v_mul_f64 v[4:5], v[204:205], v[4:5]
	v_fmac_f64_e32 v[4:5], v[206:207], v[2:3]
	v_fma_f64 v[202:203], v[204:205], v[2:3], -v[202:203]
	v_add_f64 v[200:201], v[200:201], v[4:5]
	scratch_load_dwordx4 v[2:5], off, s15
	v_add_f64 v[64:65], v[64:65], v[202:203]
	s_add_i32 s15, s14, 0x200
	s_waitcnt vmcnt(0) lgkmcnt(1)
	v_mul_f64 v[202:203], v[210:211], v[4:5]
	v_mul_f64 v[4:5], v[208:209], v[4:5]
	v_fmac_f64_e32 v[4:5], v[210:211], v[2:3]
	v_fma_f64 v[202:203], v[208:209], v[2:3], -v[202:203]
	v_add_f64 v[200:201], v[200:201], v[4:5]
	scratch_load_dwordx4 v[2:5], off, s15
	v_add_f64 v[64:65], v[64:65], v[202:203]
	s_add_i32 s15, s14, 0x210
	s_waitcnt vmcnt(0) lgkmcnt(0)
	v_mul_f64 v[202:203], v[214:215], v[4:5]
	v_mul_f64 v[4:5], v[212:213], v[4:5]
	v_fma_f64 v[202:203], v[212:213], v[2:3], -v[202:203]
	v_fmac_f64_e32 v[4:5], v[214:215], v[2:3]
	v_add_f64 v[64:65], v[64:65], v[202:203]
	v_add_f64 v[204:205], v[200:201], v[4:5]
	scratch_load_dwordx4 v[200:203], off, s15
	ds_read_b128 v[2:5], v199 offset:1536
	s_add_i32 s15, s14, 0x220
	s_waitcnt vmcnt(0) lgkmcnt(0)
	v_mul_f64 v[206:207], v[4:5], v[202:203]
	v_fma_f64 v[206:207], v[2:3], v[200:201], -v[206:207]
	v_mul_f64 v[2:3], v[2:3], v[202:203]
	v_fmac_f64_e32 v[2:3], v[4:5], v[200:201]
	scratch_load_dwordx4 v[200:203], off, s15
	v_add_f64 v[204:205], v[204:205], v[2:3]
	ds_read_b128 v[2:5], v199 offset:1552
	v_add_f64 v[64:65], v[64:65], v[206:207]
	s_add_i32 s15, s14, 0x230
	s_addk_i32 s14, 0x240
	s_waitcnt vmcnt(0) lgkmcnt(0)
	v_mul_f64 v[206:207], v[4:5], v[202:203]
	v_fma_f64 v[206:207], v[2:3], v[200:201], -v[206:207]
	v_mul_f64 v[2:3], v[2:3], v[202:203]
	v_fmac_f64_e32 v[2:3], v[4:5], v[200:201]
	scratch_load_dwordx4 v[200:203], off, s15
	v_add_f64 v[204:205], v[204:205], v[2:3]
	ds_read_b128 v[2:5], v199 offset:1568
	v_add_f64 v[64:65], v[64:65], v[206:207]
	s_waitcnt vmcnt(0) lgkmcnt(0)
	v_mul_f64 v[206:207], v[4:5], v[202:203]
	v_fma_f64 v[206:207], v[2:3], v[200:201], -v[206:207]
	v_mul_f64 v[2:3], v[2:3], v[202:203]
	v_fmac_f64_e32 v[2:3], v[4:5], v[200:201]
	scratch_load_dwordx4 v[200:203], off, s14
	v_add_f64 v[204:205], v[204:205], v[2:3]
	ds_read_b128 v[2:5], v199 offset:1584
	v_add_f64 v[64:65], v[64:65], v[206:207]
	s_add_i32 s14, s13, 8
	v_cmp_eq_u32_e32 vcc, s14, v7
	s_add_i32 s13, s13, 37
	s_or_b64 s[10:11], vcc, s[10:11]
	v_mov_b32_e32 v199, s13
	s_mov_b32 s13, s14
	s_waitcnt vmcnt(0) lgkmcnt(0)
	v_mul_f64 v[206:207], v[4:5], v[202:203]
	v_mul_f64 v[202:203], v[2:3], v[202:203]
	v_fma_f64 v[206:207], v[2:3], v[200:201], -v[206:207]
	v_fmac_f64_e32 v[202:203], v[4:5], v[200:201]
	v_add_f64 v[2:3], v[64:65], v[206:207]
	v_add_f64 v[4:5], v[204:205], v[202:203]
	s_andn2_b64 exec, exec, s[10:11]
	s_cbranch_execnz .LBB62_459
; %bb.460:
	s_or_b64 exec, exec, s[10:11]
.LBB62_461:
	s_or_b64 exec, exec, s[2:3]
	v_and_b32_e32 v6, 7, v6
	v_cmp_ne_u32_e32 vcc, 0, v6
	s_and_saveexec_b64 s[2:3], vcc
	s_cbranch_execz .LBB62_465
; %bb.462:
	v_lshlrev_b32_e32 v64, 4, v199
	v_add_u32_e32 v7, 0x3f0, v64
	v_add_u32_e32 v198, 0, v64
	s_mov_b64 s[10:11], 0
.LBB62_463:                             ; =>This Inner Loop Header: Depth=1
	scratch_load_dwordx4 v[200:203], v198, off
	ds_read_b128 v[204:207], v7
	v_add_u32_e32 v6, -1, v6
	v_cmp_eq_u32_e32 vcc, 0, v6
	v_add_u32_e32 v7, 16, v7
	v_add_u32_e32 v198, 16, v198
	s_or_b64 s[10:11], vcc, s[10:11]
	s_waitcnt vmcnt(0) lgkmcnt(0)
	v_mul_f64 v[64:65], v[206:207], v[202:203]
	v_mul_f64 v[202:203], v[204:205], v[202:203]
	v_fma_f64 v[64:65], v[204:205], v[200:201], -v[64:65]
	v_fmac_f64_e32 v[202:203], v[206:207], v[200:201]
	v_add_f64 v[2:3], v[2:3], v[64:65]
	v_add_f64 v[4:5], v[4:5], v[202:203]
	s_andn2_b64 exec, exec, s[10:11]
	s_cbranch_execnz .LBB62_463
; %bb.464:
	s_or_b64 exec, exec, s[10:11]
.LBB62_465:
	s_or_b64 exec, exec, s[2:3]
.LBB62_466:
	s_or_b64 exec, exec, s[8:9]
	v_mov_b32_e32 v6, 0
	ds_read_b128 v[198:201], v6 offset:448
	s_waitcnt lgkmcnt(0)
	v_mul_f64 v[6:7], v[4:5], v[200:201]
	v_mul_f64 v[202:203], v[2:3], v[200:201]
	v_fma_f64 v[200:201], v[2:3], v[198:199], -v[6:7]
	v_fmac_f64_e32 v[202:203], v[4:5], v[198:199]
	scratch_store_dwordx4 off, v[200:203], off offset:448
.LBB62_467:
	s_or_b64 exec, exec, s[4:5]
	scratch_load_dwordx4 v[2:5], v171, off
	v_cmp_lt_u32_e64 s[2:3], 27, v0
	s_waitcnt vmcnt(0)
	ds_write_b128 v9, v[2:5]
	s_waitcnt lgkmcnt(0)
	; wave barrier
	s_waitcnt lgkmcnt(0)
	s_and_saveexec_b64 s[4:5], s[2:3]
	s_cbranch_execz .LBB62_481
; %bb.468:
	ds_read_b128 v[2:5], v9
	s_andn2_b64 vcc, exec, s[6:7]
	s_cbranch_vccnz .LBB62_470
; %bb.469:
	scratch_load_dwordx4 v[198:201], v8, off
	s_waitcnt vmcnt(0) lgkmcnt(0)
	v_mul_f64 v[64:65], v[2:3], v[200:201]
	v_mul_f64 v[6:7], v[4:5], v[200:201]
	v_fmac_f64_e32 v[64:65], v[4:5], v[198:199]
	v_fma_f64 v[2:3], v[2:3], v[198:199], -v[6:7]
	v_mov_b64_e32 v[4:5], v[64:65]
.LBB62_470:
	s_and_saveexec_b64 s[8:9], s[0:1]
	s_cbranch_execz .LBB62_480
; %bb.471:
	v_subrev_u32_e32 v7, 29, v0
	v_subrev_u32_e32 v6, 28, v0
	v_cmp_lt_u32_e32 vcc, 6, v7
	v_mov_b32_e32 v199, 28
	s_and_saveexec_b64 s[0:1], vcc
	s_cbranch_execz .LBB62_475
; %bb.472:
	v_and_b32_e32 v7, -8, v6
	s_mov_b32 s12, 0
	s_mov_b64 s[10:11], 0
	v_mov_b32_e32 v198, 0
	s_mov_b32 s13, 0
.LBB62_473:                             ; =>This Inner Loop Header: Depth=1
	v_readfirstlane_b32 s14, v198
	s_add_i32 s14, s14, s12
	s_add_i32 s15, s14, 0x1c0
	v_mov_b32_e32 v199, s12
	ds_read_b128 v[200:203], v199 offset:1456
	ds_read_b128 v[204:207], v199 offset:1472
	;; [unrolled: 1-line block ×4, first 2 shown]
	scratch_load_dwordx4 v[216:219], off, s15
	s_add_i32 s15, s14, 0x1d0
	s_addk_i32 s12, 0x80
	s_waitcnt vmcnt(0) lgkmcnt(3)
	v_mul_f64 v[64:65], v[202:203], v[218:219]
	v_fma_f64 v[64:65], v[200:201], v[216:217], -v[64:65]
	v_mul_f64 v[200:201], v[200:201], v[218:219]
	v_fmac_f64_e32 v[200:201], v[202:203], v[216:217]
	v_add_f64 v[64:65], v[2:3], v[64:65]
	v_add_f64 v[200:201], v[4:5], v[200:201]
	scratch_load_dwordx4 v[2:5], off, s15
	s_add_i32 s15, s14, 0x1e0
	s_waitcnt vmcnt(0) lgkmcnt(2)
	v_mul_f64 v[202:203], v[206:207], v[4:5]
	v_mul_f64 v[4:5], v[204:205], v[4:5]
	v_fmac_f64_e32 v[4:5], v[206:207], v[2:3]
	v_fma_f64 v[202:203], v[204:205], v[2:3], -v[202:203]
	v_add_f64 v[200:201], v[200:201], v[4:5]
	scratch_load_dwordx4 v[2:5], off, s15
	v_add_f64 v[64:65], v[64:65], v[202:203]
	s_add_i32 s15, s14, 0x1f0
	s_waitcnt vmcnt(0) lgkmcnt(1)
	v_mul_f64 v[202:203], v[210:211], v[4:5]
	v_mul_f64 v[4:5], v[208:209], v[4:5]
	v_fmac_f64_e32 v[4:5], v[210:211], v[2:3]
	v_fma_f64 v[202:203], v[208:209], v[2:3], -v[202:203]
	v_add_f64 v[200:201], v[200:201], v[4:5]
	scratch_load_dwordx4 v[2:5], off, s15
	v_add_f64 v[64:65], v[64:65], v[202:203]
	s_add_i32 s15, s14, 0x200
	s_waitcnt vmcnt(0) lgkmcnt(0)
	v_mul_f64 v[202:203], v[214:215], v[4:5]
	v_mul_f64 v[4:5], v[212:213], v[4:5]
	v_fma_f64 v[202:203], v[212:213], v[2:3], -v[202:203]
	v_fmac_f64_e32 v[4:5], v[214:215], v[2:3]
	v_add_f64 v[64:65], v[64:65], v[202:203]
	v_add_f64 v[204:205], v[200:201], v[4:5]
	scratch_load_dwordx4 v[200:203], off, s15
	ds_read_b128 v[2:5], v199 offset:1520
	s_add_i32 s15, s14, 0x210
	s_waitcnt vmcnt(0) lgkmcnt(0)
	v_mul_f64 v[206:207], v[4:5], v[202:203]
	v_fma_f64 v[206:207], v[2:3], v[200:201], -v[206:207]
	v_mul_f64 v[2:3], v[2:3], v[202:203]
	v_fmac_f64_e32 v[2:3], v[4:5], v[200:201]
	scratch_load_dwordx4 v[200:203], off, s15
	v_add_f64 v[204:205], v[204:205], v[2:3]
	ds_read_b128 v[2:5], v199 offset:1536
	v_add_f64 v[64:65], v[64:65], v[206:207]
	s_add_i32 s15, s14, 0x220
	s_addk_i32 s14, 0x230
	s_waitcnt vmcnt(0) lgkmcnt(0)
	v_mul_f64 v[206:207], v[4:5], v[202:203]
	v_fma_f64 v[206:207], v[2:3], v[200:201], -v[206:207]
	v_mul_f64 v[2:3], v[2:3], v[202:203]
	v_fmac_f64_e32 v[2:3], v[4:5], v[200:201]
	scratch_load_dwordx4 v[200:203], off, s15
	v_add_f64 v[204:205], v[204:205], v[2:3]
	ds_read_b128 v[2:5], v199 offset:1552
	v_add_f64 v[64:65], v[64:65], v[206:207]
	s_waitcnt vmcnt(0) lgkmcnt(0)
	v_mul_f64 v[206:207], v[4:5], v[202:203]
	v_fma_f64 v[206:207], v[2:3], v[200:201], -v[206:207]
	v_mul_f64 v[2:3], v[2:3], v[202:203]
	v_fmac_f64_e32 v[2:3], v[4:5], v[200:201]
	scratch_load_dwordx4 v[200:203], off, s14
	v_add_f64 v[204:205], v[204:205], v[2:3]
	ds_read_b128 v[2:5], v199 offset:1568
	v_add_f64 v[64:65], v[64:65], v[206:207]
	s_add_i32 s14, s13, 8
	v_cmp_eq_u32_e32 vcc, s14, v7
	s_add_i32 s13, s13, 36
	s_or_b64 s[10:11], vcc, s[10:11]
	v_mov_b32_e32 v199, s13
	s_mov_b32 s13, s14
	s_waitcnt vmcnt(0) lgkmcnt(0)
	v_mul_f64 v[206:207], v[4:5], v[202:203]
	v_mul_f64 v[202:203], v[2:3], v[202:203]
	v_fma_f64 v[206:207], v[2:3], v[200:201], -v[206:207]
	v_fmac_f64_e32 v[202:203], v[4:5], v[200:201]
	v_add_f64 v[2:3], v[64:65], v[206:207]
	v_add_f64 v[4:5], v[204:205], v[202:203]
	s_andn2_b64 exec, exec, s[10:11]
	s_cbranch_execnz .LBB62_473
; %bb.474:
	s_or_b64 exec, exec, s[10:11]
.LBB62_475:
	s_or_b64 exec, exec, s[0:1]
	v_and_b32_e32 v6, 7, v6
	v_cmp_ne_u32_e32 vcc, 0, v6
	s_and_saveexec_b64 s[0:1], vcc
	s_cbranch_execz .LBB62_479
; %bb.476:
	v_lshlrev_b32_e32 v64, 4, v199
	v_add_u32_e32 v7, 0x3f0, v64
	v_add_u32_e32 v198, 0, v64
	s_mov_b64 s[10:11], 0
.LBB62_477:                             ; =>This Inner Loop Header: Depth=1
	scratch_load_dwordx4 v[200:203], v198, off
	ds_read_b128 v[204:207], v7
	v_add_u32_e32 v6, -1, v6
	v_cmp_eq_u32_e32 vcc, 0, v6
	v_add_u32_e32 v7, 16, v7
	v_add_u32_e32 v198, 16, v198
	s_or_b64 s[10:11], vcc, s[10:11]
	s_waitcnt vmcnt(0) lgkmcnt(0)
	v_mul_f64 v[64:65], v[206:207], v[202:203]
	v_mul_f64 v[202:203], v[204:205], v[202:203]
	v_fma_f64 v[64:65], v[204:205], v[200:201], -v[64:65]
	v_fmac_f64_e32 v[202:203], v[206:207], v[200:201]
	v_add_f64 v[2:3], v[2:3], v[64:65]
	v_add_f64 v[4:5], v[4:5], v[202:203]
	s_andn2_b64 exec, exec, s[10:11]
	s_cbranch_execnz .LBB62_477
; %bb.478:
	s_or_b64 exec, exec, s[10:11]
.LBB62_479:
	s_or_b64 exec, exec, s[0:1]
.LBB62_480:
	s_or_b64 exec, exec, s[8:9]
	v_mov_b32_e32 v6, 0
	ds_read_b128 v[198:201], v6 offset:432
	s_waitcnt lgkmcnt(0)
	v_mul_f64 v[6:7], v[4:5], v[200:201]
	v_mul_f64 v[202:203], v[2:3], v[200:201]
	v_fma_f64 v[200:201], v[2:3], v[198:199], -v[6:7]
	v_fmac_f64_e32 v[202:203], v[4:5], v[198:199]
	scratch_store_dwordx4 off, v[200:203], off offset:432
.LBB62_481:
	s_or_b64 exec, exec, s[4:5]
	scratch_load_dwordx4 v[2:5], v172, off
	v_cmp_lt_u32_e64 s[0:1], 26, v0
	s_waitcnt vmcnt(0)
	ds_write_b128 v9, v[2:5]
	s_waitcnt lgkmcnt(0)
	; wave barrier
	s_waitcnt lgkmcnt(0)
	s_and_saveexec_b64 s[4:5], s[0:1]
	s_cbranch_execz .LBB62_495
; %bb.482:
	ds_read_b128 v[2:5], v9
	s_andn2_b64 vcc, exec, s[6:7]
	s_cbranch_vccnz .LBB62_484
; %bb.483:
	scratch_load_dwordx4 v[198:201], v8, off
	s_waitcnt vmcnt(0) lgkmcnt(0)
	v_mul_f64 v[64:65], v[2:3], v[200:201]
	v_mul_f64 v[6:7], v[4:5], v[200:201]
	v_fmac_f64_e32 v[64:65], v[4:5], v[198:199]
	v_fma_f64 v[2:3], v[2:3], v[198:199], -v[6:7]
	v_mov_b64_e32 v[4:5], v[64:65]
.LBB62_484:
	s_and_saveexec_b64 s[8:9], s[2:3]
	s_cbranch_execz .LBB62_494
; %bb.485:
	v_subrev_u32_e32 v7, 28, v0
	v_subrev_u32_e32 v6, 27, v0
	v_cmp_lt_u32_e32 vcc, 6, v7
	v_mov_b32_e32 v199, 27
	s_and_saveexec_b64 s[2:3], vcc
	s_cbranch_execz .LBB62_489
; %bb.486:
	v_and_b32_e32 v7, -8, v6
	s_mov_b32 s12, 0
	s_mov_b64 s[10:11], 0
	v_mov_b32_e32 v198, 0
	s_mov_b32 s13, 0
.LBB62_487:                             ; =>This Inner Loop Header: Depth=1
	v_readfirstlane_b32 s14, v198
	s_add_i32 s14, s14, s12
	s_add_i32 s15, s14, 0x1b0
	v_mov_b32_e32 v199, s12
	ds_read_b128 v[200:203], v199 offset:1440
	ds_read_b128 v[204:207], v199 offset:1456
	;; [unrolled: 1-line block ×4, first 2 shown]
	scratch_load_dwordx4 v[216:219], off, s15
	s_add_i32 s15, s14, 0x1c0
	s_addk_i32 s12, 0x80
	s_waitcnt vmcnt(0) lgkmcnt(3)
	v_mul_f64 v[64:65], v[202:203], v[218:219]
	v_fma_f64 v[64:65], v[200:201], v[216:217], -v[64:65]
	v_mul_f64 v[200:201], v[200:201], v[218:219]
	v_fmac_f64_e32 v[200:201], v[202:203], v[216:217]
	v_add_f64 v[64:65], v[2:3], v[64:65]
	v_add_f64 v[200:201], v[4:5], v[200:201]
	scratch_load_dwordx4 v[2:5], off, s15
	s_add_i32 s15, s14, 0x1d0
	s_waitcnt vmcnt(0) lgkmcnt(2)
	v_mul_f64 v[202:203], v[206:207], v[4:5]
	v_mul_f64 v[4:5], v[204:205], v[4:5]
	v_fmac_f64_e32 v[4:5], v[206:207], v[2:3]
	v_fma_f64 v[202:203], v[204:205], v[2:3], -v[202:203]
	v_add_f64 v[200:201], v[200:201], v[4:5]
	scratch_load_dwordx4 v[2:5], off, s15
	v_add_f64 v[64:65], v[64:65], v[202:203]
	s_add_i32 s15, s14, 0x1e0
	s_waitcnt vmcnt(0) lgkmcnt(1)
	v_mul_f64 v[202:203], v[210:211], v[4:5]
	v_mul_f64 v[4:5], v[208:209], v[4:5]
	v_fmac_f64_e32 v[4:5], v[210:211], v[2:3]
	v_fma_f64 v[202:203], v[208:209], v[2:3], -v[202:203]
	v_add_f64 v[200:201], v[200:201], v[4:5]
	scratch_load_dwordx4 v[2:5], off, s15
	v_add_f64 v[64:65], v[64:65], v[202:203]
	s_add_i32 s15, s14, 0x1f0
	s_waitcnt vmcnt(0) lgkmcnt(0)
	v_mul_f64 v[202:203], v[214:215], v[4:5]
	v_mul_f64 v[4:5], v[212:213], v[4:5]
	v_fma_f64 v[202:203], v[212:213], v[2:3], -v[202:203]
	v_fmac_f64_e32 v[4:5], v[214:215], v[2:3]
	v_add_f64 v[64:65], v[64:65], v[202:203]
	v_add_f64 v[204:205], v[200:201], v[4:5]
	scratch_load_dwordx4 v[200:203], off, s15
	ds_read_b128 v[2:5], v199 offset:1504
	s_add_i32 s15, s14, 0x200
	s_waitcnt vmcnt(0) lgkmcnt(0)
	v_mul_f64 v[206:207], v[4:5], v[202:203]
	v_fma_f64 v[206:207], v[2:3], v[200:201], -v[206:207]
	v_mul_f64 v[2:3], v[2:3], v[202:203]
	v_fmac_f64_e32 v[2:3], v[4:5], v[200:201]
	scratch_load_dwordx4 v[200:203], off, s15
	v_add_f64 v[204:205], v[204:205], v[2:3]
	ds_read_b128 v[2:5], v199 offset:1520
	v_add_f64 v[64:65], v[64:65], v[206:207]
	s_add_i32 s15, s14, 0x210
	s_addk_i32 s14, 0x220
	s_waitcnt vmcnt(0) lgkmcnt(0)
	v_mul_f64 v[206:207], v[4:5], v[202:203]
	v_fma_f64 v[206:207], v[2:3], v[200:201], -v[206:207]
	v_mul_f64 v[2:3], v[2:3], v[202:203]
	v_fmac_f64_e32 v[2:3], v[4:5], v[200:201]
	scratch_load_dwordx4 v[200:203], off, s15
	v_add_f64 v[204:205], v[204:205], v[2:3]
	ds_read_b128 v[2:5], v199 offset:1536
	v_add_f64 v[64:65], v[64:65], v[206:207]
	s_waitcnt vmcnt(0) lgkmcnt(0)
	v_mul_f64 v[206:207], v[4:5], v[202:203]
	v_fma_f64 v[206:207], v[2:3], v[200:201], -v[206:207]
	v_mul_f64 v[2:3], v[2:3], v[202:203]
	v_fmac_f64_e32 v[2:3], v[4:5], v[200:201]
	scratch_load_dwordx4 v[200:203], off, s14
	v_add_f64 v[204:205], v[204:205], v[2:3]
	ds_read_b128 v[2:5], v199 offset:1552
	v_add_f64 v[64:65], v[64:65], v[206:207]
	s_add_i32 s14, s13, 8
	v_cmp_eq_u32_e32 vcc, s14, v7
	s_add_i32 s13, s13, 35
	s_or_b64 s[10:11], vcc, s[10:11]
	v_mov_b32_e32 v199, s13
	s_mov_b32 s13, s14
	s_waitcnt vmcnt(0) lgkmcnt(0)
	v_mul_f64 v[206:207], v[4:5], v[202:203]
	v_mul_f64 v[202:203], v[2:3], v[202:203]
	v_fma_f64 v[206:207], v[2:3], v[200:201], -v[206:207]
	v_fmac_f64_e32 v[202:203], v[4:5], v[200:201]
	v_add_f64 v[2:3], v[64:65], v[206:207]
	v_add_f64 v[4:5], v[204:205], v[202:203]
	s_andn2_b64 exec, exec, s[10:11]
	s_cbranch_execnz .LBB62_487
; %bb.488:
	s_or_b64 exec, exec, s[10:11]
.LBB62_489:
	s_or_b64 exec, exec, s[2:3]
	v_and_b32_e32 v6, 7, v6
	v_cmp_ne_u32_e32 vcc, 0, v6
	s_and_saveexec_b64 s[2:3], vcc
	s_cbranch_execz .LBB62_493
; %bb.490:
	v_lshlrev_b32_e32 v64, 4, v199
	v_add_u32_e32 v7, 0x3f0, v64
	v_add_u32_e32 v198, 0, v64
	s_mov_b64 s[10:11], 0
.LBB62_491:                             ; =>This Inner Loop Header: Depth=1
	scratch_load_dwordx4 v[200:203], v198, off
	ds_read_b128 v[204:207], v7
	v_add_u32_e32 v6, -1, v6
	v_cmp_eq_u32_e32 vcc, 0, v6
	v_add_u32_e32 v7, 16, v7
	v_add_u32_e32 v198, 16, v198
	s_or_b64 s[10:11], vcc, s[10:11]
	s_waitcnt vmcnt(0) lgkmcnt(0)
	v_mul_f64 v[64:65], v[206:207], v[202:203]
	v_mul_f64 v[202:203], v[204:205], v[202:203]
	v_fma_f64 v[64:65], v[204:205], v[200:201], -v[64:65]
	v_fmac_f64_e32 v[202:203], v[206:207], v[200:201]
	v_add_f64 v[2:3], v[2:3], v[64:65]
	v_add_f64 v[4:5], v[4:5], v[202:203]
	s_andn2_b64 exec, exec, s[10:11]
	s_cbranch_execnz .LBB62_491
; %bb.492:
	s_or_b64 exec, exec, s[10:11]
.LBB62_493:
	s_or_b64 exec, exec, s[2:3]
.LBB62_494:
	s_or_b64 exec, exec, s[8:9]
	v_mov_b32_e32 v6, 0
	ds_read_b128 v[198:201], v6 offset:416
	s_waitcnt lgkmcnt(0)
	v_mul_f64 v[6:7], v[4:5], v[200:201]
	v_mul_f64 v[202:203], v[2:3], v[200:201]
	v_fma_f64 v[200:201], v[2:3], v[198:199], -v[6:7]
	v_fmac_f64_e32 v[202:203], v[4:5], v[198:199]
	scratch_store_dwordx4 off, v[200:203], off offset:416
.LBB62_495:
	s_or_b64 exec, exec, s[4:5]
	scratch_load_dwordx4 v[2:5], v173, off
	v_cmp_lt_u32_e64 s[2:3], 25, v0
	s_waitcnt vmcnt(0)
	ds_write_b128 v9, v[2:5]
	s_waitcnt lgkmcnt(0)
	; wave barrier
	s_waitcnt lgkmcnt(0)
	s_and_saveexec_b64 s[4:5], s[2:3]
	s_cbranch_execz .LBB62_509
; %bb.496:
	ds_read_b128 v[2:5], v9
	s_andn2_b64 vcc, exec, s[6:7]
	s_cbranch_vccnz .LBB62_498
; %bb.497:
	scratch_load_dwordx4 v[198:201], v8, off
	s_waitcnt vmcnt(0) lgkmcnt(0)
	v_mul_f64 v[64:65], v[2:3], v[200:201]
	v_mul_f64 v[6:7], v[4:5], v[200:201]
	v_fmac_f64_e32 v[64:65], v[4:5], v[198:199]
	v_fma_f64 v[2:3], v[2:3], v[198:199], -v[6:7]
	v_mov_b64_e32 v[4:5], v[64:65]
.LBB62_498:
	s_and_saveexec_b64 s[8:9], s[0:1]
	s_cbranch_execz .LBB62_508
; %bb.499:
	v_subrev_u32_e32 v7, 27, v0
	v_subrev_u32_e32 v6, 26, v0
	v_cmp_lt_u32_e32 vcc, 6, v7
	v_mov_b32_e32 v199, 26
	s_and_saveexec_b64 s[0:1], vcc
	s_cbranch_execz .LBB62_503
; %bb.500:
	v_and_b32_e32 v7, -8, v6
	s_mov_b32 s12, 0
	s_mov_b64 s[10:11], 0
	v_mov_b32_e32 v198, 0
	s_mov_b32 s13, 0
.LBB62_501:                             ; =>This Inner Loop Header: Depth=1
	v_readfirstlane_b32 s14, v198
	s_add_i32 s14, s14, s12
	s_add_i32 s15, s14, 0x1a0
	v_mov_b32_e32 v199, s12
	ds_read_b128 v[200:203], v199 offset:1424
	ds_read_b128 v[204:207], v199 offset:1440
	;; [unrolled: 1-line block ×4, first 2 shown]
	scratch_load_dwordx4 v[216:219], off, s15
	s_add_i32 s15, s14, 0x1b0
	s_addk_i32 s12, 0x80
	s_waitcnt vmcnt(0) lgkmcnt(3)
	v_mul_f64 v[64:65], v[202:203], v[218:219]
	v_fma_f64 v[64:65], v[200:201], v[216:217], -v[64:65]
	v_mul_f64 v[200:201], v[200:201], v[218:219]
	v_fmac_f64_e32 v[200:201], v[202:203], v[216:217]
	v_add_f64 v[64:65], v[2:3], v[64:65]
	v_add_f64 v[200:201], v[4:5], v[200:201]
	scratch_load_dwordx4 v[2:5], off, s15
	s_add_i32 s15, s14, 0x1c0
	s_waitcnt vmcnt(0) lgkmcnt(2)
	v_mul_f64 v[202:203], v[206:207], v[4:5]
	v_mul_f64 v[4:5], v[204:205], v[4:5]
	v_fmac_f64_e32 v[4:5], v[206:207], v[2:3]
	v_fma_f64 v[202:203], v[204:205], v[2:3], -v[202:203]
	v_add_f64 v[200:201], v[200:201], v[4:5]
	scratch_load_dwordx4 v[2:5], off, s15
	v_add_f64 v[64:65], v[64:65], v[202:203]
	s_add_i32 s15, s14, 0x1d0
	s_waitcnt vmcnt(0) lgkmcnt(1)
	v_mul_f64 v[202:203], v[210:211], v[4:5]
	v_mul_f64 v[4:5], v[208:209], v[4:5]
	v_fmac_f64_e32 v[4:5], v[210:211], v[2:3]
	v_fma_f64 v[202:203], v[208:209], v[2:3], -v[202:203]
	v_add_f64 v[200:201], v[200:201], v[4:5]
	scratch_load_dwordx4 v[2:5], off, s15
	v_add_f64 v[64:65], v[64:65], v[202:203]
	s_add_i32 s15, s14, 0x1e0
	s_waitcnt vmcnt(0) lgkmcnt(0)
	v_mul_f64 v[202:203], v[214:215], v[4:5]
	v_mul_f64 v[4:5], v[212:213], v[4:5]
	v_fma_f64 v[202:203], v[212:213], v[2:3], -v[202:203]
	v_fmac_f64_e32 v[4:5], v[214:215], v[2:3]
	v_add_f64 v[64:65], v[64:65], v[202:203]
	v_add_f64 v[204:205], v[200:201], v[4:5]
	scratch_load_dwordx4 v[200:203], off, s15
	ds_read_b128 v[2:5], v199 offset:1488
	s_add_i32 s15, s14, 0x1f0
	s_waitcnt vmcnt(0) lgkmcnt(0)
	v_mul_f64 v[206:207], v[4:5], v[202:203]
	v_fma_f64 v[206:207], v[2:3], v[200:201], -v[206:207]
	v_mul_f64 v[2:3], v[2:3], v[202:203]
	v_fmac_f64_e32 v[2:3], v[4:5], v[200:201]
	scratch_load_dwordx4 v[200:203], off, s15
	v_add_f64 v[204:205], v[204:205], v[2:3]
	ds_read_b128 v[2:5], v199 offset:1504
	v_add_f64 v[64:65], v[64:65], v[206:207]
	s_add_i32 s15, s14, 0x200
	s_addk_i32 s14, 0x210
	s_waitcnt vmcnt(0) lgkmcnt(0)
	v_mul_f64 v[206:207], v[4:5], v[202:203]
	v_fma_f64 v[206:207], v[2:3], v[200:201], -v[206:207]
	v_mul_f64 v[2:3], v[2:3], v[202:203]
	v_fmac_f64_e32 v[2:3], v[4:5], v[200:201]
	scratch_load_dwordx4 v[200:203], off, s15
	v_add_f64 v[204:205], v[204:205], v[2:3]
	ds_read_b128 v[2:5], v199 offset:1520
	v_add_f64 v[64:65], v[64:65], v[206:207]
	s_waitcnt vmcnt(0) lgkmcnt(0)
	v_mul_f64 v[206:207], v[4:5], v[202:203]
	v_fma_f64 v[206:207], v[2:3], v[200:201], -v[206:207]
	v_mul_f64 v[2:3], v[2:3], v[202:203]
	v_fmac_f64_e32 v[2:3], v[4:5], v[200:201]
	scratch_load_dwordx4 v[200:203], off, s14
	v_add_f64 v[204:205], v[204:205], v[2:3]
	ds_read_b128 v[2:5], v199 offset:1536
	v_add_f64 v[64:65], v[64:65], v[206:207]
	s_add_i32 s14, s13, 8
	v_cmp_eq_u32_e32 vcc, s14, v7
	s_add_i32 s13, s13, 34
	s_or_b64 s[10:11], vcc, s[10:11]
	v_mov_b32_e32 v199, s13
	s_mov_b32 s13, s14
	s_waitcnt vmcnt(0) lgkmcnt(0)
	v_mul_f64 v[206:207], v[4:5], v[202:203]
	v_mul_f64 v[202:203], v[2:3], v[202:203]
	v_fma_f64 v[206:207], v[2:3], v[200:201], -v[206:207]
	v_fmac_f64_e32 v[202:203], v[4:5], v[200:201]
	v_add_f64 v[2:3], v[64:65], v[206:207]
	v_add_f64 v[4:5], v[204:205], v[202:203]
	s_andn2_b64 exec, exec, s[10:11]
	s_cbranch_execnz .LBB62_501
; %bb.502:
	s_or_b64 exec, exec, s[10:11]
.LBB62_503:
	s_or_b64 exec, exec, s[0:1]
	v_and_b32_e32 v6, 7, v6
	v_cmp_ne_u32_e32 vcc, 0, v6
	s_and_saveexec_b64 s[0:1], vcc
	s_cbranch_execz .LBB62_507
; %bb.504:
	v_lshlrev_b32_e32 v64, 4, v199
	v_add_u32_e32 v7, 0x3f0, v64
	v_add_u32_e32 v198, 0, v64
	s_mov_b64 s[10:11], 0
.LBB62_505:                             ; =>This Inner Loop Header: Depth=1
	scratch_load_dwordx4 v[200:203], v198, off
	ds_read_b128 v[204:207], v7
	v_add_u32_e32 v6, -1, v6
	v_cmp_eq_u32_e32 vcc, 0, v6
	v_add_u32_e32 v7, 16, v7
	v_add_u32_e32 v198, 16, v198
	s_or_b64 s[10:11], vcc, s[10:11]
	s_waitcnt vmcnt(0) lgkmcnt(0)
	v_mul_f64 v[64:65], v[206:207], v[202:203]
	v_mul_f64 v[202:203], v[204:205], v[202:203]
	v_fma_f64 v[64:65], v[204:205], v[200:201], -v[64:65]
	v_fmac_f64_e32 v[202:203], v[206:207], v[200:201]
	v_add_f64 v[2:3], v[2:3], v[64:65]
	v_add_f64 v[4:5], v[4:5], v[202:203]
	s_andn2_b64 exec, exec, s[10:11]
	s_cbranch_execnz .LBB62_505
; %bb.506:
	s_or_b64 exec, exec, s[10:11]
.LBB62_507:
	s_or_b64 exec, exec, s[0:1]
.LBB62_508:
	s_or_b64 exec, exec, s[8:9]
	v_mov_b32_e32 v6, 0
	ds_read_b128 v[198:201], v6 offset:400
	s_waitcnt lgkmcnt(0)
	v_mul_f64 v[6:7], v[4:5], v[200:201]
	v_mul_f64 v[202:203], v[2:3], v[200:201]
	v_fma_f64 v[200:201], v[2:3], v[198:199], -v[6:7]
	v_fmac_f64_e32 v[202:203], v[4:5], v[198:199]
	scratch_store_dwordx4 off, v[200:203], off offset:400
.LBB62_509:
	s_or_b64 exec, exec, s[4:5]
	scratch_load_dwordx4 v[2:5], v174, off
	v_cmp_lt_u32_e64 s[0:1], 24, v0
	s_waitcnt vmcnt(0)
	ds_write_b128 v9, v[2:5]
	s_waitcnt lgkmcnt(0)
	; wave barrier
	s_waitcnt lgkmcnt(0)
	s_and_saveexec_b64 s[4:5], s[0:1]
	s_cbranch_execz .LBB62_523
; %bb.510:
	ds_read_b128 v[2:5], v9
	s_andn2_b64 vcc, exec, s[6:7]
	s_cbranch_vccnz .LBB62_512
; %bb.511:
	scratch_load_dwordx4 v[198:201], v8, off
	s_waitcnt vmcnt(0) lgkmcnt(0)
	v_mul_f64 v[64:65], v[2:3], v[200:201]
	v_mul_f64 v[6:7], v[4:5], v[200:201]
	v_fmac_f64_e32 v[64:65], v[4:5], v[198:199]
	v_fma_f64 v[2:3], v[2:3], v[198:199], -v[6:7]
	v_mov_b64_e32 v[4:5], v[64:65]
.LBB62_512:
	s_and_saveexec_b64 s[8:9], s[2:3]
	s_cbranch_execz .LBB62_522
; %bb.513:
	v_subrev_u32_e32 v7, 26, v0
	v_subrev_u32_e32 v6, 25, v0
	v_cmp_lt_u32_e32 vcc, 6, v7
	v_mov_b32_e32 v199, 25
	s_and_saveexec_b64 s[2:3], vcc
	s_cbranch_execz .LBB62_517
; %bb.514:
	v_and_b32_e32 v7, -8, v6
	s_mov_b32 s12, 0
	s_mov_b64 s[10:11], 0
	v_mov_b32_e32 v198, 0
	s_mov_b32 s13, 0
.LBB62_515:                             ; =>This Inner Loop Header: Depth=1
	v_readfirstlane_b32 s14, v198
	s_add_i32 s14, s14, s12
	s_add_i32 s15, s14, 0x190
	v_mov_b32_e32 v199, s12
	ds_read_b128 v[200:203], v199 offset:1408
	ds_read_b128 v[204:207], v199 offset:1424
	;; [unrolled: 1-line block ×4, first 2 shown]
	scratch_load_dwordx4 v[216:219], off, s15
	s_add_i32 s15, s14, 0x1a0
	s_addk_i32 s12, 0x80
	s_waitcnt vmcnt(0) lgkmcnt(3)
	v_mul_f64 v[64:65], v[202:203], v[218:219]
	v_fma_f64 v[64:65], v[200:201], v[216:217], -v[64:65]
	v_mul_f64 v[200:201], v[200:201], v[218:219]
	v_fmac_f64_e32 v[200:201], v[202:203], v[216:217]
	v_add_f64 v[64:65], v[2:3], v[64:65]
	v_add_f64 v[200:201], v[4:5], v[200:201]
	scratch_load_dwordx4 v[2:5], off, s15
	s_add_i32 s15, s14, 0x1b0
	s_waitcnt vmcnt(0) lgkmcnt(2)
	v_mul_f64 v[202:203], v[206:207], v[4:5]
	v_mul_f64 v[4:5], v[204:205], v[4:5]
	v_fmac_f64_e32 v[4:5], v[206:207], v[2:3]
	v_fma_f64 v[202:203], v[204:205], v[2:3], -v[202:203]
	v_add_f64 v[200:201], v[200:201], v[4:5]
	scratch_load_dwordx4 v[2:5], off, s15
	v_add_f64 v[64:65], v[64:65], v[202:203]
	s_add_i32 s15, s14, 0x1c0
	s_waitcnt vmcnt(0) lgkmcnt(1)
	v_mul_f64 v[202:203], v[210:211], v[4:5]
	v_mul_f64 v[4:5], v[208:209], v[4:5]
	v_fmac_f64_e32 v[4:5], v[210:211], v[2:3]
	v_fma_f64 v[202:203], v[208:209], v[2:3], -v[202:203]
	v_add_f64 v[200:201], v[200:201], v[4:5]
	scratch_load_dwordx4 v[2:5], off, s15
	v_add_f64 v[64:65], v[64:65], v[202:203]
	s_add_i32 s15, s14, 0x1d0
	s_waitcnt vmcnt(0) lgkmcnt(0)
	v_mul_f64 v[202:203], v[214:215], v[4:5]
	v_mul_f64 v[4:5], v[212:213], v[4:5]
	v_fma_f64 v[202:203], v[212:213], v[2:3], -v[202:203]
	v_fmac_f64_e32 v[4:5], v[214:215], v[2:3]
	v_add_f64 v[64:65], v[64:65], v[202:203]
	v_add_f64 v[204:205], v[200:201], v[4:5]
	scratch_load_dwordx4 v[200:203], off, s15
	ds_read_b128 v[2:5], v199 offset:1472
	s_add_i32 s15, s14, 0x1e0
	s_waitcnt vmcnt(0) lgkmcnt(0)
	v_mul_f64 v[206:207], v[4:5], v[202:203]
	v_fma_f64 v[206:207], v[2:3], v[200:201], -v[206:207]
	v_mul_f64 v[2:3], v[2:3], v[202:203]
	v_fmac_f64_e32 v[2:3], v[4:5], v[200:201]
	scratch_load_dwordx4 v[200:203], off, s15
	v_add_f64 v[204:205], v[204:205], v[2:3]
	ds_read_b128 v[2:5], v199 offset:1488
	v_add_f64 v[64:65], v[64:65], v[206:207]
	s_add_i32 s15, s14, 0x1f0
	s_addk_i32 s14, 0x200
	s_waitcnt vmcnt(0) lgkmcnt(0)
	v_mul_f64 v[206:207], v[4:5], v[202:203]
	v_fma_f64 v[206:207], v[2:3], v[200:201], -v[206:207]
	v_mul_f64 v[2:3], v[2:3], v[202:203]
	v_fmac_f64_e32 v[2:3], v[4:5], v[200:201]
	scratch_load_dwordx4 v[200:203], off, s15
	v_add_f64 v[204:205], v[204:205], v[2:3]
	ds_read_b128 v[2:5], v199 offset:1504
	v_add_f64 v[64:65], v[64:65], v[206:207]
	s_waitcnt vmcnt(0) lgkmcnt(0)
	v_mul_f64 v[206:207], v[4:5], v[202:203]
	v_fma_f64 v[206:207], v[2:3], v[200:201], -v[206:207]
	v_mul_f64 v[2:3], v[2:3], v[202:203]
	v_fmac_f64_e32 v[2:3], v[4:5], v[200:201]
	scratch_load_dwordx4 v[200:203], off, s14
	v_add_f64 v[204:205], v[204:205], v[2:3]
	ds_read_b128 v[2:5], v199 offset:1520
	v_add_f64 v[64:65], v[64:65], v[206:207]
	s_add_i32 s14, s13, 8
	v_cmp_eq_u32_e32 vcc, s14, v7
	s_add_i32 s13, s13, 33
	s_or_b64 s[10:11], vcc, s[10:11]
	v_mov_b32_e32 v199, s13
	s_mov_b32 s13, s14
	s_waitcnt vmcnt(0) lgkmcnt(0)
	v_mul_f64 v[206:207], v[4:5], v[202:203]
	v_mul_f64 v[202:203], v[2:3], v[202:203]
	v_fma_f64 v[206:207], v[2:3], v[200:201], -v[206:207]
	v_fmac_f64_e32 v[202:203], v[4:5], v[200:201]
	v_add_f64 v[2:3], v[64:65], v[206:207]
	v_add_f64 v[4:5], v[204:205], v[202:203]
	s_andn2_b64 exec, exec, s[10:11]
	s_cbranch_execnz .LBB62_515
; %bb.516:
	s_or_b64 exec, exec, s[10:11]
.LBB62_517:
	s_or_b64 exec, exec, s[2:3]
	v_and_b32_e32 v6, 7, v6
	v_cmp_ne_u32_e32 vcc, 0, v6
	s_and_saveexec_b64 s[2:3], vcc
	s_cbranch_execz .LBB62_521
; %bb.518:
	v_lshlrev_b32_e32 v64, 4, v199
	v_add_u32_e32 v7, 0x3f0, v64
	v_add_u32_e32 v198, 0, v64
	s_mov_b64 s[10:11], 0
.LBB62_519:                             ; =>This Inner Loop Header: Depth=1
	scratch_load_dwordx4 v[200:203], v198, off
	ds_read_b128 v[204:207], v7
	v_add_u32_e32 v6, -1, v6
	v_cmp_eq_u32_e32 vcc, 0, v6
	v_add_u32_e32 v7, 16, v7
	v_add_u32_e32 v198, 16, v198
	s_or_b64 s[10:11], vcc, s[10:11]
	s_waitcnt vmcnt(0) lgkmcnt(0)
	v_mul_f64 v[64:65], v[206:207], v[202:203]
	v_mul_f64 v[202:203], v[204:205], v[202:203]
	v_fma_f64 v[64:65], v[204:205], v[200:201], -v[64:65]
	v_fmac_f64_e32 v[202:203], v[206:207], v[200:201]
	v_add_f64 v[2:3], v[2:3], v[64:65]
	v_add_f64 v[4:5], v[4:5], v[202:203]
	s_andn2_b64 exec, exec, s[10:11]
	s_cbranch_execnz .LBB62_519
; %bb.520:
	s_or_b64 exec, exec, s[10:11]
.LBB62_521:
	s_or_b64 exec, exec, s[2:3]
.LBB62_522:
	s_or_b64 exec, exec, s[8:9]
	v_mov_b32_e32 v6, 0
	ds_read_b128 v[198:201], v6 offset:384
	s_waitcnt lgkmcnt(0)
	v_mul_f64 v[6:7], v[4:5], v[200:201]
	v_mul_f64 v[202:203], v[2:3], v[200:201]
	v_fma_f64 v[200:201], v[2:3], v[198:199], -v[6:7]
	v_fmac_f64_e32 v[202:203], v[4:5], v[198:199]
	scratch_store_dwordx4 off, v[200:203], off offset:384
.LBB62_523:
	s_or_b64 exec, exec, s[4:5]
	scratch_load_dwordx4 v[2:5], v175, off
	v_cmp_lt_u32_e64 s[2:3], 23, v0
	s_waitcnt vmcnt(0)
	ds_write_b128 v9, v[2:5]
	s_waitcnt lgkmcnt(0)
	; wave barrier
	s_waitcnt lgkmcnt(0)
	s_and_saveexec_b64 s[4:5], s[2:3]
	s_cbranch_execz .LBB62_537
; %bb.524:
	ds_read_b128 v[2:5], v9
	s_andn2_b64 vcc, exec, s[6:7]
	s_cbranch_vccnz .LBB62_526
; %bb.525:
	scratch_load_dwordx4 v[198:201], v8, off
	s_waitcnt vmcnt(0) lgkmcnt(0)
	v_mul_f64 v[64:65], v[2:3], v[200:201]
	v_mul_f64 v[6:7], v[4:5], v[200:201]
	v_fmac_f64_e32 v[64:65], v[4:5], v[198:199]
	v_fma_f64 v[2:3], v[2:3], v[198:199], -v[6:7]
	v_mov_b64_e32 v[4:5], v[64:65]
.LBB62_526:
	s_and_saveexec_b64 s[8:9], s[0:1]
	s_cbranch_execz .LBB62_536
; %bb.527:
	v_subrev_u32_e32 v6, 25, v0
	v_cmp_lt_u32_e32 vcc, 6, v6
	v_mov_b32_e32 v6, 24
	s_and_saveexec_b64 s[0:1], vcc
	s_cbranch_execz .LBB62_531
; %bb.528:
	v_and_b32_e32 v6, 56, v0
	s_mov_b32 s12, 24
	s_mov_b32 s13, 0
	s_mov_b64 s[10:11], 0
	v_mov_b32_e32 v7, 0
.LBB62_529:                             ; =>This Inner Loop Header: Depth=1
	s_nop 0
	v_readfirstlane_b32 s14, v7
	s_add_i32 s14, s14, s13
	s_add_i32 s15, s14, 0x180
	v_mov_b32_e32 v218, s13
	ds_read_b128 v[198:201], v218 offset:1392
	ds_read_b128 v[202:205], v218 offset:1408
	;; [unrolled: 1-line block ×4, first 2 shown]
	scratch_load_dwordx4 v[214:217], off, s15
	s_add_i32 s15, s14, 0x190
	s_add_i32 s12, s12, 8
	s_addk_i32 s13, 0x80
	v_cmp_eq_u32_e32 vcc, s12, v6
	s_waitcnt vmcnt(0) lgkmcnt(3)
	v_mul_f64 v[64:65], v[200:201], v[216:217]
	v_fma_f64 v[64:65], v[198:199], v[214:215], -v[64:65]
	v_mul_f64 v[198:199], v[198:199], v[216:217]
	v_fmac_f64_e32 v[198:199], v[200:201], v[214:215]
	v_add_f64 v[64:65], v[2:3], v[64:65]
	v_add_f64 v[198:199], v[4:5], v[198:199]
	scratch_load_dwordx4 v[2:5], off, s15
	s_add_i32 s15, s14, 0x1a0
	s_waitcnt vmcnt(0) lgkmcnt(2)
	v_mul_f64 v[200:201], v[204:205], v[4:5]
	v_mul_f64 v[4:5], v[202:203], v[4:5]
	v_fmac_f64_e32 v[4:5], v[204:205], v[2:3]
	v_fma_f64 v[200:201], v[202:203], v[2:3], -v[200:201]
	v_add_f64 v[198:199], v[198:199], v[4:5]
	scratch_load_dwordx4 v[2:5], off, s15
	v_add_f64 v[64:65], v[64:65], v[200:201]
	s_add_i32 s15, s14, 0x1b0
	s_waitcnt vmcnt(0) lgkmcnt(1)
	v_mul_f64 v[200:201], v[208:209], v[4:5]
	v_mul_f64 v[4:5], v[206:207], v[4:5]
	v_fmac_f64_e32 v[4:5], v[208:209], v[2:3]
	v_fma_f64 v[200:201], v[206:207], v[2:3], -v[200:201]
	v_add_f64 v[198:199], v[198:199], v[4:5]
	scratch_load_dwordx4 v[2:5], off, s15
	v_add_f64 v[64:65], v[64:65], v[200:201]
	s_add_i32 s15, s14, 0x1c0
	s_waitcnt vmcnt(0) lgkmcnt(0)
	v_mul_f64 v[200:201], v[212:213], v[4:5]
	v_mul_f64 v[4:5], v[210:211], v[4:5]
	v_fma_f64 v[200:201], v[210:211], v[2:3], -v[200:201]
	v_fmac_f64_e32 v[4:5], v[212:213], v[2:3]
	v_add_f64 v[64:65], v[64:65], v[200:201]
	v_add_f64 v[202:203], v[198:199], v[4:5]
	scratch_load_dwordx4 v[198:201], off, s15
	ds_read_b128 v[2:5], v218 offset:1456
	s_add_i32 s15, s14, 0x1d0
	s_waitcnt vmcnt(0) lgkmcnt(0)
	v_mul_f64 v[204:205], v[4:5], v[200:201]
	v_fma_f64 v[204:205], v[2:3], v[198:199], -v[204:205]
	v_mul_f64 v[2:3], v[2:3], v[200:201]
	v_fmac_f64_e32 v[2:3], v[4:5], v[198:199]
	scratch_load_dwordx4 v[198:201], off, s15
	v_add_f64 v[202:203], v[202:203], v[2:3]
	ds_read_b128 v[2:5], v218 offset:1472
	v_add_f64 v[64:65], v[64:65], v[204:205]
	s_add_i32 s15, s14, 0x1e0
	s_addk_i32 s14, 0x1f0
	s_or_b64 s[10:11], vcc, s[10:11]
	s_waitcnt vmcnt(0) lgkmcnt(0)
	v_mul_f64 v[204:205], v[4:5], v[200:201]
	v_fma_f64 v[204:205], v[2:3], v[198:199], -v[204:205]
	v_mul_f64 v[2:3], v[2:3], v[200:201]
	v_fmac_f64_e32 v[2:3], v[4:5], v[198:199]
	scratch_load_dwordx4 v[198:201], off, s15
	v_add_f64 v[202:203], v[202:203], v[2:3]
	ds_read_b128 v[2:5], v218 offset:1488
	v_add_f64 v[64:65], v[64:65], v[204:205]
	s_waitcnt vmcnt(0) lgkmcnt(0)
	v_mul_f64 v[204:205], v[4:5], v[200:201]
	v_fma_f64 v[204:205], v[2:3], v[198:199], -v[204:205]
	v_mul_f64 v[2:3], v[2:3], v[200:201]
	v_fmac_f64_e32 v[2:3], v[4:5], v[198:199]
	scratch_load_dwordx4 v[198:201], off, s14
	v_add_f64 v[202:203], v[202:203], v[2:3]
	ds_read_b128 v[2:5], v218 offset:1504
	v_add_f64 v[64:65], v[64:65], v[204:205]
	s_waitcnt vmcnt(0) lgkmcnt(0)
	v_mul_f64 v[204:205], v[4:5], v[200:201]
	v_mul_f64 v[200:201], v[2:3], v[200:201]
	v_fma_f64 v[204:205], v[2:3], v[198:199], -v[204:205]
	v_fmac_f64_e32 v[200:201], v[4:5], v[198:199]
	v_add_f64 v[2:3], v[64:65], v[204:205]
	v_add_f64 v[4:5], v[202:203], v[200:201]
	s_andn2_b64 exec, exec, s[10:11]
	s_cbranch_execnz .LBB62_529
; %bb.530:
	s_or_b64 exec, exec, s[10:11]
.LBB62_531:
	s_or_b64 exec, exec, s[0:1]
	v_and_b32_e32 v7, 7, v0
	v_cmp_ne_u32_e32 vcc, 0, v7
	s_and_saveexec_b64 s[0:1], vcc
	s_cbranch_execz .LBB62_535
; %bb.532:
	v_lshlrev_b32_e32 v64, 4, v6
	v_add_u32_e32 v6, 0x3f0, v64
	v_add_u32_e32 v198, 0, v64
	s_mov_b64 s[10:11], 0
.LBB62_533:                             ; =>This Inner Loop Header: Depth=1
	scratch_load_dwordx4 v[200:203], v198, off
	ds_read_b128 v[204:207], v6
	v_add_u32_e32 v7, -1, v7
	v_cmp_eq_u32_e32 vcc, 0, v7
	v_add_u32_e32 v6, 16, v6
	v_add_u32_e32 v198, 16, v198
	s_or_b64 s[10:11], vcc, s[10:11]
	s_waitcnt vmcnt(0) lgkmcnt(0)
	v_mul_f64 v[64:65], v[206:207], v[202:203]
	v_mul_f64 v[202:203], v[204:205], v[202:203]
	v_fma_f64 v[64:65], v[204:205], v[200:201], -v[64:65]
	v_fmac_f64_e32 v[202:203], v[206:207], v[200:201]
	v_add_f64 v[2:3], v[2:3], v[64:65]
	v_add_f64 v[4:5], v[4:5], v[202:203]
	s_andn2_b64 exec, exec, s[10:11]
	s_cbranch_execnz .LBB62_533
; %bb.534:
	s_or_b64 exec, exec, s[10:11]
.LBB62_535:
	s_or_b64 exec, exec, s[0:1]
.LBB62_536:
	s_or_b64 exec, exec, s[8:9]
	v_mov_b32_e32 v6, 0
	ds_read_b128 v[198:201], v6 offset:368
	s_waitcnt lgkmcnt(0)
	v_mul_f64 v[6:7], v[4:5], v[200:201]
	v_mul_f64 v[202:203], v[2:3], v[200:201]
	v_fma_f64 v[200:201], v[2:3], v[198:199], -v[6:7]
	v_fmac_f64_e32 v[202:203], v[4:5], v[198:199]
	scratch_store_dwordx4 off, v[200:203], off offset:368
.LBB62_537:
	s_or_b64 exec, exec, s[4:5]
	scratch_load_dwordx4 v[2:5], v176, off
	v_cmp_lt_u32_e64 s[0:1], 22, v0
	s_waitcnt vmcnt(0)
	ds_write_b128 v9, v[2:5]
	s_waitcnt lgkmcnt(0)
	; wave barrier
	s_waitcnt lgkmcnt(0)
	s_and_saveexec_b64 s[4:5], s[0:1]
	s_cbranch_execz .LBB62_551
; %bb.538:
	ds_read_b128 v[2:5], v9
	s_andn2_b64 vcc, exec, s[6:7]
	s_cbranch_vccnz .LBB62_540
; %bb.539:
	scratch_load_dwordx4 v[198:201], v8, off
	s_waitcnt vmcnt(0) lgkmcnt(0)
	v_mul_f64 v[64:65], v[2:3], v[200:201]
	v_mul_f64 v[6:7], v[4:5], v[200:201]
	v_fmac_f64_e32 v[64:65], v[4:5], v[198:199]
	v_fma_f64 v[2:3], v[2:3], v[198:199], -v[6:7]
	v_mov_b64_e32 v[4:5], v[64:65]
.LBB62_540:
	s_and_saveexec_b64 s[8:9], s[2:3]
	s_cbranch_execz .LBB62_550
; %bb.541:
	v_subrev_u32_e32 v7, 24, v0
	v_subrev_u32_e32 v6, 23, v0
	v_cmp_lt_u32_e32 vcc, 6, v7
	v_mov_b32_e32 v199, 23
	s_and_saveexec_b64 s[2:3], vcc
	s_cbranch_execz .LBB62_545
; %bb.542:
	v_and_b32_e32 v7, -8, v6
	s_mov_b32 s12, 0
	s_mov_b64 s[10:11], 0
	v_mov_b32_e32 v198, 0
	s_mov_b32 s13, 0
.LBB62_543:                             ; =>This Inner Loop Header: Depth=1
	v_readfirstlane_b32 s14, v198
	s_add_i32 s14, s14, s12
	s_add_i32 s15, s14, 0x170
	v_mov_b32_e32 v199, s12
	ds_read_b128 v[200:203], v199 offset:1376
	ds_read_b128 v[204:207], v199 offset:1392
	;; [unrolled: 1-line block ×4, first 2 shown]
	scratch_load_dwordx4 v[216:219], off, s15
	s_add_i32 s15, s14, 0x180
	s_addk_i32 s12, 0x80
	s_waitcnt vmcnt(0) lgkmcnt(3)
	v_mul_f64 v[64:65], v[202:203], v[218:219]
	v_fma_f64 v[64:65], v[200:201], v[216:217], -v[64:65]
	v_mul_f64 v[200:201], v[200:201], v[218:219]
	v_fmac_f64_e32 v[200:201], v[202:203], v[216:217]
	v_add_f64 v[64:65], v[2:3], v[64:65]
	v_add_f64 v[200:201], v[4:5], v[200:201]
	scratch_load_dwordx4 v[2:5], off, s15
	s_add_i32 s15, s14, 0x190
	s_waitcnt vmcnt(0) lgkmcnt(2)
	v_mul_f64 v[202:203], v[206:207], v[4:5]
	v_mul_f64 v[4:5], v[204:205], v[4:5]
	v_fmac_f64_e32 v[4:5], v[206:207], v[2:3]
	v_fma_f64 v[202:203], v[204:205], v[2:3], -v[202:203]
	v_add_f64 v[200:201], v[200:201], v[4:5]
	scratch_load_dwordx4 v[2:5], off, s15
	v_add_f64 v[64:65], v[64:65], v[202:203]
	s_add_i32 s15, s14, 0x1a0
	s_waitcnt vmcnt(0) lgkmcnt(1)
	v_mul_f64 v[202:203], v[210:211], v[4:5]
	v_mul_f64 v[4:5], v[208:209], v[4:5]
	v_fmac_f64_e32 v[4:5], v[210:211], v[2:3]
	v_fma_f64 v[202:203], v[208:209], v[2:3], -v[202:203]
	v_add_f64 v[200:201], v[200:201], v[4:5]
	scratch_load_dwordx4 v[2:5], off, s15
	v_add_f64 v[64:65], v[64:65], v[202:203]
	s_add_i32 s15, s14, 0x1b0
	s_waitcnt vmcnt(0) lgkmcnt(0)
	v_mul_f64 v[202:203], v[214:215], v[4:5]
	v_mul_f64 v[4:5], v[212:213], v[4:5]
	v_fma_f64 v[202:203], v[212:213], v[2:3], -v[202:203]
	v_fmac_f64_e32 v[4:5], v[214:215], v[2:3]
	v_add_f64 v[64:65], v[64:65], v[202:203]
	v_add_f64 v[204:205], v[200:201], v[4:5]
	scratch_load_dwordx4 v[200:203], off, s15
	ds_read_b128 v[2:5], v199 offset:1440
	s_add_i32 s15, s14, 0x1c0
	s_waitcnt vmcnt(0) lgkmcnt(0)
	v_mul_f64 v[206:207], v[4:5], v[202:203]
	v_fma_f64 v[206:207], v[2:3], v[200:201], -v[206:207]
	v_mul_f64 v[2:3], v[2:3], v[202:203]
	v_fmac_f64_e32 v[2:3], v[4:5], v[200:201]
	scratch_load_dwordx4 v[200:203], off, s15
	v_add_f64 v[204:205], v[204:205], v[2:3]
	ds_read_b128 v[2:5], v199 offset:1456
	v_add_f64 v[64:65], v[64:65], v[206:207]
	s_add_i32 s15, s14, 0x1d0
	s_addk_i32 s14, 0x1e0
	s_waitcnt vmcnt(0) lgkmcnt(0)
	v_mul_f64 v[206:207], v[4:5], v[202:203]
	v_fma_f64 v[206:207], v[2:3], v[200:201], -v[206:207]
	v_mul_f64 v[2:3], v[2:3], v[202:203]
	v_fmac_f64_e32 v[2:3], v[4:5], v[200:201]
	scratch_load_dwordx4 v[200:203], off, s15
	v_add_f64 v[204:205], v[204:205], v[2:3]
	ds_read_b128 v[2:5], v199 offset:1472
	v_add_f64 v[64:65], v[64:65], v[206:207]
	s_waitcnt vmcnt(0) lgkmcnt(0)
	v_mul_f64 v[206:207], v[4:5], v[202:203]
	v_fma_f64 v[206:207], v[2:3], v[200:201], -v[206:207]
	v_mul_f64 v[2:3], v[2:3], v[202:203]
	v_fmac_f64_e32 v[2:3], v[4:5], v[200:201]
	scratch_load_dwordx4 v[200:203], off, s14
	v_add_f64 v[204:205], v[204:205], v[2:3]
	ds_read_b128 v[2:5], v199 offset:1488
	v_add_f64 v[64:65], v[64:65], v[206:207]
	s_add_i32 s14, s13, 8
	v_cmp_eq_u32_e32 vcc, s14, v7
	s_add_i32 s13, s13, 31
	s_or_b64 s[10:11], vcc, s[10:11]
	v_mov_b32_e32 v199, s13
	s_mov_b32 s13, s14
	s_waitcnt vmcnt(0) lgkmcnt(0)
	v_mul_f64 v[206:207], v[4:5], v[202:203]
	v_mul_f64 v[202:203], v[2:3], v[202:203]
	v_fma_f64 v[206:207], v[2:3], v[200:201], -v[206:207]
	v_fmac_f64_e32 v[202:203], v[4:5], v[200:201]
	v_add_f64 v[2:3], v[64:65], v[206:207]
	v_add_f64 v[4:5], v[204:205], v[202:203]
	s_andn2_b64 exec, exec, s[10:11]
	s_cbranch_execnz .LBB62_543
; %bb.544:
	s_or_b64 exec, exec, s[10:11]
.LBB62_545:
	s_or_b64 exec, exec, s[2:3]
	v_and_b32_e32 v6, 7, v6
	v_cmp_ne_u32_e32 vcc, 0, v6
	s_and_saveexec_b64 s[2:3], vcc
	s_cbranch_execz .LBB62_549
; %bb.546:
	v_lshlrev_b32_e32 v64, 4, v199
	v_add_u32_e32 v7, 0x3f0, v64
	v_add_u32_e32 v198, 0, v64
	s_mov_b64 s[10:11], 0
.LBB62_547:                             ; =>This Inner Loop Header: Depth=1
	scratch_load_dwordx4 v[200:203], v198, off
	ds_read_b128 v[204:207], v7
	v_add_u32_e32 v6, -1, v6
	v_cmp_eq_u32_e32 vcc, 0, v6
	v_add_u32_e32 v7, 16, v7
	v_add_u32_e32 v198, 16, v198
	s_or_b64 s[10:11], vcc, s[10:11]
	s_waitcnt vmcnt(0) lgkmcnt(0)
	v_mul_f64 v[64:65], v[206:207], v[202:203]
	v_mul_f64 v[202:203], v[204:205], v[202:203]
	v_fma_f64 v[64:65], v[204:205], v[200:201], -v[64:65]
	v_fmac_f64_e32 v[202:203], v[206:207], v[200:201]
	v_add_f64 v[2:3], v[2:3], v[64:65]
	v_add_f64 v[4:5], v[4:5], v[202:203]
	s_andn2_b64 exec, exec, s[10:11]
	s_cbranch_execnz .LBB62_547
; %bb.548:
	s_or_b64 exec, exec, s[10:11]
.LBB62_549:
	s_or_b64 exec, exec, s[2:3]
.LBB62_550:
	s_or_b64 exec, exec, s[8:9]
	v_mov_b32_e32 v6, 0
	ds_read_b128 v[198:201], v6 offset:352
	s_waitcnt lgkmcnt(0)
	v_mul_f64 v[6:7], v[4:5], v[200:201]
	v_mul_f64 v[202:203], v[2:3], v[200:201]
	v_fma_f64 v[200:201], v[2:3], v[198:199], -v[6:7]
	v_fmac_f64_e32 v[202:203], v[4:5], v[198:199]
	scratch_store_dwordx4 off, v[200:203], off offset:352
.LBB62_551:
	s_or_b64 exec, exec, s[4:5]
	scratch_load_dwordx4 v[2:5], v177, off
	v_cmp_lt_u32_e64 s[2:3], 21, v0
	s_waitcnt vmcnt(0)
	ds_write_b128 v9, v[2:5]
	s_waitcnt lgkmcnt(0)
	; wave barrier
	s_waitcnt lgkmcnt(0)
	s_and_saveexec_b64 s[4:5], s[2:3]
	s_cbranch_execz .LBB62_565
; %bb.552:
	ds_read_b128 v[2:5], v9
	s_andn2_b64 vcc, exec, s[6:7]
	s_cbranch_vccnz .LBB62_554
; %bb.553:
	scratch_load_dwordx4 v[198:201], v8, off
	s_waitcnt vmcnt(0) lgkmcnt(0)
	v_mul_f64 v[64:65], v[2:3], v[200:201]
	v_mul_f64 v[6:7], v[4:5], v[200:201]
	v_fmac_f64_e32 v[64:65], v[4:5], v[198:199]
	v_fma_f64 v[2:3], v[2:3], v[198:199], -v[6:7]
	v_mov_b64_e32 v[4:5], v[64:65]
.LBB62_554:
	s_and_saveexec_b64 s[8:9], s[0:1]
	s_cbranch_execz .LBB62_564
; %bb.555:
	v_subrev_u32_e32 v7, 23, v0
	v_subrev_u32_e32 v6, 22, v0
	v_cmp_lt_u32_e32 vcc, 6, v7
	v_mov_b32_e32 v199, 22
	s_and_saveexec_b64 s[0:1], vcc
	s_cbranch_execz .LBB62_559
; %bb.556:
	v_and_b32_e32 v7, -8, v6
	s_mov_b32 s12, 0
	s_mov_b64 s[10:11], 0
	v_mov_b32_e32 v198, 0
	s_mov_b32 s13, 0
.LBB62_557:                             ; =>This Inner Loop Header: Depth=1
	v_readfirstlane_b32 s14, v198
	s_add_i32 s14, s14, s12
	s_add_i32 s15, s14, 0x160
	v_mov_b32_e32 v199, s12
	ds_read_b128 v[200:203], v199 offset:1360
	ds_read_b128 v[204:207], v199 offset:1376
	;; [unrolled: 1-line block ×4, first 2 shown]
	scratch_load_dwordx4 v[216:219], off, s15
	s_add_i32 s15, s14, 0x170
	s_addk_i32 s12, 0x80
	s_waitcnt vmcnt(0) lgkmcnt(3)
	v_mul_f64 v[64:65], v[202:203], v[218:219]
	v_fma_f64 v[64:65], v[200:201], v[216:217], -v[64:65]
	v_mul_f64 v[200:201], v[200:201], v[218:219]
	v_fmac_f64_e32 v[200:201], v[202:203], v[216:217]
	v_add_f64 v[64:65], v[2:3], v[64:65]
	v_add_f64 v[200:201], v[4:5], v[200:201]
	scratch_load_dwordx4 v[2:5], off, s15
	s_add_i32 s15, s14, 0x180
	s_waitcnt vmcnt(0) lgkmcnt(2)
	v_mul_f64 v[202:203], v[206:207], v[4:5]
	v_mul_f64 v[4:5], v[204:205], v[4:5]
	v_fmac_f64_e32 v[4:5], v[206:207], v[2:3]
	v_fma_f64 v[202:203], v[204:205], v[2:3], -v[202:203]
	v_add_f64 v[200:201], v[200:201], v[4:5]
	scratch_load_dwordx4 v[2:5], off, s15
	v_add_f64 v[64:65], v[64:65], v[202:203]
	s_add_i32 s15, s14, 0x190
	s_waitcnt vmcnt(0) lgkmcnt(1)
	v_mul_f64 v[202:203], v[210:211], v[4:5]
	v_mul_f64 v[4:5], v[208:209], v[4:5]
	v_fmac_f64_e32 v[4:5], v[210:211], v[2:3]
	v_fma_f64 v[202:203], v[208:209], v[2:3], -v[202:203]
	v_add_f64 v[200:201], v[200:201], v[4:5]
	scratch_load_dwordx4 v[2:5], off, s15
	v_add_f64 v[64:65], v[64:65], v[202:203]
	s_add_i32 s15, s14, 0x1a0
	s_waitcnt vmcnt(0) lgkmcnt(0)
	v_mul_f64 v[202:203], v[214:215], v[4:5]
	v_mul_f64 v[4:5], v[212:213], v[4:5]
	v_fma_f64 v[202:203], v[212:213], v[2:3], -v[202:203]
	v_fmac_f64_e32 v[4:5], v[214:215], v[2:3]
	v_add_f64 v[64:65], v[64:65], v[202:203]
	v_add_f64 v[204:205], v[200:201], v[4:5]
	scratch_load_dwordx4 v[200:203], off, s15
	ds_read_b128 v[2:5], v199 offset:1424
	s_add_i32 s15, s14, 0x1b0
	s_waitcnt vmcnt(0) lgkmcnt(0)
	v_mul_f64 v[206:207], v[4:5], v[202:203]
	v_fma_f64 v[206:207], v[2:3], v[200:201], -v[206:207]
	v_mul_f64 v[2:3], v[2:3], v[202:203]
	v_fmac_f64_e32 v[2:3], v[4:5], v[200:201]
	scratch_load_dwordx4 v[200:203], off, s15
	v_add_f64 v[204:205], v[204:205], v[2:3]
	ds_read_b128 v[2:5], v199 offset:1440
	v_add_f64 v[64:65], v[64:65], v[206:207]
	s_add_i32 s15, s14, 0x1c0
	s_addk_i32 s14, 0x1d0
	s_waitcnt vmcnt(0) lgkmcnt(0)
	v_mul_f64 v[206:207], v[4:5], v[202:203]
	v_fma_f64 v[206:207], v[2:3], v[200:201], -v[206:207]
	v_mul_f64 v[2:3], v[2:3], v[202:203]
	v_fmac_f64_e32 v[2:3], v[4:5], v[200:201]
	scratch_load_dwordx4 v[200:203], off, s15
	v_add_f64 v[204:205], v[204:205], v[2:3]
	ds_read_b128 v[2:5], v199 offset:1456
	v_add_f64 v[64:65], v[64:65], v[206:207]
	s_waitcnt vmcnt(0) lgkmcnt(0)
	v_mul_f64 v[206:207], v[4:5], v[202:203]
	v_fma_f64 v[206:207], v[2:3], v[200:201], -v[206:207]
	v_mul_f64 v[2:3], v[2:3], v[202:203]
	v_fmac_f64_e32 v[2:3], v[4:5], v[200:201]
	scratch_load_dwordx4 v[200:203], off, s14
	v_add_f64 v[204:205], v[204:205], v[2:3]
	ds_read_b128 v[2:5], v199 offset:1472
	v_add_f64 v[64:65], v[64:65], v[206:207]
	s_add_i32 s14, s13, 8
	v_cmp_eq_u32_e32 vcc, s14, v7
	s_add_i32 s13, s13, 30
	s_or_b64 s[10:11], vcc, s[10:11]
	v_mov_b32_e32 v199, s13
	s_mov_b32 s13, s14
	s_waitcnt vmcnt(0) lgkmcnt(0)
	v_mul_f64 v[206:207], v[4:5], v[202:203]
	v_mul_f64 v[202:203], v[2:3], v[202:203]
	v_fma_f64 v[206:207], v[2:3], v[200:201], -v[206:207]
	v_fmac_f64_e32 v[202:203], v[4:5], v[200:201]
	v_add_f64 v[2:3], v[64:65], v[206:207]
	v_add_f64 v[4:5], v[204:205], v[202:203]
	s_andn2_b64 exec, exec, s[10:11]
	s_cbranch_execnz .LBB62_557
; %bb.558:
	s_or_b64 exec, exec, s[10:11]
.LBB62_559:
	s_or_b64 exec, exec, s[0:1]
	v_and_b32_e32 v6, 7, v6
	v_cmp_ne_u32_e32 vcc, 0, v6
	s_and_saveexec_b64 s[0:1], vcc
	s_cbranch_execz .LBB62_563
; %bb.560:
	v_lshlrev_b32_e32 v64, 4, v199
	v_add_u32_e32 v7, 0x3f0, v64
	v_add_u32_e32 v198, 0, v64
	s_mov_b64 s[10:11], 0
.LBB62_561:                             ; =>This Inner Loop Header: Depth=1
	scratch_load_dwordx4 v[200:203], v198, off
	ds_read_b128 v[204:207], v7
	v_add_u32_e32 v6, -1, v6
	v_cmp_eq_u32_e32 vcc, 0, v6
	v_add_u32_e32 v7, 16, v7
	v_add_u32_e32 v198, 16, v198
	s_or_b64 s[10:11], vcc, s[10:11]
	s_waitcnt vmcnt(0) lgkmcnt(0)
	v_mul_f64 v[64:65], v[206:207], v[202:203]
	v_mul_f64 v[202:203], v[204:205], v[202:203]
	v_fma_f64 v[64:65], v[204:205], v[200:201], -v[64:65]
	v_fmac_f64_e32 v[202:203], v[206:207], v[200:201]
	v_add_f64 v[2:3], v[2:3], v[64:65]
	v_add_f64 v[4:5], v[4:5], v[202:203]
	s_andn2_b64 exec, exec, s[10:11]
	s_cbranch_execnz .LBB62_561
; %bb.562:
	s_or_b64 exec, exec, s[10:11]
.LBB62_563:
	s_or_b64 exec, exec, s[0:1]
.LBB62_564:
	s_or_b64 exec, exec, s[8:9]
	v_mov_b32_e32 v6, 0
	ds_read_b128 v[198:201], v6 offset:336
	s_waitcnt lgkmcnt(0)
	v_mul_f64 v[6:7], v[4:5], v[200:201]
	v_mul_f64 v[202:203], v[2:3], v[200:201]
	v_fma_f64 v[200:201], v[2:3], v[198:199], -v[6:7]
	v_fmac_f64_e32 v[202:203], v[4:5], v[198:199]
	scratch_store_dwordx4 off, v[200:203], off offset:336
.LBB62_565:
	s_or_b64 exec, exec, s[4:5]
	scratch_load_dwordx4 v[2:5], v178, off
	v_cmp_lt_u32_e64 s[0:1], 20, v0
	s_waitcnt vmcnt(0)
	ds_write_b128 v9, v[2:5]
	s_waitcnt lgkmcnt(0)
	; wave barrier
	s_waitcnt lgkmcnt(0)
	s_and_saveexec_b64 s[4:5], s[0:1]
	s_cbranch_execz .LBB62_579
; %bb.566:
	ds_read_b128 v[2:5], v9
	s_andn2_b64 vcc, exec, s[6:7]
	s_cbranch_vccnz .LBB62_568
; %bb.567:
	scratch_load_dwordx4 v[198:201], v8, off
	s_waitcnt vmcnt(0) lgkmcnt(0)
	v_mul_f64 v[64:65], v[2:3], v[200:201]
	v_mul_f64 v[6:7], v[4:5], v[200:201]
	v_fmac_f64_e32 v[64:65], v[4:5], v[198:199]
	v_fma_f64 v[2:3], v[2:3], v[198:199], -v[6:7]
	v_mov_b64_e32 v[4:5], v[64:65]
.LBB62_568:
	s_and_saveexec_b64 s[8:9], s[2:3]
	s_cbranch_execz .LBB62_578
; %bb.569:
	v_subrev_u32_e32 v7, 22, v0
	v_subrev_u32_e32 v6, 21, v0
	v_cmp_lt_u32_e32 vcc, 6, v7
	v_mov_b32_e32 v199, 21
	s_and_saveexec_b64 s[2:3], vcc
	s_cbranch_execz .LBB62_573
; %bb.570:
	v_and_b32_e32 v7, -8, v6
	s_mov_b32 s12, 0
	s_mov_b64 s[10:11], 0
	v_mov_b32_e32 v198, 0
	s_mov_b32 s13, 0
.LBB62_571:                             ; =>This Inner Loop Header: Depth=1
	v_readfirstlane_b32 s14, v198
	s_add_i32 s14, s14, s12
	s_add_i32 s15, s14, 0x150
	v_mov_b32_e32 v199, s12
	ds_read_b128 v[200:203], v199 offset:1344
	ds_read_b128 v[204:207], v199 offset:1360
	;; [unrolled: 1-line block ×4, first 2 shown]
	scratch_load_dwordx4 v[216:219], off, s15
	s_add_i32 s15, s14, 0x160
	s_addk_i32 s12, 0x80
	s_waitcnt vmcnt(0) lgkmcnt(3)
	v_mul_f64 v[64:65], v[202:203], v[218:219]
	v_fma_f64 v[64:65], v[200:201], v[216:217], -v[64:65]
	v_mul_f64 v[200:201], v[200:201], v[218:219]
	v_fmac_f64_e32 v[200:201], v[202:203], v[216:217]
	v_add_f64 v[64:65], v[2:3], v[64:65]
	v_add_f64 v[200:201], v[4:5], v[200:201]
	scratch_load_dwordx4 v[2:5], off, s15
	s_add_i32 s15, s14, 0x170
	s_waitcnt vmcnt(0) lgkmcnt(2)
	v_mul_f64 v[202:203], v[206:207], v[4:5]
	v_mul_f64 v[4:5], v[204:205], v[4:5]
	v_fmac_f64_e32 v[4:5], v[206:207], v[2:3]
	v_fma_f64 v[202:203], v[204:205], v[2:3], -v[202:203]
	v_add_f64 v[200:201], v[200:201], v[4:5]
	scratch_load_dwordx4 v[2:5], off, s15
	v_add_f64 v[64:65], v[64:65], v[202:203]
	s_add_i32 s15, s14, 0x180
	s_waitcnt vmcnt(0) lgkmcnt(1)
	v_mul_f64 v[202:203], v[210:211], v[4:5]
	v_mul_f64 v[4:5], v[208:209], v[4:5]
	v_fmac_f64_e32 v[4:5], v[210:211], v[2:3]
	v_fma_f64 v[202:203], v[208:209], v[2:3], -v[202:203]
	v_add_f64 v[200:201], v[200:201], v[4:5]
	scratch_load_dwordx4 v[2:5], off, s15
	v_add_f64 v[64:65], v[64:65], v[202:203]
	s_add_i32 s15, s14, 0x190
	s_waitcnt vmcnt(0) lgkmcnt(0)
	v_mul_f64 v[202:203], v[214:215], v[4:5]
	v_mul_f64 v[4:5], v[212:213], v[4:5]
	v_fma_f64 v[202:203], v[212:213], v[2:3], -v[202:203]
	v_fmac_f64_e32 v[4:5], v[214:215], v[2:3]
	v_add_f64 v[64:65], v[64:65], v[202:203]
	v_add_f64 v[204:205], v[200:201], v[4:5]
	scratch_load_dwordx4 v[200:203], off, s15
	ds_read_b128 v[2:5], v199 offset:1408
	s_add_i32 s15, s14, 0x1a0
	s_waitcnt vmcnt(0) lgkmcnt(0)
	v_mul_f64 v[206:207], v[4:5], v[202:203]
	v_fma_f64 v[206:207], v[2:3], v[200:201], -v[206:207]
	v_mul_f64 v[2:3], v[2:3], v[202:203]
	v_fmac_f64_e32 v[2:3], v[4:5], v[200:201]
	scratch_load_dwordx4 v[200:203], off, s15
	v_add_f64 v[204:205], v[204:205], v[2:3]
	ds_read_b128 v[2:5], v199 offset:1424
	v_add_f64 v[64:65], v[64:65], v[206:207]
	s_add_i32 s15, s14, 0x1b0
	s_addk_i32 s14, 0x1c0
	s_waitcnt vmcnt(0) lgkmcnt(0)
	v_mul_f64 v[206:207], v[4:5], v[202:203]
	v_fma_f64 v[206:207], v[2:3], v[200:201], -v[206:207]
	v_mul_f64 v[2:3], v[2:3], v[202:203]
	v_fmac_f64_e32 v[2:3], v[4:5], v[200:201]
	scratch_load_dwordx4 v[200:203], off, s15
	v_add_f64 v[204:205], v[204:205], v[2:3]
	ds_read_b128 v[2:5], v199 offset:1440
	v_add_f64 v[64:65], v[64:65], v[206:207]
	s_waitcnt vmcnt(0) lgkmcnt(0)
	v_mul_f64 v[206:207], v[4:5], v[202:203]
	v_fma_f64 v[206:207], v[2:3], v[200:201], -v[206:207]
	v_mul_f64 v[2:3], v[2:3], v[202:203]
	v_fmac_f64_e32 v[2:3], v[4:5], v[200:201]
	scratch_load_dwordx4 v[200:203], off, s14
	v_add_f64 v[204:205], v[204:205], v[2:3]
	ds_read_b128 v[2:5], v199 offset:1456
	v_add_f64 v[64:65], v[64:65], v[206:207]
	s_add_i32 s14, s13, 8
	v_cmp_eq_u32_e32 vcc, s14, v7
	s_add_i32 s13, s13, 29
	s_or_b64 s[10:11], vcc, s[10:11]
	v_mov_b32_e32 v199, s13
	s_mov_b32 s13, s14
	s_waitcnt vmcnt(0) lgkmcnt(0)
	v_mul_f64 v[206:207], v[4:5], v[202:203]
	v_mul_f64 v[202:203], v[2:3], v[202:203]
	v_fma_f64 v[206:207], v[2:3], v[200:201], -v[206:207]
	v_fmac_f64_e32 v[202:203], v[4:5], v[200:201]
	v_add_f64 v[2:3], v[64:65], v[206:207]
	v_add_f64 v[4:5], v[204:205], v[202:203]
	s_andn2_b64 exec, exec, s[10:11]
	s_cbranch_execnz .LBB62_571
; %bb.572:
	s_or_b64 exec, exec, s[10:11]
.LBB62_573:
	s_or_b64 exec, exec, s[2:3]
	v_and_b32_e32 v6, 7, v6
	v_cmp_ne_u32_e32 vcc, 0, v6
	s_and_saveexec_b64 s[2:3], vcc
	s_cbranch_execz .LBB62_577
; %bb.574:
	v_lshlrev_b32_e32 v64, 4, v199
	v_add_u32_e32 v7, 0x3f0, v64
	v_add_u32_e32 v198, 0, v64
	s_mov_b64 s[10:11], 0
.LBB62_575:                             ; =>This Inner Loop Header: Depth=1
	scratch_load_dwordx4 v[200:203], v198, off
	ds_read_b128 v[204:207], v7
	v_add_u32_e32 v6, -1, v6
	v_cmp_eq_u32_e32 vcc, 0, v6
	v_add_u32_e32 v7, 16, v7
	v_add_u32_e32 v198, 16, v198
	s_or_b64 s[10:11], vcc, s[10:11]
	s_waitcnt vmcnt(0) lgkmcnt(0)
	v_mul_f64 v[64:65], v[206:207], v[202:203]
	v_mul_f64 v[202:203], v[204:205], v[202:203]
	v_fma_f64 v[64:65], v[204:205], v[200:201], -v[64:65]
	v_fmac_f64_e32 v[202:203], v[206:207], v[200:201]
	v_add_f64 v[2:3], v[2:3], v[64:65]
	v_add_f64 v[4:5], v[4:5], v[202:203]
	s_andn2_b64 exec, exec, s[10:11]
	s_cbranch_execnz .LBB62_575
; %bb.576:
	s_or_b64 exec, exec, s[10:11]
.LBB62_577:
	s_or_b64 exec, exec, s[2:3]
.LBB62_578:
	s_or_b64 exec, exec, s[8:9]
	v_mov_b32_e32 v6, 0
	ds_read_b128 v[198:201], v6 offset:320
	s_waitcnt lgkmcnt(0)
	v_mul_f64 v[6:7], v[4:5], v[200:201]
	v_mul_f64 v[202:203], v[2:3], v[200:201]
	v_fma_f64 v[200:201], v[2:3], v[198:199], -v[6:7]
	v_fmac_f64_e32 v[202:203], v[4:5], v[198:199]
	scratch_store_dwordx4 off, v[200:203], off offset:320
.LBB62_579:
	s_or_b64 exec, exec, s[4:5]
	scratch_load_dwordx4 v[2:5], v179, off
	v_cmp_lt_u32_e64 s[2:3], 19, v0
	s_waitcnt vmcnt(0)
	ds_write_b128 v9, v[2:5]
	s_waitcnt lgkmcnt(0)
	; wave barrier
	s_waitcnt lgkmcnt(0)
	s_and_saveexec_b64 s[4:5], s[2:3]
	s_cbranch_execz .LBB62_593
; %bb.580:
	ds_read_b128 v[2:5], v9
	s_andn2_b64 vcc, exec, s[6:7]
	s_cbranch_vccnz .LBB62_582
; %bb.581:
	scratch_load_dwordx4 v[198:201], v8, off
	s_waitcnt vmcnt(0) lgkmcnt(0)
	v_mul_f64 v[64:65], v[2:3], v[200:201]
	v_mul_f64 v[6:7], v[4:5], v[200:201]
	v_fmac_f64_e32 v[64:65], v[4:5], v[198:199]
	v_fma_f64 v[2:3], v[2:3], v[198:199], -v[6:7]
	v_mov_b64_e32 v[4:5], v[64:65]
.LBB62_582:
	s_and_saveexec_b64 s[8:9], s[0:1]
	s_cbranch_execz .LBB62_592
; %bb.583:
	v_subrev_u32_e32 v7, 21, v0
	v_subrev_u32_e32 v6, 20, v0
	v_cmp_lt_u32_e32 vcc, 6, v7
	v_mov_b32_e32 v199, 20
	s_and_saveexec_b64 s[0:1], vcc
	s_cbranch_execz .LBB62_587
; %bb.584:
	v_and_b32_e32 v7, -8, v6
	s_mov_b32 s12, 0
	s_mov_b64 s[10:11], 0
	v_mov_b32_e32 v198, 0
	s_mov_b32 s13, 0
.LBB62_585:                             ; =>This Inner Loop Header: Depth=1
	v_readfirstlane_b32 s14, v198
	s_add_i32 s14, s14, s12
	s_add_i32 s15, s14, 0x140
	v_mov_b32_e32 v199, s12
	ds_read_b128 v[200:203], v199 offset:1328
	ds_read_b128 v[204:207], v199 offset:1344
	ds_read_b128 v[208:211], v199 offset:1360
	ds_read_b128 v[212:215], v199 offset:1376
	scratch_load_dwordx4 v[216:219], off, s15
	s_add_i32 s15, s14, 0x150
	s_addk_i32 s12, 0x80
	s_waitcnt vmcnt(0) lgkmcnt(3)
	v_mul_f64 v[64:65], v[202:203], v[218:219]
	v_fma_f64 v[64:65], v[200:201], v[216:217], -v[64:65]
	v_mul_f64 v[200:201], v[200:201], v[218:219]
	v_fmac_f64_e32 v[200:201], v[202:203], v[216:217]
	v_add_f64 v[64:65], v[2:3], v[64:65]
	v_add_f64 v[200:201], v[4:5], v[200:201]
	scratch_load_dwordx4 v[2:5], off, s15
	s_add_i32 s15, s14, 0x160
	s_waitcnt vmcnt(0) lgkmcnt(2)
	v_mul_f64 v[202:203], v[206:207], v[4:5]
	v_mul_f64 v[4:5], v[204:205], v[4:5]
	v_fmac_f64_e32 v[4:5], v[206:207], v[2:3]
	v_fma_f64 v[202:203], v[204:205], v[2:3], -v[202:203]
	v_add_f64 v[200:201], v[200:201], v[4:5]
	scratch_load_dwordx4 v[2:5], off, s15
	v_add_f64 v[64:65], v[64:65], v[202:203]
	s_add_i32 s15, s14, 0x170
	s_waitcnt vmcnt(0) lgkmcnt(1)
	v_mul_f64 v[202:203], v[210:211], v[4:5]
	v_mul_f64 v[4:5], v[208:209], v[4:5]
	v_fmac_f64_e32 v[4:5], v[210:211], v[2:3]
	v_fma_f64 v[202:203], v[208:209], v[2:3], -v[202:203]
	v_add_f64 v[200:201], v[200:201], v[4:5]
	scratch_load_dwordx4 v[2:5], off, s15
	v_add_f64 v[64:65], v[64:65], v[202:203]
	s_add_i32 s15, s14, 0x180
	s_waitcnt vmcnt(0) lgkmcnt(0)
	v_mul_f64 v[202:203], v[214:215], v[4:5]
	v_mul_f64 v[4:5], v[212:213], v[4:5]
	v_fma_f64 v[202:203], v[212:213], v[2:3], -v[202:203]
	v_fmac_f64_e32 v[4:5], v[214:215], v[2:3]
	v_add_f64 v[64:65], v[64:65], v[202:203]
	v_add_f64 v[204:205], v[200:201], v[4:5]
	scratch_load_dwordx4 v[200:203], off, s15
	ds_read_b128 v[2:5], v199 offset:1392
	s_add_i32 s15, s14, 0x190
	s_waitcnt vmcnt(0) lgkmcnt(0)
	v_mul_f64 v[206:207], v[4:5], v[202:203]
	v_fma_f64 v[206:207], v[2:3], v[200:201], -v[206:207]
	v_mul_f64 v[2:3], v[2:3], v[202:203]
	v_fmac_f64_e32 v[2:3], v[4:5], v[200:201]
	scratch_load_dwordx4 v[200:203], off, s15
	v_add_f64 v[204:205], v[204:205], v[2:3]
	ds_read_b128 v[2:5], v199 offset:1408
	v_add_f64 v[64:65], v[64:65], v[206:207]
	s_add_i32 s15, s14, 0x1a0
	s_addk_i32 s14, 0x1b0
	s_waitcnt vmcnt(0) lgkmcnt(0)
	v_mul_f64 v[206:207], v[4:5], v[202:203]
	v_fma_f64 v[206:207], v[2:3], v[200:201], -v[206:207]
	v_mul_f64 v[2:3], v[2:3], v[202:203]
	v_fmac_f64_e32 v[2:3], v[4:5], v[200:201]
	scratch_load_dwordx4 v[200:203], off, s15
	v_add_f64 v[204:205], v[204:205], v[2:3]
	ds_read_b128 v[2:5], v199 offset:1424
	v_add_f64 v[64:65], v[64:65], v[206:207]
	s_waitcnt vmcnt(0) lgkmcnt(0)
	v_mul_f64 v[206:207], v[4:5], v[202:203]
	v_fma_f64 v[206:207], v[2:3], v[200:201], -v[206:207]
	v_mul_f64 v[2:3], v[2:3], v[202:203]
	v_fmac_f64_e32 v[2:3], v[4:5], v[200:201]
	scratch_load_dwordx4 v[200:203], off, s14
	v_add_f64 v[204:205], v[204:205], v[2:3]
	ds_read_b128 v[2:5], v199 offset:1440
	v_add_f64 v[64:65], v[64:65], v[206:207]
	s_add_i32 s14, s13, 8
	v_cmp_eq_u32_e32 vcc, s14, v7
	s_add_i32 s13, s13, 28
	s_or_b64 s[10:11], vcc, s[10:11]
	v_mov_b32_e32 v199, s13
	s_mov_b32 s13, s14
	s_waitcnt vmcnt(0) lgkmcnt(0)
	v_mul_f64 v[206:207], v[4:5], v[202:203]
	v_mul_f64 v[202:203], v[2:3], v[202:203]
	v_fma_f64 v[206:207], v[2:3], v[200:201], -v[206:207]
	v_fmac_f64_e32 v[202:203], v[4:5], v[200:201]
	v_add_f64 v[2:3], v[64:65], v[206:207]
	v_add_f64 v[4:5], v[204:205], v[202:203]
	s_andn2_b64 exec, exec, s[10:11]
	s_cbranch_execnz .LBB62_585
; %bb.586:
	s_or_b64 exec, exec, s[10:11]
.LBB62_587:
	s_or_b64 exec, exec, s[0:1]
	v_and_b32_e32 v6, 7, v6
	v_cmp_ne_u32_e32 vcc, 0, v6
	s_and_saveexec_b64 s[0:1], vcc
	s_cbranch_execz .LBB62_591
; %bb.588:
	v_lshlrev_b32_e32 v64, 4, v199
	v_add_u32_e32 v7, 0x3f0, v64
	v_add_u32_e32 v198, 0, v64
	s_mov_b64 s[10:11], 0
.LBB62_589:                             ; =>This Inner Loop Header: Depth=1
	scratch_load_dwordx4 v[200:203], v198, off
	ds_read_b128 v[204:207], v7
	v_add_u32_e32 v6, -1, v6
	v_cmp_eq_u32_e32 vcc, 0, v6
	v_add_u32_e32 v7, 16, v7
	v_add_u32_e32 v198, 16, v198
	s_or_b64 s[10:11], vcc, s[10:11]
	s_waitcnt vmcnt(0) lgkmcnt(0)
	v_mul_f64 v[64:65], v[206:207], v[202:203]
	v_mul_f64 v[202:203], v[204:205], v[202:203]
	v_fma_f64 v[64:65], v[204:205], v[200:201], -v[64:65]
	v_fmac_f64_e32 v[202:203], v[206:207], v[200:201]
	v_add_f64 v[2:3], v[2:3], v[64:65]
	v_add_f64 v[4:5], v[4:5], v[202:203]
	s_andn2_b64 exec, exec, s[10:11]
	s_cbranch_execnz .LBB62_589
; %bb.590:
	s_or_b64 exec, exec, s[10:11]
.LBB62_591:
	s_or_b64 exec, exec, s[0:1]
.LBB62_592:
	s_or_b64 exec, exec, s[8:9]
	v_mov_b32_e32 v6, 0
	ds_read_b128 v[198:201], v6 offset:304
	s_waitcnt lgkmcnt(0)
	v_mul_f64 v[6:7], v[4:5], v[200:201]
	v_mul_f64 v[202:203], v[2:3], v[200:201]
	v_fma_f64 v[200:201], v[2:3], v[198:199], -v[6:7]
	v_fmac_f64_e32 v[202:203], v[4:5], v[198:199]
	scratch_store_dwordx4 off, v[200:203], off offset:304
.LBB62_593:
	s_or_b64 exec, exec, s[4:5]
	scratch_load_dwordx4 v[2:5], v180, off
	v_cmp_lt_u32_e64 s[0:1], 18, v0
	s_waitcnt vmcnt(0)
	ds_write_b128 v9, v[2:5]
	s_waitcnt lgkmcnt(0)
	; wave barrier
	s_waitcnt lgkmcnt(0)
	s_and_saveexec_b64 s[4:5], s[0:1]
	s_cbranch_execz .LBB62_607
; %bb.594:
	ds_read_b128 v[2:5], v9
	s_andn2_b64 vcc, exec, s[6:7]
	s_cbranch_vccnz .LBB62_596
; %bb.595:
	scratch_load_dwordx4 v[198:201], v8, off
	s_waitcnt vmcnt(0) lgkmcnt(0)
	v_mul_f64 v[64:65], v[2:3], v[200:201]
	v_mul_f64 v[6:7], v[4:5], v[200:201]
	v_fmac_f64_e32 v[64:65], v[4:5], v[198:199]
	v_fma_f64 v[2:3], v[2:3], v[198:199], -v[6:7]
	v_mov_b64_e32 v[4:5], v[64:65]
.LBB62_596:
	s_and_saveexec_b64 s[8:9], s[2:3]
	s_cbranch_execz .LBB62_606
; %bb.597:
	v_subrev_u32_e32 v7, 20, v0
	v_subrev_u32_e32 v6, 19, v0
	v_cmp_lt_u32_e32 vcc, 6, v7
	v_mov_b32_e32 v199, 19
	s_and_saveexec_b64 s[2:3], vcc
	s_cbranch_execz .LBB62_601
; %bb.598:
	v_and_b32_e32 v7, -8, v6
	s_mov_b32 s12, 0
	s_mov_b64 s[10:11], 0
	v_mov_b32_e32 v198, 0
	s_mov_b32 s13, 0
.LBB62_599:                             ; =>This Inner Loop Header: Depth=1
	v_readfirstlane_b32 s14, v198
	s_add_i32 s14, s14, s12
	s_add_i32 s15, s14, 0x130
	v_mov_b32_e32 v199, s12
	ds_read_b128 v[200:203], v199 offset:1312
	ds_read_b128 v[204:207], v199 offset:1328
	;; [unrolled: 1-line block ×4, first 2 shown]
	scratch_load_dwordx4 v[216:219], off, s15
	s_add_i32 s15, s14, 0x140
	s_addk_i32 s12, 0x80
	s_waitcnt vmcnt(0) lgkmcnt(3)
	v_mul_f64 v[64:65], v[202:203], v[218:219]
	v_fma_f64 v[64:65], v[200:201], v[216:217], -v[64:65]
	v_mul_f64 v[200:201], v[200:201], v[218:219]
	v_fmac_f64_e32 v[200:201], v[202:203], v[216:217]
	v_add_f64 v[64:65], v[2:3], v[64:65]
	v_add_f64 v[200:201], v[4:5], v[200:201]
	scratch_load_dwordx4 v[2:5], off, s15
	s_add_i32 s15, s14, 0x150
	s_waitcnt vmcnt(0) lgkmcnt(2)
	v_mul_f64 v[202:203], v[206:207], v[4:5]
	v_mul_f64 v[4:5], v[204:205], v[4:5]
	v_fmac_f64_e32 v[4:5], v[206:207], v[2:3]
	v_fma_f64 v[202:203], v[204:205], v[2:3], -v[202:203]
	v_add_f64 v[200:201], v[200:201], v[4:5]
	scratch_load_dwordx4 v[2:5], off, s15
	v_add_f64 v[64:65], v[64:65], v[202:203]
	s_add_i32 s15, s14, 0x160
	s_waitcnt vmcnt(0) lgkmcnt(1)
	v_mul_f64 v[202:203], v[210:211], v[4:5]
	v_mul_f64 v[4:5], v[208:209], v[4:5]
	v_fmac_f64_e32 v[4:5], v[210:211], v[2:3]
	v_fma_f64 v[202:203], v[208:209], v[2:3], -v[202:203]
	v_add_f64 v[200:201], v[200:201], v[4:5]
	scratch_load_dwordx4 v[2:5], off, s15
	v_add_f64 v[64:65], v[64:65], v[202:203]
	s_add_i32 s15, s14, 0x170
	s_waitcnt vmcnt(0) lgkmcnt(0)
	v_mul_f64 v[202:203], v[214:215], v[4:5]
	v_mul_f64 v[4:5], v[212:213], v[4:5]
	v_fma_f64 v[202:203], v[212:213], v[2:3], -v[202:203]
	v_fmac_f64_e32 v[4:5], v[214:215], v[2:3]
	v_add_f64 v[64:65], v[64:65], v[202:203]
	v_add_f64 v[204:205], v[200:201], v[4:5]
	scratch_load_dwordx4 v[200:203], off, s15
	ds_read_b128 v[2:5], v199 offset:1376
	s_add_i32 s15, s14, 0x180
	s_waitcnt vmcnt(0) lgkmcnt(0)
	v_mul_f64 v[206:207], v[4:5], v[202:203]
	v_fma_f64 v[206:207], v[2:3], v[200:201], -v[206:207]
	v_mul_f64 v[2:3], v[2:3], v[202:203]
	v_fmac_f64_e32 v[2:3], v[4:5], v[200:201]
	scratch_load_dwordx4 v[200:203], off, s15
	v_add_f64 v[204:205], v[204:205], v[2:3]
	ds_read_b128 v[2:5], v199 offset:1392
	v_add_f64 v[64:65], v[64:65], v[206:207]
	s_add_i32 s15, s14, 0x190
	s_addk_i32 s14, 0x1a0
	s_waitcnt vmcnt(0) lgkmcnt(0)
	v_mul_f64 v[206:207], v[4:5], v[202:203]
	v_fma_f64 v[206:207], v[2:3], v[200:201], -v[206:207]
	v_mul_f64 v[2:3], v[2:3], v[202:203]
	v_fmac_f64_e32 v[2:3], v[4:5], v[200:201]
	scratch_load_dwordx4 v[200:203], off, s15
	v_add_f64 v[204:205], v[204:205], v[2:3]
	ds_read_b128 v[2:5], v199 offset:1408
	v_add_f64 v[64:65], v[64:65], v[206:207]
	s_waitcnt vmcnt(0) lgkmcnt(0)
	v_mul_f64 v[206:207], v[4:5], v[202:203]
	v_fma_f64 v[206:207], v[2:3], v[200:201], -v[206:207]
	v_mul_f64 v[2:3], v[2:3], v[202:203]
	v_fmac_f64_e32 v[2:3], v[4:5], v[200:201]
	scratch_load_dwordx4 v[200:203], off, s14
	v_add_f64 v[204:205], v[204:205], v[2:3]
	ds_read_b128 v[2:5], v199 offset:1424
	v_add_f64 v[64:65], v[64:65], v[206:207]
	s_add_i32 s14, s13, 8
	v_cmp_eq_u32_e32 vcc, s14, v7
	s_add_i32 s13, s13, 27
	s_or_b64 s[10:11], vcc, s[10:11]
	v_mov_b32_e32 v199, s13
	s_mov_b32 s13, s14
	s_waitcnt vmcnt(0) lgkmcnt(0)
	v_mul_f64 v[206:207], v[4:5], v[202:203]
	v_mul_f64 v[202:203], v[2:3], v[202:203]
	v_fma_f64 v[206:207], v[2:3], v[200:201], -v[206:207]
	v_fmac_f64_e32 v[202:203], v[4:5], v[200:201]
	v_add_f64 v[2:3], v[64:65], v[206:207]
	v_add_f64 v[4:5], v[204:205], v[202:203]
	s_andn2_b64 exec, exec, s[10:11]
	s_cbranch_execnz .LBB62_599
; %bb.600:
	s_or_b64 exec, exec, s[10:11]
.LBB62_601:
	s_or_b64 exec, exec, s[2:3]
	v_and_b32_e32 v6, 7, v6
	v_cmp_ne_u32_e32 vcc, 0, v6
	s_and_saveexec_b64 s[2:3], vcc
	s_cbranch_execz .LBB62_605
; %bb.602:
	v_lshlrev_b32_e32 v64, 4, v199
	v_add_u32_e32 v7, 0x3f0, v64
	v_add_u32_e32 v198, 0, v64
	s_mov_b64 s[10:11], 0
.LBB62_603:                             ; =>This Inner Loop Header: Depth=1
	scratch_load_dwordx4 v[200:203], v198, off
	ds_read_b128 v[204:207], v7
	v_add_u32_e32 v6, -1, v6
	v_cmp_eq_u32_e32 vcc, 0, v6
	v_add_u32_e32 v7, 16, v7
	v_add_u32_e32 v198, 16, v198
	s_or_b64 s[10:11], vcc, s[10:11]
	s_waitcnt vmcnt(0) lgkmcnt(0)
	v_mul_f64 v[64:65], v[206:207], v[202:203]
	v_mul_f64 v[202:203], v[204:205], v[202:203]
	v_fma_f64 v[64:65], v[204:205], v[200:201], -v[64:65]
	v_fmac_f64_e32 v[202:203], v[206:207], v[200:201]
	v_add_f64 v[2:3], v[2:3], v[64:65]
	v_add_f64 v[4:5], v[4:5], v[202:203]
	s_andn2_b64 exec, exec, s[10:11]
	s_cbranch_execnz .LBB62_603
; %bb.604:
	s_or_b64 exec, exec, s[10:11]
.LBB62_605:
	s_or_b64 exec, exec, s[2:3]
.LBB62_606:
	s_or_b64 exec, exec, s[8:9]
	v_mov_b32_e32 v6, 0
	ds_read_b128 v[198:201], v6 offset:288
	s_waitcnt lgkmcnt(0)
	v_mul_f64 v[6:7], v[4:5], v[200:201]
	v_mul_f64 v[202:203], v[2:3], v[200:201]
	v_fma_f64 v[200:201], v[2:3], v[198:199], -v[6:7]
	v_fmac_f64_e32 v[202:203], v[4:5], v[198:199]
	scratch_store_dwordx4 off, v[200:203], off offset:288
.LBB62_607:
	s_or_b64 exec, exec, s[4:5]
	scratch_load_dwordx4 v[2:5], v181, off
	v_cmp_lt_u32_e64 s[2:3], 17, v0
	s_waitcnt vmcnt(0)
	ds_write_b128 v9, v[2:5]
	s_waitcnt lgkmcnt(0)
	; wave barrier
	s_waitcnt lgkmcnt(0)
	s_and_saveexec_b64 s[4:5], s[2:3]
	s_cbranch_execz .LBB62_621
; %bb.608:
	ds_read_b128 v[2:5], v9
	s_andn2_b64 vcc, exec, s[6:7]
	s_cbranch_vccnz .LBB62_610
; %bb.609:
	scratch_load_dwordx4 v[198:201], v8, off
	s_waitcnt vmcnt(0) lgkmcnt(0)
	v_mul_f64 v[64:65], v[2:3], v[200:201]
	v_mul_f64 v[6:7], v[4:5], v[200:201]
	v_fmac_f64_e32 v[64:65], v[4:5], v[198:199]
	v_fma_f64 v[2:3], v[2:3], v[198:199], -v[6:7]
	v_mov_b64_e32 v[4:5], v[64:65]
.LBB62_610:
	s_and_saveexec_b64 s[8:9], s[0:1]
	s_cbranch_execz .LBB62_620
; %bb.611:
	v_subrev_u32_e32 v7, 19, v0
	v_subrev_u32_e32 v6, 18, v0
	v_cmp_lt_u32_e32 vcc, 6, v7
	v_mov_b32_e32 v199, 18
	s_and_saveexec_b64 s[0:1], vcc
	s_cbranch_execz .LBB62_615
; %bb.612:
	v_and_b32_e32 v7, -8, v6
	s_mov_b32 s12, 0
	s_mov_b64 s[10:11], 0
	v_mov_b32_e32 v198, 0
	s_mov_b32 s13, 0
.LBB62_613:                             ; =>This Inner Loop Header: Depth=1
	v_readfirstlane_b32 s14, v198
	s_add_i32 s14, s14, s12
	s_add_i32 s15, s14, 0x120
	v_mov_b32_e32 v199, s12
	ds_read_b128 v[200:203], v199 offset:1296
	ds_read_b128 v[204:207], v199 offset:1312
	;; [unrolled: 1-line block ×4, first 2 shown]
	scratch_load_dwordx4 v[216:219], off, s15
	s_add_i32 s15, s14, 0x130
	s_addk_i32 s12, 0x80
	s_waitcnt vmcnt(0) lgkmcnt(3)
	v_mul_f64 v[64:65], v[202:203], v[218:219]
	v_fma_f64 v[64:65], v[200:201], v[216:217], -v[64:65]
	v_mul_f64 v[200:201], v[200:201], v[218:219]
	v_fmac_f64_e32 v[200:201], v[202:203], v[216:217]
	v_add_f64 v[64:65], v[2:3], v[64:65]
	v_add_f64 v[200:201], v[4:5], v[200:201]
	scratch_load_dwordx4 v[2:5], off, s15
	s_add_i32 s15, s14, 0x140
	s_waitcnt vmcnt(0) lgkmcnt(2)
	v_mul_f64 v[202:203], v[206:207], v[4:5]
	v_mul_f64 v[4:5], v[204:205], v[4:5]
	v_fmac_f64_e32 v[4:5], v[206:207], v[2:3]
	v_fma_f64 v[202:203], v[204:205], v[2:3], -v[202:203]
	v_add_f64 v[200:201], v[200:201], v[4:5]
	scratch_load_dwordx4 v[2:5], off, s15
	v_add_f64 v[64:65], v[64:65], v[202:203]
	s_add_i32 s15, s14, 0x150
	s_waitcnt vmcnt(0) lgkmcnt(1)
	v_mul_f64 v[202:203], v[210:211], v[4:5]
	v_mul_f64 v[4:5], v[208:209], v[4:5]
	v_fmac_f64_e32 v[4:5], v[210:211], v[2:3]
	v_fma_f64 v[202:203], v[208:209], v[2:3], -v[202:203]
	v_add_f64 v[200:201], v[200:201], v[4:5]
	scratch_load_dwordx4 v[2:5], off, s15
	v_add_f64 v[64:65], v[64:65], v[202:203]
	s_add_i32 s15, s14, 0x160
	s_waitcnt vmcnt(0) lgkmcnt(0)
	v_mul_f64 v[202:203], v[214:215], v[4:5]
	v_mul_f64 v[4:5], v[212:213], v[4:5]
	v_fma_f64 v[202:203], v[212:213], v[2:3], -v[202:203]
	v_fmac_f64_e32 v[4:5], v[214:215], v[2:3]
	v_add_f64 v[64:65], v[64:65], v[202:203]
	v_add_f64 v[204:205], v[200:201], v[4:5]
	scratch_load_dwordx4 v[200:203], off, s15
	ds_read_b128 v[2:5], v199 offset:1360
	s_add_i32 s15, s14, 0x170
	s_waitcnt vmcnt(0) lgkmcnt(0)
	v_mul_f64 v[206:207], v[4:5], v[202:203]
	v_fma_f64 v[206:207], v[2:3], v[200:201], -v[206:207]
	v_mul_f64 v[2:3], v[2:3], v[202:203]
	v_fmac_f64_e32 v[2:3], v[4:5], v[200:201]
	scratch_load_dwordx4 v[200:203], off, s15
	v_add_f64 v[204:205], v[204:205], v[2:3]
	ds_read_b128 v[2:5], v199 offset:1376
	v_add_f64 v[64:65], v[64:65], v[206:207]
	s_add_i32 s15, s14, 0x180
	s_addk_i32 s14, 0x190
	s_waitcnt vmcnt(0) lgkmcnt(0)
	v_mul_f64 v[206:207], v[4:5], v[202:203]
	v_fma_f64 v[206:207], v[2:3], v[200:201], -v[206:207]
	v_mul_f64 v[2:3], v[2:3], v[202:203]
	v_fmac_f64_e32 v[2:3], v[4:5], v[200:201]
	scratch_load_dwordx4 v[200:203], off, s15
	v_add_f64 v[204:205], v[204:205], v[2:3]
	ds_read_b128 v[2:5], v199 offset:1392
	v_add_f64 v[64:65], v[64:65], v[206:207]
	s_waitcnt vmcnt(0) lgkmcnt(0)
	v_mul_f64 v[206:207], v[4:5], v[202:203]
	v_fma_f64 v[206:207], v[2:3], v[200:201], -v[206:207]
	v_mul_f64 v[2:3], v[2:3], v[202:203]
	v_fmac_f64_e32 v[2:3], v[4:5], v[200:201]
	scratch_load_dwordx4 v[200:203], off, s14
	v_add_f64 v[204:205], v[204:205], v[2:3]
	ds_read_b128 v[2:5], v199 offset:1408
	v_add_f64 v[64:65], v[64:65], v[206:207]
	s_add_i32 s14, s13, 8
	v_cmp_eq_u32_e32 vcc, s14, v7
	s_add_i32 s13, s13, 26
	s_or_b64 s[10:11], vcc, s[10:11]
	v_mov_b32_e32 v199, s13
	s_mov_b32 s13, s14
	s_waitcnt vmcnt(0) lgkmcnt(0)
	v_mul_f64 v[206:207], v[4:5], v[202:203]
	v_mul_f64 v[202:203], v[2:3], v[202:203]
	v_fma_f64 v[206:207], v[2:3], v[200:201], -v[206:207]
	v_fmac_f64_e32 v[202:203], v[4:5], v[200:201]
	v_add_f64 v[2:3], v[64:65], v[206:207]
	v_add_f64 v[4:5], v[204:205], v[202:203]
	s_andn2_b64 exec, exec, s[10:11]
	s_cbranch_execnz .LBB62_613
; %bb.614:
	s_or_b64 exec, exec, s[10:11]
.LBB62_615:
	s_or_b64 exec, exec, s[0:1]
	v_and_b32_e32 v6, 7, v6
	v_cmp_ne_u32_e32 vcc, 0, v6
	s_and_saveexec_b64 s[0:1], vcc
	s_cbranch_execz .LBB62_619
; %bb.616:
	v_lshlrev_b32_e32 v64, 4, v199
	v_add_u32_e32 v7, 0x3f0, v64
	v_add_u32_e32 v198, 0, v64
	s_mov_b64 s[10:11], 0
.LBB62_617:                             ; =>This Inner Loop Header: Depth=1
	scratch_load_dwordx4 v[200:203], v198, off
	ds_read_b128 v[204:207], v7
	v_add_u32_e32 v6, -1, v6
	v_cmp_eq_u32_e32 vcc, 0, v6
	v_add_u32_e32 v7, 16, v7
	v_add_u32_e32 v198, 16, v198
	s_or_b64 s[10:11], vcc, s[10:11]
	s_waitcnt vmcnt(0) lgkmcnt(0)
	v_mul_f64 v[64:65], v[206:207], v[202:203]
	v_mul_f64 v[202:203], v[204:205], v[202:203]
	v_fma_f64 v[64:65], v[204:205], v[200:201], -v[64:65]
	v_fmac_f64_e32 v[202:203], v[206:207], v[200:201]
	v_add_f64 v[2:3], v[2:3], v[64:65]
	v_add_f64 v[4:5], v[4:5], v[202:203]
	s_andn2_b64 exec, exec, s[10:11]
	s_cbranch_execnz .LBB62_617
; %bb.618:
	s_or_b64 exec, exec, s[10:11]
.LBB62_619:
	s_or_b64 exec, exec, s[0:1]
.LBB62_620:
	s_or_b64 exec, exec, s[8:9]
	v_mov_b32_e32 v6, 0
	ds_read_b128 v[198:201], v6 offset:272
	s_waitcnt lgkmcnt(0)
	v_mul_f64 v[6:7], v[4:5], v[200:201]
	v_mul_f64 v[202:203], v[2:3], v[200:201]
	v_fma_f64 v[200:201], v[2:3], v[198:199], -v[6:7]
	v_fmac_f64_e32 v[202:203], v[4:5], v[198:199]
	scratch_store_dwordx4 off, v[200:203], off offset:272
.LBB62_621:
	s_or_b64 exec, exec, s[4:5]
	scratch_load_dwordx4 v[2:5], v182, off
	v_cmp_lt_u32_e64 s[0:1], 16, v0
	s_waitcnt vmcnt(0)
	ds_write_b128 v9, v[2:5]
	s_waitcnt lgkmcnt(0)
	; wave barrier
	s_waitcnt lgkmcnt(0)
	s_and_saveexec_b64 s[4:5], s[0:1]
	s_cbranch_execz .LBB62_635
; %bb.622:
	ds_read_b128 v[2:5], v9
	s_andn2_b64 vcc, exec, s[6:7]
	s_cbranch_vccnz .LBB62_624
; %bb.623:
	scratch_load_dwordx4 v[198:201], v8, off
	s_waitcnt vmcnt(0) lgkmcnt(0)
	v_mul_f64 v[64:65], v[2:3], v[200:201]
	v_mul_f64 v[6:7], v[4:5], v[200:201]
	v_fmac_f64_e32 v[64:65], v[4:5], v[198:199]
	v_fma_f64 v[2:3], v[2:3], v[198:199], -v[6:7]
	v_mov_b64_e32 v[4:5], v[64:65]
.LBB62_624:
	s_and_saveexec_b64 s[8:9], s[2:3]
	s_cbranch_execz .LBB62_634
; %bb.625:
	v_subrev_u32_e32 v7, 18, v0
	v_subrev_u32_e32 v6, 17, v0
	v_cmp_lt_u32_e32 vcc, 6, v7
	v_mov_b32_e32 v199, 17
	s_and_saveexec_b64 s[2:3], vcc
	s_cbranch_execz .LBB62_629
; %bb.626:
	v_and_b32_e32 v7, -8, v6
	s_mov_b32 s12, 0
	s_mov_b64 s[10:11], 0
	v_mov_b32_e32 v198, 0
	s_mov_b32 s13, 0
.LBB62_627:                             ; =>This Inner Loop Header: Depth=1
	v_readfirstlane_b32 s14, v198
	s_add_i32 s14, s14, s12
	s_add_i32 s15, s14, 0x110
	v_mov_b32_e32 v199, s12
	ds_read_b128 v[200:203], v199 offset:1280
	ds_read_b128 v[204:207], v199 offset:1296
	;; [unrolled: 1-line block ×4, first 2 shown]
	scratch_load_dwordx4 v[216:219], off, s15
	s_add_i32 s15, s14, 0x120
	s_addk_i32 s12, 0x80
	s_waitcnt vmcnt(0) lgkmcnt(3)
	v_mul_f64 v[64:65], v[202:203], v[218:219]
	v_fma_f64 v[64:65], v[200:201], v[216:217], -v[64:65]
	v_mul_f64 v[200:201], v[200:201], v[218:219]
	v_fmac_f64_e32 v[200:201], v[202:203], v[216:217]
	v_add_f64 v[64:65], v[2:3], v[64:65]
	v_add_f64 v[200:201], v[4:5], v[200:201]
	scratch_load_dwordx4 v[2:5], off, s15
	s_add_i32 s15, s14, 0x130
	s_waitcnt vmcnt(0) lgkmcnt(2)
	v_mul_f64 v[202:203], v[206:207], v[4:5]
	v_mul_f64 v[4:5], v[204:205], v[4:5]
	v_fmac_f64_e32 v[4:5], v[206:207], v[2:3]
	v_fma_f64 v[202:203], v[204:205], v[2:3], -v[202:203]
	v_add_f64 v[200:201], v[200:201], v[4:5]
	scratch_load_dwordx4 v[2:5], off, s15
	v_add_f64 v[64:65], v[64:65], v[202:203]
	s_add_i32 s15, s14, 0x140
	s_waitcnt vmcnt(0) lgkmcnt(1)
	v_mul_f64 v[202:203], v[210:211], v[4:5]
	v_mul_f64 v[4:5], v[208:209], v[4:5]
	v_fmac_f64_e32 v[4:5], v[210:211], v[2:3]
	v_fma_f64 v[202:203], v[208:209], v[2:3], -v[202:203]
	v_add_f64 v[200:201], v[200:201], v[4:5]
	scratch_load_dwordx4 v[2:5], off, s15
	v_add_f64 v[64:65], v[64:65], v[202:203]
	s_add_i32 s15, s14, 0x150
	s_waitcnt vmcnt(0) lgkmcnt(0)
	v_mul_f64 v[202:203], v[214:215], v[4:5]
	v_mul_f64 v[4:5], v[212:213], v[4:5]
	v_fma_f64 v[202:203], v[212:213], v[2:3], -v[202:203]
	v_fmac_f64_e32 v[4:5], v[214:215], v[2:3]
	v_add_f64 v[64:65], v[64:65], v[202:203]
	v_add_f64 v[204:205], v[200:201], v[4:5]
	scratch_load_dwordx4 v[200:203], off, s15
	ds_read_b128 v[2:5], v199 offset:1344
	s_add_i32 s15, s14, 0x160
	s_waitcnt vmcnt(0) lgkmcnt(0)
	v_mul_f64 v[206:207], v[4:5], v[202:203]
	v_fma_f64 v[206:207], v[2:3], v[200:201], -v[206:207]
	v_mul_f64 v[2:3], v[2:3], v[202:203]
	v_fmac_f64_e32 v[2:3], v[4:5], v[200:201]
	scratch_load_dwordx4 v[200:203], off, s15
	v_add_f64 v[204:205], v[204:205], v[2:3]
	ds_read_b128 v[2:5], v199 offset:1360
	v_add_f64 v[64:65], v[64:65], v[206:207]
	s_add_i32 s15, s14, 0x170
	s_addk_i32 s14, 0x180
	s_waitcnt vmcnt(0) lgkmcnt(0)
	v_mul_f64 v[206:207], v[4:5], v[202:203]
	v_fma_f64 v[206:207], v[2:3], v[200:201], -v[206:207]
	v_mul_f64 v[2:3], v[2:3], v[202:203]
	v_fmac_f64_e32 v[2:3], v[4:5], v[200:201]
	scratch_load_dwordx4 v[200:203], off, s15
	v_add_f64 v[204:205], v[204:205], v[2:3]
	ds_read_b128 v[2:5], v199 offset:1376
	v_add_f64 v[64:65], v[64:65], v[206:207]
	s_waitcnt vmcnt(0) lgkmcnt(0)
	v_mul_f64 v[206:207], v[4:5], v[202:203]
	v_fma_f64 v[206:207], v[2:3], v[200:201], -v[206:207]
	v_mul_f64 v[2:3], v[2:3], v[202:203]
	v_fmac_f64_e32 v[2:3], v[4:5], v[200:201]
	scratch_load_dwordx4 v[200:203], off, s14
	v_add_f64 v[204:205], v[204:205], v[2:3]
	ds_read_b128 v[2:5], v199 offset:1392
	v_add_f64 v[64:65], v[64:65], v[206:207]
	s_add_i32 s14, s13, 8
	v_cmp_eq_u32_e32 vcc, s14, v7
	s_add_i32 s13, s13, 25
	s_or_b64 s[10:11], vcc, s[10:11]
	v_mov_b32_e32 v199, s13
	s_mov_b32 s13, s14
	s_waitcnt vmcnt(0) lgkmcnt(0)
	v_mul_f64 v[206:207], v[4:5], v[202:203]
	v_mul_f64 v[202:203], v[2:3], v[202:203]
	v_fma_f64 v[206:207], v[2:3], v[200:201], -v[206:207]
	v_fmac_f64_e32 v[202:203], v[4:5], v[200:201]
	v_add_f64 v[2:3], v[64:65], v[206:207]
	v_add_f64 v[4:5], v[204:205], v[202:203]
	s_andn2_b64 exec, exec, s[10:11]
	s_cbranch_execnz .LBB62_627
; %bb.628:
	s_or_b64 exec, exec, s[10:11]
.LBB62_629:
	s_or_b64 exec, exec, s[2:3]
	v_and_b32_e32 v6, 7, v6
	v_cmp_ne_u32_e32 vcc, 0, v6
	s_and_saveexec_b64 s[2:3], vcc
	s_cbranch_execz .LBB62_633
; %bb.630:
	v_lshlrev_b32_e32 v64, 4, v199
	v_add_u32_e32 v7, 0x3f0, v64
	v_add_u32_e32 v198, 0, v64
	s_mov_b64 s[10:11], 0
.LBB62_631:                             ; =>This Inner Loop Header: Depth=1
	scratch_load_dwordx4 v[200:203], v198, off
	ds_read_b128 v[204:207], v7
	v_add_u32_e32 v6, -1, v6
	v_cmp_eq_u32_e32 vcc, 0, v6
	v_add_u32_e32 v7, 16, v7
	v_add_u32_e32 v198, 16, v198
	s_or_b64 s[10:11], vcc, s[10:11]
	s_waitcnt vmcnt(0) lgkmcnt(0)
	v_mul_f64 v[64:65], v[206:207], v[202:203]
	v_mul_f64 v[202:203], v[204:205], v[202:203]
	v_fma_f64 v[64:65], v[204:205], v[200:201], -v[64:65]
	v_fmac_f64_e32 v[202:203], v[206:207], v[200:201]
	v_add_f64 v[2:3], v[2:3], v[64:65]
	v_add_f64 v[4:5], v[4:5], v[202:203]
	s_andn2_b64 exec, exec, s[10:11]
	s_cbranch_execnz .LBB62_631
; %bb.632:
	s_or_b64 exec, exec, s[10:11]
.LBB62_633:
	s_or_b64 exec, exec, s[2:3]
.LBB62_634:
	s_or_b64 exec, exec, s[8:9]
	v_mov_b32_e32 v6, 0
	ds_read_b128 v[198:201], v6 offset:256
	s_waitcnt lgkmcnt(0)
	v_mul_f64 v[6:7], v[4:5], v[200:201]
	v_mul_f64 v[202:203], v[2:3], v[200:201]
	v_fma_f64 v[200:201], v[2:3], v[198:199], -v[6:7]
	v_fmac_f64_e32 v[202:203], v[4:5], v[198:199]
	scratch_store_dwordx4 off, v[200:203], off offset:256
.LBB62_635:
	s_or_b64 exec, exec, s[4:5]
	scratch_load_dwordx4 v[2:5], v183, off
	v_cmp_lt_u32_e64 s[2:3], 15, v0
	s_waitcnt vmcnt(0)
	ds_write_b128 v9, v[2:5]
	s_waitcnt lgkmcnt(0)
	; wave barrier
	s_waitcnt lgkmcnt(0)
	s_and_saveexec_b64 s[4:5], s[2:3]
	s_cbranch_execz .LBB62_649
; %bb.636:
	ds_read_b128 v[2:5], v9
	s_andn2_b64 vcc, exec, s[6:7]
	s_cbranch_vccnz .LBB62_638
; %bb.637:
	scratch_load_dwordx4 v[198:201], v8, off
	s_waitcnt vmcnt(0) lgkmcnt(0)
	v_mul_f64 v[64:65], v[2:3], v[200:201]
	v_mul_f64 v[6:7], v[4:5], v[200:201]
	v_fmac_f64_e32 v[64:65], v[4:5], v[198:199]
	v_fma_f64 v[2:3], v[2:3], v[198:199], -v[6:7]
	v_mov_b64_e32 v[4:5], v[64:65]
.LBB62_638:
	s_and_saveexec_b64 s[8:9], s[0:1]
	s_cbranch_execz .LBB62_648
; %bb.639:
	v_subrev_u32_e32 v6, 17, v0
	v_cmp_lt_u32_e32 vcc, 6, v6
	v_mov_b32_e32 v6, 16
	s_and_saveexec_b64 s[0:1], vcc
	s_cbranch_execz .LBB62_643
; %bb.640:
	v_and_b32_e32 v6, 56, v0
	s_mov_b32 s12, 16
	s_mov_b32 s13, 0
	s_mov_b64 s[10:11], 0
	v_mov_b32_e32 v7, 0
.LBB62_641:                             ; =>This Inner Loop Header: Depth=1
	s_nop 0
	v_readfirstlane_b32 s14, v7
	s_add_i32 s14, s14, s13
	s_add_i32 s15, s14, 0x100
	v_mov_b32_e32 v218, s13
	ds_read_b128 v[198:201], v218 offset:1264
	ds_read_b128 v[202:205], v218 offset:1280
	;; [unrolled: 1-line block ×4, first 2 shown]
	scratch_load_dwordx4 v[214:217], off, s15
	s_add_i32 s15, s14, 0x110
	s_add_i32 s12, s12, 8
	s_addk_i32 s13, 0x80
	v_cmp_eq_u32_e32 vcc, s12, v6
	s_waitcnt vmcnt(0) lgkmcnt(3)
	v_mul_f64 v[64:65], v[200:201], v[216:217]
	v_fma_f64 v[64:65], v[198:199], v[214:215], -v[64:65]
	v_mul_f64 v[198:199], v[198:199], v[216:217]
	v_fmac_f64_e32 v[198:199], v[200:201], v[214:215]
	v_add_f64 v[64:65], v[2:3], v[64:65]
	v_add_f64 v[198:199], v[4:5], v[198:199]
	scratch_load_dwordx4 v[2:5], off, s15
	s_add_i32 s15, s14, 0x120
	s_waitcnt vmcnt(0) lgkmcnt(2)
	v_mul_f64 v[200:201], v[204:205], v[4:5]
	v_mul_f64 v[4:5], v[202:203], v[4:5]
	v_fmac_f64_e32 v[4:5], v[204:205], v[2:3]
	v_fma_f64 v[200:201], v[202:203], v[2:3], -v[200:201]
	v_add_f64 v[198:199], v[198:199], v[4:5]
	scratch_load_dwordx4 v[2:5], off, s15
	v_add_f64 v[64:65], v[64:65], v[200:201]
	s_add_i32 s15, s14, 0x130
	s_waitcnt vmcnt(0) lgkmcnt(1)
	v_mul_f64 v[200:201], v[208:209], v[4:5]
	v_mul_f64 v[4:5], v[206:207], v[4:5]
	v_fmac_f64_e32 v[4:5], v[208:209], v[2:3]
	v_fma_f64 v[200:201], v[206:207], v[2:3], -v[200:201]
	v_add_f64 v[198:199], v[198:199], v[4:5]
	scratch_load_dwordx4 v[2:5], off, s15
	v_add_f64 v[64:65], v[64:65], v[200:201]
	s_add_i32 s15, s14, 0x140
	s_waitcnt vmcnt(0) lgkmcnt(0)
	v_mul_f64 v[200:201], v[212:213], v[4:5]
	v_mul_f64 v[4:5], v[210:211], v[4:5]
	v_fma_f64 v[200:201], v[210:211], v[2:3], -v[200:201]
	v_fmac_f64_e32 v[4:5], v[212:213], v[2:3]
	v_add_f64 v[64:65], v[64:65], v[200:201]
	v_add_f64 v[202:203], v[198:199], v[4:5]
	scratch_load_dwordx4 v[198:201], off, s15
	ds_read_b128 v[2:5], v218 offset:1328
	s_add_i32 s15, s14, 0x150
	s_waitcnt vmcnt(0) lgkmcnt(0)
	v_mul_f64 v[204:205], v[4:5], v[200:201]
	v_fma_f64 v[204:205], v[2:3], v[198:199], -v[204:205]
	v_mul_f64 v[2:3], v[2:3], v[200:201]
	v_fmac_f64_e32 v[2:3], v[4:5], v[198:199]
	scratch_load_dwordx4 v[198:201], off, s15
	v_add_f64 v[202:203], v[202:203], v[2:3]
	ds_read_b128 v[2:5], v218 offset:1344
	v_add_f64 v[64:65], v[64:65], v[204:205]
	s_add_i32 s15, s14, 0x160
	s_addk_i32 s14, 0x170
	s_or_b64 s[10:11], vcc, s[10:11]
	s_waitcnt vmcnt(0) lgkmcnt(0)
	v_mul_f64 v[204:205], v[4:5], v[200:201]
	v_fma_f64 v[204:205], v[2:3], v[198:199], -v[204:205]
	v_mul_f64 v[2:3], v[2:3], v[200:201]
	v_fmac_f64_e32 v[2:3], v[4:5], v[198:199]
	scratch_load_dwordx4 v[198:201], off, s15
	v_add_f64 v[202:203], v[202:203], v[2:3]
	ds_read_b128 v[2:5], v218 offset:1360
	v_add_f64 v[64:65], v[64:65], v[204:205]
	s_waitcnt vmcnt(0) lgkmcnt(0)
	v_mul_f64 v[204:205], v[4:5], v[200:201]
	v_fma_f64 v[204:205], v[2:3], v[198:199], -v[204:205]
	v_mul_f64 v[2:3], v[2:3], v[200:201]
	v_fmac_f64_e32 v[2:3], v[4:5], v[198:199]
	scratch_load_dwordx4 v[198:201], off, s14
	v_add_f64 v[202:203], v[202:203], v[2:3]
	ds_read_b128 v[2:5], v218 offset:1376
	v_add_f64 v[64:65], v[64:65], v[204:205]
	s_waitcnt vmcnt(0) lgkmcnt(0)
	v_mul_f64 v[204:205], v[4:5], v[200:201]
	v_mul_f64 v[200:201], v[2:3], v[200:201]
	v_fma_f64 v[204:205], v[2:3], v[198:199], -v[204:205]
	v_fmac_f64_e32 v[200:201], v[4:5], v[198:199]
	v_add_f64 v[2:3], v[64:65], v[204:205]
	v_add_f64 v[4:5], v[202:203], v[200:201]
	s_andn2_b64 exec, exec, s[10:11]
	s_cbranch_execnz .LBB62_641
; %bb.642:
	s_or_b64 exec, exec, s[10:11]
.LBB62_643:
	s_or_b64 exec, exec, s[0:1]
	v_and_b32_e32 v7, 7, v0
	v_cmp_ne_u32_e32 vcc, 0, v7
	s_and_saveexec_b64 s[0:1], vcc
	s_cbranch_execz .LBB62_647
; %bb.644:
	v_lshlrev_b32_e32 v64, 4, v6
	v_add_u32_e32 v6, 0x3f0, v64
	v_add_u32_e32 v198, 0, v64
	s_mov_b64 s[10:11], 0
.LBB62_645:                             ; =>This Inner Loop Header: Depth=1
	scratch_load_dwordx4 v[200:203], v198, off
	ds_read_b128 v[204:207], v6
	v_add_u32_e32 v7, -1, v7
	v_cmp_eq_u32_e32 vcc, 0, v7
	v_add_u32_e32 v6, 16, v6
	v_add_u32_e32 v198, 16, v198
	s_or_b64 s[10:11], vcc, s[10:11]
	s_waitcnt vmcnt(0) lgkmcnt(0)
	v_mul_f64 v[64:65], v[206:207], v[202:203]
	v_mul_f64 v[202:203], v[204:205], v[202:203]
	v_fma_f64 v[64:65], v[204:205], v[200:201], -v[64:65]
	v_fmac_f64_e32 v[202:203], v[206:207], v[200:201]
	v_add_f64 v[2:3], v[2:3], v[64:65]
	v_add_f64 v[4:5], v[4:5], v[202:203]
	s_andn2_b64 exec, exec, s[10:11]
	s_cbranch_execnz .LBB62_645
; %bb.646:
	s_or_b64 exec, exec, s[10:11]
.LBB62_647:
	s_or_b64 exec, exec, s[0:1]
.LBB62_648:
	s_or_b64 exec, exec, s[8:9]
	v_mov_b32_e32 v6, 0
	ds_read_b128 v[198:201], v6 offset:240
	s_waitcnt lgkmcnt(0)
	v_mul_f64 v[6:7], v[4:5], v[200:201]
	v_mul_f64 v[202:203], v[2:3], v[200:201]
	v_fma_f64 v[200:201], v[2:3], v[198:199], -v[6:7]
	v_fmac_f64_e32 v[202:203], v[4:5], v[198:199]
	scratch_store_dwordx4 off, v[200:203], off offset:240
.LBB62_649:
	s_or_b64 exec, exec, s[4:5]
	scratch_load_dwordx4 v[2:5], v184, off
	v_cmp_lt_u32_e64 s[0:1], 14, v0
	s_waitcnt vmcnt(0)
	ds_write_b128 v9, v[2:5]
	s_waitcnt lgkmcnt(0)
	; wave barrier
	s_waitcnt lgkmcnt(0)
	s_and_saveexec_b64 s[4:5], s[0:1]
	s_cbranch_execz .LBB62_663
; %bb.650:
	ds_read_b128 v[2:5], v9
	s_andn2_b64 vcc, exec, s[6:7]
	s_cbranch_vccnz .LBB62_652
; %bb.651:
	scratch_load_dwordx4 v[198:201], v8, off
	s_waitcnt vmcnt(0) lgkmcnt(0)
	v_mul_f64 v[64:65], v[2:3], v[200:201]
	v_mul_f64 v[6:7], v[4:5], v[200:201]
	v_fmac_f64_e32 v[64:65], v[4:5], v[198:199]
	v_fma_f64 v[2:3], v[2:3], v[198:199], -v[6:7]
	v_mov_b64_e32 v[4:5], v[64:65]
.LBB62_652:
	s_and_saveexec_b64 s[8:9], s[2:3]
	s_cbranch_execz .LBB62_662
; %bb.653:
	v_add_u32_e32 v7, -16, v0
	v_add_u32_e32 v6, -15, v0
	v_cmp_lt_u32_e32 vcc, 6, v7
	v_mov_b32_e32 v199, 15
	s_and_saveexec_b64 s[2:3], vcc
	s_cbranch_execz .LBB62_657
; %bb.654:
	v_and_b32_e32 v7, -8, v6
	s_mov_b32 s12, 0
	s_mov_b64 s[10:11], 0
	v_mov_b32_e32 v198, 0
	s_mov_b32 s13, 0
.LBB62_655:                             ; =>This Inner Loop Header: Depth=1
	v_readfirstlane_b32 s14, v198
	s_add_i32 s14, s14, s12
	s_add_i32 s15, s14, 0xf0
	v_mov_b32_e32 v199, s12
	ds_read_b128 v[200:203], v199 offset:1248
	ds_read_b128 v[204:207], v199 offset:1264
	;; [unrolled: 1-line block ×4, first 2 shown]
	scratch_load_dwordx4 v[216:219], off, s15
	s_add_i32 s15, s14, 0x100
	s_addk_i32 s12, 0x80
	s_waitcnt vmcnt(0) lgkmcnt(3)
	v_mul_f64 v[64:65], v[202:203], v[218:219]
	v_fma_f64 v[64:65], v[200:201], v[216:217], -v[64:65]
	v_mul_f64 v[200:201], v[200:201], v[218:219]
	v_fmac_f64_e32 v[200:201], v[202:203], v[216:217]
	v_add_f64 v[64:65], v[2:3], v[64:65]
	v_add_f64 v[200:201], v[4:5], v[200:201]
	scratch_load_dwordx4 v[2:5], off, s15
	s_add_i32 s15, s14, 0x110
	s_waitcnt vmcnt(0) lgkmcnt(2)
	v_mul_f64 v[202:203], v[206:207], v[4:5]
	v_mul_f64 v[4:5], v[204:205], v[4:5]
	v_fmac_f64_e32 v[4:5], v[206:207], v[2:3]
	v_fma_f64 v[202:203], v[204:205], v[2:3], -v[202:203]
	v_add_f64 v[200:201], v[200:201], v[4:5]
	scratch_load_dwordx4 v[2:5], off, s15
	v_add_f64 v[64:65], v[64:65], v[202:203]
	s_add_i32 s15, s14, 0x120
	s_waitcnt vmcnt(0) lgkmcnt(1)
	v_mul_f64 v[202:203], v[210:211], v[4:5]
	v_mul_f64 v[4:5], v[208:209], v[4:5]
	v_fmac_f64_e32 v[4:5], v[210:211], v[2:3]
	v_fma_f64 v[202:203], v[208:209], v[2:3], -v[202:203]
	v_add_f64 v[200:201], v[200:201], v[4:5]
	scratch_load_dwordx4 v[2:5], off, s15
	v_add_f64 v[64:65], v[64:65], v[202:203]
	s_add_i32 s15, s14, 0x130
	s_waitcnt vmcnt(0) lgkmcnt(0)
	v_mul_f64 v[202:203], v[214:215], v[4:5]
	v_mul_f64 v[4:5], v[212:213], v[4:5]
	v_fma_f64 v[202:203], v[212:213], v[2:3], -v[202:203]
	v_fmac_f64_e32 v[4:5], v[214:215], v[2:3]
	v_add_f64 v[64:65], v[64:65], v[202:203]
	v_add_f64 v[204:205], v[200:201], v[4:5]
	scratch_load_dwordx4 v[200:203], off, s15
	ds_read_b128 v[2:5], v199 offset:1312
	s_add_i32 s15, s14, 0x140
	s_waitcnt vmcnt(0) lgkmcnt(0)
	v_mul_f64 v[206:207], v[4:5], v[202:203]
	v_fma_f64 v[206:207], v[2:3], v[200:201], -v[206:207]
	v_mul_f64 v[2:3], v[2:3], v[202:203]
	v_fmac_f64_e32 v[2:3], v[4:5], v[200:201]
	scratch_load_dwordx4 v[200:203], off, s15
	v_add_f64 v[204:205], v[204:205], v[2:3]
	ds_read_b128 v[2:5], v199 offset:1328
	v_add_f64 v[64:65], v[64:65], v[206:207]
	s_add_i32 s15, s14, 0x150
	s_addk_i32 s14, 0x160
	s_waitcnt vmcnt(0) lgkmcnt(0)
	v_mul_f64 v[206:207], v[4:5], v[202:203]
	v_fma_f64 v[206:207], v[2:3], v[200:201], -v[206:207]
	v_mul_f64 v[2:3], v[2:3], v[202:203]
	v_fmac_f64_e32 v[2:3], v[4:5], v[200:201]
	scratch_load_dwordx4 v[200:203], off, s15
	v_add_f64 v[204:205], v[204:205], v[2:3]
	ds_read_b128 v[2:5], v199 offset:1344
	v_add_f64 v[64:65], v[64:65], v[206:207]
	s_waitcnt vmcnt(0) lgkmcnt(0)
	v_mul_f64 v[206:207], v[4:5], v[202:203]
	v_fma_f64 v[206:207], v[2:3], v[200:201], -v[206:207]
	v_mul_f64 v[2:3], v[2:3], v[202:203]
	v_fmac_f64_e32 v[2:3], v[4:5], v[200:201]
	scratch_load_dwordx4 v[200:203], off, s14
	v_add_f64 v[204:205], v[204:205], v[2:3]
	ds_read_b128 v[2:5], v199 offset:1360
	v_add_f64 v[64:65], v[64:65], v[206:207]
	s_add_i32 s14, s13, 8
	v_cmp_eq_u32_e32 vcc, s14, v7
	s_add_i32 s13, s13, 23
	s_or_b64 s[10:11], vcc, s[10:11]
	v_mov_b32_e32 v199, s13
	s_mov_b32 s13, s14
	s_waitcnt vmcnt(0) lgkmcnt(0)
	v_mul_f64 v[206:207], v[4:5], v[202:203]
	v_mul_f64 v[202:203], v[2:3], v[202:203]
	v_fma_f64 v[206:207], v[2:3], v[200:201], -v[206:207]
	v_fmac_f64_e32 v[202:203], v[4:5], v[200:201]
	v_add_f64 v[2:3], v[64:65], v[206:207]
	v_add_f64 v[4:5], v[204:205], v[202:203]
	s_andn2_b64 exec, exec, s[10:11]
	s_cbranch_execnz .LBB62_655
; %bb.656:
	s_or_b64 exec, exec, s[10:11]
.LBB62_657:
	s_or_b64 exec, exec, s[2:3]
	v_and_b32_e32 v6, 7, v6
	v_cmp_ne_u32_e32 vcc, 0, v6
	s_and_saveexec_b64 s[2:3], vcc
	s_cbranch_execz .LBB62_661
; %bb.658:
	v_lshlrev_b32_e32 v64, 4, v199
	v_add_u32_e32 v7, 0x3f0, v64
	v_add_u32_e32 v198, 0, v64
	s_mov_b64 s[10:11], 0
.LBB62_659:                             ; =>This Inner Loop Header: Depth=1
	scratch_load_dwordx4 v[200:203], v198, off
	ds_read_b128 v[204:207], v7
	v_add_u32_e32 v6, -1, v6
	v_cmp_eq_u32_e32 vcc, 0, v6
	v_add_u32_e32 v7, 16, v7
	v_add_u32_e32 v198, 16, v198
	s_or_b64 s[10:11], vcc, s[10:11]
	s_waitcnt vmcnt(0) lgkmcnt(0)
	v_mul_f64 v[64:65], v[206:207], v[202:203]
	v_mul_f64 v[202:203], v[204:205], v[202:203]
	v_fma_f64 v[64:65], v[204:205], v[200:201], -v[64:65]
	v_fmac_f64_e32 v[202:203], v[206:207], v[200:201]
	v_add_f64 v[2:3], v[2:3], v[64:65]
	v_add_f64 v[4:5], v[4:5], v[202:203]
	s_andn2_b64 exec, exec, s[10:11]
	s_cbranch_execnz .LBB62_659
; %bb.660:
	s_or_b64 exec, exec, s[10:11]
.LBB62_661:
	s_or_b64 exec, exec, s[2:3]
.LBB62_662:
	s_or_b64 exec, exec, s[8:9]
	v_mov_b32_e32 v6, 0
	ds_read_b128 v[198:201], v6 offset:224
	s_waitcnt lgkmcnt(0)
	v_mul_f64 v[6:7], v[4:5], v[200:201]
	v_mul_f64 v[202:203], v[2:3], v[200:201]
	v_fma_f64 v[200:201], v[2:3], v[198:199], -v[6:7]
	v_fmac_f64_e32 v[202:203], v[4:5], v[198:199]
	scratch_store_dwordx4 off, v[200:203], off offset:224
.LBB62_663:
	s_or_b64 exec, exec, s[4:5]
	scratch_load_dwordx4 v[2:5], v185, off
	v_cmp_lt_u32_e64 s[2:3], 13, v0
	s_waitcnt vmcnt(0)
	ds_write_b128 v9, v[2:5]
	s_waitcnt lgkmcnt(0)
	; wave barrier
	s_waitcnt lgkmcnt(0)
	s_and_saveexec_b64 s[4:5], s[2:3]
	s_cbranch_execz .LBB62_677
; %bb.664:
	ds_read_b128 v[2:5], v9
	s_andn2_b64 vcc, exec, s[6:7]
	s_cbranch_vccnz .LBB62_666
; %bb.665:
	scratch_load_dwordx4 v[198:201], v8, off
	s_waitcnt vmcnt(0) lgkmcnt(0)
	v_mul_f64 v[64:65], v[2:3], v[200:201]
	v_mul_f64 v[6:7], v[4:5], v[200:201]
	v_fmac_f64_e32 v[64:65], v[4:5], v[198:199]
	v_fma_f64 v[2:3], v[2:3], v[198:199], -v[6:7]
	v_mov_b64_e32 v[4:5], v[64:65]
.LBB62_666:
	s_and_saveexec_b64 s[8:9], s[0:1]
	s_cbranch_execz .LBB62_676
; %bb.667:
	v_add_u32_e32 v7, -15, v0
	v_add_u32_e32 v6, -14, v0
	v_cmp_lt_u32_e32 vcc, 6, v7
	v_mov_b32_e32 v199, 14
	s_and_saveexec_b64 s[0:1], vcc
	s_cbranch_execz .LBB62_671
; %bb.668:
	v_and_b32_e32 v7, -8, v6
	s_mov_b32 s12, 0
	s_mov_b64 s[10:11], 0
	v_mov_b32_e32 v198, 0
	s_mov_b32 s13, 0
.LBB62_669:                             ; =>This Inner Loop Header: Depth=1
	v_readfirstlane_b32 s14, v198
	s_add_i32 s14, s14, s12
	s_add_i32 s15, s14, 0xe0
	v_mov_b32_e32 v199, s12
	ds_read_b128 v[200:203], v199 offset:1232
	ds_read_b128 v[204:207], v199 offset:1248
	;; [unrolled: 1-line block ×4, first 2 shown]
	scratch_load_dwordx4 v[216:219], off, s15
	s_add_i32 s15, s14, 0xf0
	s_addk_i32 s12, 0x80
	s_waitcnt vmcnt(0) lgkmcnt(3)
	v_mul_f64 v[64:65], v[202:203], v[218:219]
	v_fma_f64 v[64:65], v[200:201], v[216:217], -v[64:65]
	v_mul_f64 v[200:201], v[200:201], v[218:219]
	v_fmac_f64_e32 v[200:201], v[202:203], v[216:217]
	v_add_f64 v[64:65], v[2:3], v[64:65]
	v_add_f64 v[200:201], v[4:5], v[200:201]
	scratch_load_dwordx4 v[2:5], off, s15
	s_add_i32 s15, s14, 0x100
	s_waitcnt vmcnt(0) lgkmcnt(2)
	v_mul_f64 v[202:203], v[206:207], v[4:5]
	v_mul_f64 v[4:5], v[204:205], v[4:5]
	v_fmac_f64_e32 v[4:5], v[206:207], v[2:3]
	v_fma_f64 v[202:203], v[204:205], v[2:3], -v[202:203]
	v_add_f64 v[200:201], v[200:201], v[4:5]
	scratch_load_dwordx4 v[2:5], off, s15
	v_add_f64 v[64:65], v[64:65], v[202:203]
	s_add_i32 s15, s14, 0x110
	s_waitcnt vmcnt(0) lgkmcnt(1)
	v_mul_f64 v[202:203], v[210:211], v[4:5]
	v_mul_f64 v[4:5], v[208:209], v[4:5]
	v_fmac_f64_e32 v[4:5], v[210:211], v[2:3]
	v_fma_f64 v[202:203], v[208:209], v[2:3], -v[202:203]
	v_add_f64 v[200:201], v[200:201], v[4:5]
	scratch_load_dwordx4 v[2:5], off, s15
	v_add_f64 v[64:65], v[64:65], v[202:203]
	s_add_i32 s15, s14, 0x120
	s_waitcnt vmcnt(0) lgkmcnt(0)
	v_mul_f64 v[202:203], v[214:215], v[4:5]
	v_mul_f64 v[4:5], v[212:213], v[4:5]
	v_fma_f64 v[202:203], v[212:213], v[2:3], -v[202:203]
	v_fmac_f64_e32 v[4:5], v[214:215], v[2:3]
	v_add_f64 v[64:65], v[64:65], v[202:203]
	v_add_f64 v[204:205], v[200:201], v[4:5]
	scratch_load_dwordx4 v[200:203], off, s15
	ds_read_b128 v[2:5], v199 offset:1296
	s_add_i32 s15, s14, 0x130
	s_waitcnt vmcnt(0) lgkmcnt(0)
	v_mul_f64 v[206:207], v[4:5], v[202:203]
	v_fma_f64 v[206:207], v[2:3], v[200:201], -v[206:207]
	v_mul_f64 v[2:3], v[2:3], v[202:203]
	v_fmac_f64_e32 v[2:3], v[4:5], v[200:201]
	scratch_load_dwordx4 v[200:203], off, s15
	v_add_f64 v[204:205], v[204:205], v[2:3]
	ds_read_b128 v[2:5], v199 offset:1312
	v_add_f64 v[64:65], v[64:65], v[206:207]
	s_add_i32 s15, s14, 0x140
	s_addk_i32 s14, 0x150
	s_waitcnt vmcnt(0) lgkmcnt(0)
	v_mul_f64 v[206:207], v[4:5], v[202:203]
	v_fma_f64 v[206:207], v[2:3], v[200:201], -v[206:207]
	v_mul_f64 v[2:3], v[2:3], v[202:203]
	v_fmac_f64_e32 v[2:3], v[4:5], v[200:201]
	scratch_load_dwordx4 v[200:203], off, s15
	v_add_f64 v[204:205], v[204:205], v[2:3]
	ds_read_b128 v[2:5], v199 offset:1328
	v_add_f64 v[64:65], v[64:65], v[206:207]
	s_waitcnt vmcnt(0) lgkmcnt(0)
	v_mul_f64 v[206:207], v[4:5], v[202:203]
	v_fma_f64 v[206:207], v[2:3], v[200:201], -v[206:207]
	v_mul_f64 v[2:3], v[2:3], v[202:203]
	v_fmac_f64_e32 v[2:3], v[4:5], v[200:201]
	scratch_load_dwordx4 v[200:203], off, s14
	v_add_f64 v[204:205], v[204:205], v[2:3]
	ds_read_b128 v[2:5], v199 offset:1344
	v_add_f64 v[64:65], v[64:65], v[206:207]
	s_add_i32 s14, s13, 8
	v_cmp_eq_u32_e32 vcc, s14, v7
	s_add_i32 s13, s13, 22
	s_or_b64 s[10:11], vcc, s[10:11]
	v_mov_b32_e32 v199, s13
	s_mov_b32 s13, s14
	s_waitcnt vmcnt(0) lgkmcnt(0)
	v_mul_f64 v[206:207], v[4:5], v[202:203]
	v_mul_f64 v[202:203], v[2:3], v[202:203]
	v_fma_f64 v[206:207], v[2:3], v[200:201], -v[206:207]
	v_fmac_f64_e32 v[202:203], v[4:5], v[200:201]
	v_add_f64 v[2:3], v[64:65], v[206:207]
	v_add_f64 v[4:5], v[204:205], v[202:203]
	s_andn2_b64 exec, exec, s[10:11]
	s_cbranch_execnz .LBB62_669
; %bb.670:
	s_or_b64 exec, exec, s[10:11]
.LBB62_671:
	s_or_b64 exec, exec, s[0:1]
	v_and_b32_e32 v6, 7, v6
	v_cmp_ne_u32_e32 vcc, 0, v6
	s_and_saveexec_b64 s[0:1], vcc
	s_cbranch_execz .LBB62_675
; %bb.672:
	v_lshlrev_b32_e32 v64, 4, v199
	v_add_u32_e32 v7, 0x3f0, v64
	v_add_u32_e32 v198, 0, v64
	s_mov_b64 s[10:11], 0
.LBB62_673:                             ; =>This Inner Loop Header: Depth=1
	scratch_load_dwordx4 v[200:203], v198, off
	ds_read_b128 v[204:207], v7
	v_add_u32_e32 v6, -1, v6
	v_cmp_eq_u32_e32 vcc, 0, v6
	v_add_u32_e32 v7, 16, v7
	v_add_u32_e32 v198, 16, v198
	s_or_b64 s[10:11], vcc, s[10:11]
	s_waitcnt vmcnt(0) lgkmcnt(0)
	v_mul_f64 v[64:65], v[206:207], v[202:203]
	v_mul_f64 v[202:203], v[204:205], v[202:203]
	v_fma_f64 v[64:65], v[204:205], v[200:201], -v[64:65]
	v_fmac_f64_e32 v[202:203], v[206:207], v[200:201]
	v_add_f64 v[2:3], v[2:3], v[64:65]
	v_add_f64 v[4:5], v[4:5], v[202:203]
	s_andn2_b64 exec, exec, s[10:11]
	s_cbranch_execnz .LBB62_673
; %bb.674:
	s_or_b64 exec, exec, s[10:11]
.LBB62_675:
	s_or_b64 exec, exec, s[0:1]
.LBB62_676:
	s_or_b64 exec, exec, s[8:9]
	v_mov_b32_e32 v6, 0
	ds_read_b128 v[198:201], v6 offset:208
	s_waitcnt lgkmcnt(0)
	v_mul_f64 v[6:7], v[4:5], v[200:201]
	v_mul_f64 v[202:203], v[2:3], v[200:201]
	v_fma_f64 v[200:201], v[2:3], v[198:199], -v[6:7]
	v_fmac_f64_e32 v[202:203], v[4:5], v[198:199]
	scratch_store_dwordx4 off, v[200:203], off offset:208
.LBB62_677:
	s_or_b64 exec, exec, s[4:5]
	scratch_load_dwordx4 v[2:5], v186, off
	v_cmp_lt_u32_e64 s[0:1], 12, v0
	s_waitcnt vmcnt(0)
	ds_write_b128 v9, v[2:5]
	s_waitcnt lgkmcnt(0)
	; wave barrier
	s_waitcnt lgkmcnt(0)
	s_and_saveexec_b64 s[4:5], s[0:1]
	s_cbranch_execz .LBB62_691
; %bb.678:
	ds_read_b128 v[2:5], v9
	s_andn2_b64 vcc, exec, s[6:7]
	s_cbranch_vccnz .LBB62_680
; %bb.679:
	scratch_load_dwordx4 v[198:201], v8, off
	s_waitcnt vmcnt(0) lgkmcnt(0)
	v_mul_f64 v[64:65], v[2:3], v[200:201]
	v_mul_f64 v[6:7], v[4:5], v[200:201]
	v_fmac_f64_e32 v[64:65], v[4:5], v[198:199]
	v_fma_f64 v[2:3], v[2:3], v[198:199], -v[6:7]
	v_mov_b64_e32 v[4:5], v[64:65]
.LBB62_680:
	s_and_saveexec_b64 s[8:9], s[2:3]
	s_cbranch_execz .LBB62_690
; %bb.681:
	v_add_u32_e32 v7, -14, v0
	v_add_u32_e32 v6, -13, v0
	v_cmp_lt_u32_e32 vcc, 6, v7
	v_mov_b32_e32 v199, 13
	s_and_saveexec_b64 s[2:3], vcc
	s_cbranch_execz .LBB62_685
; %bb.682:
	v_and_b32_e32 v7, -8, v6
	s_mov_b32 s12, 0
	s_mov_b64 s[10:11], 0
	v_mov_b32_e32 v198, 0
	s_mov_b32 s13, 0
.LBB62_683:                             ; =>This Inner Loop Header: Depth=1
	v_readfirstlane_b32 s14, v198
	s_add_i32 s14, s14, s12
	s_add_i32 s15, s14, 0xd0
	v_mov_b32_e32 v199, s12
	ds_read_b128 v[200:203], v199 offset:1216
	ds_read_b128 v[204:207], v199 offset:1232
	ds_read_b128 v[208:211], v199 offset:1248
	ds_read_b128 v[212:215], v199 offset:1264
	scratch_load_dwordx4 v[216:219], off, s15
	s_add_i32 s15, s14, 0xe0
	s_addk_i32 s12, 0x80
	s_waitcnt vmcnt(0) lgkmcnt(3)
	v_mul_f64 v[64:65], v[202:203], v[218:219]
	v_fma_f64 v[64:65], v[200:201], v[216:217], -v[64:65]
	v_mul_f64 v[200:201], v[200:201], v[218:219]
	v_fmac_f64_e32 v[200:201], v[202:203], v[216:217]
	v_add_f64 v[64:65], v[2:3], v[64:65]
	v_add_f64 v[200:201], v[4:5], v[200:201]
	scratch_load_dwordx4 v[2:5], off, s15
	s_add_i32 s15, s14, 0xf0
	s_waitcnt vmcnt(0) lgkmcnt(2)
	v_mul_f64 v[202:203], v[206:207], v[4:5]
	v_mul_f64 v[4:5], v[204:205], v[4:5]
	v_fmac_f64_e32 v[4:5], v[206:207], v[2:3]
	v_fma_f64 v[202:203], v[204:205], v[2:3], -v[202:203]
	v_add_f64 v[200:201], v[200:201], v[4:5]
	scratch_load_dwordx4 v[2:5], off, s15
	v_add_f64 v[64:65], v[64:65], v[202:203]
	s_add_i32 s15, s14, 0x100
	s_waitcnt vmcnt(0) lgkmcnt(1)
	v_mul_f64 v[202:203], v[210:211], v[4:5]
	v_mul_f64 v[4:5], v[208:209], v[4:5]
	v_fmac_f64_e32 v[4:5], v[210:211], v[2:3]
	v_fma_f64 v[202:203], v[208:209], v[2:3], -v[202:203]
	v_add_f64 v[200:201], v[200:201], v[4:5]
	scratch_load_dwordx4 v[2:5], off, s15
	v_add_f64 v[64:65], v[64:65], v[202:203]
	s_add_i32 s15, s14, 0x110
	s_waitcnt vmcnt(0) lgkmcnt(0)
	v_mul_f64 v[202:203], v[214:215], v[4:5]
	v_mul_f64 v[4:5], v[212:213], v[4:5]
	v_fma_f64 v[202:203], v[212:213], v[2:3], -v[202:203]
	v_fmac_f64_e32 v[4:5], v[214:215], v[2:3]
	v_add_f64 v[64:65], v[64:65], v[202:203]
	v_add_f64 v[204:205], v[200:201], v[4:5]
	scratch_load_dwordx4 v[200:203], off, s15
	ds_read_b128 v[2:5], v199 offset:1280
	s_add_i32 s15, s14, 0x120
	s_waitcnt vmcnt(0) lgkmcnt(0)
	v_mul_f64 v[206:207], v[4:5], v[202:203]
	v_fma_f64 v[206:207], v[2:3], v[200:201], -v[206:207]
	v_mul_f64 v[2:3], v[2:3], v[202:203]
	v_fmac_f64_e32 v[2:3], v[4:5], v[200:201]
	scratch_load_dwordx4 v[200:203], off, s15
	v_add_f64 v[204:205], v[204:205], v[2:3]
	ds_read_b128 v[2:5], v199 offset:1296
	v_add_f64 v[64:65], v[64:65], v[206:207]
	s_add_i32 s15, s14, 0x130
	s_addk_i32 s14, 0x140
	s_waitcnt vmcnt(0) lgkmcnt(0)
	v_mul_f64 v[206:207], v[4:5], v[202:203]
	v_fma_f64 v[206:207], v[2:3], v[200:201], -v[206:207]
	v_mul_f64 v[2:3], v[2:3], v[202:203]
	v_fmac_f64_e32 v[2:3], v[4:5], v[200:201]
	scratch_load_dwordx4 v[200:203], off, s15
	v_add_f64 v[204:205], v[204:205], v[2:3]
	ds_read_b128 v[2:5], v199 offset:1312
	v_add_f64 v[64:65], v[64:65], v[206:207]
	s_waitcnt vmcnt(0) lgkmcnt(0)
	v_mul_f64 v[206:207], v[4:5], v[202:203]
	v_fma_f64 v[206:207], v[2:3], v[200:201], -v[206:207]
	v_mul_f64 v[2:3], v[2:3], v[202:203]
	v_fmac_f64_e32 v[2:3], v[4:5], v[200:201]
	scratch_load_dwordx4 v[200:203], off, s14
	v_add_f64 v[204:205], v[204:205], v[2:3]
	ds_read_b128 v[2:5], v199 offset:1328
	v_add_f64 v[64:65], v[64:65], v[206:207]
	s_add_i32 s14, s13, 8
	v_cmp_eq_u32_e32 vcc, s14, v7
	s_add_i32 s13, s13, 21
	s_or_b64 s[10:11], vcc, s[10:11]
	v_mov_b32_e32 v199, s13
	s_mov_b32 s13, s14
	s_waitcnt vmcnt(0) lgkmcnt(0)
	v_mul_f64 v[206:207], v[4:5], v[202:203]
	v_mul_f64 v[202:203], v[2:3], v[202:203]
	v_fma_f64 v[206:207], v[2:3], v[200:201], -v[206:207]
	v_fmac_f64_e32 v[202:203], v[4:5], v[200:201]
	v_add_f64 v[2:3], v[64:65], v[206:207]
	v_add_f64 v[4:5], v[204:205], v[202:203]
	s_andn2_b64 exec, exec, s[10:11]
	s_cbranch_execnz .LBB62_683
; %bb.684:
	s_or_b64 exec, exec, s[10:11]
.LBB62_685:
	s_or_b64 exec, exec, s[2:3]
	v_and_b32_e32 v6, 7, v6
	v_cmp_ne_u32_e32 vcc, 0, v6
	s_and_saveexec_b64 s[2:3], vcc
	s_cbranch_execz .LBB62_689
; %bb.686:
	v_lshlrev_b32_e32 v64, 4, v199
	v_add_u32_e32 v7, 0x3f0, v64
	v_add_u32_e32 v198, 0, v64
	s_mov_b64 s[10:11], 0
.LBB62_687:                             ; =>This Inner Loop Header: Depth=1
	scratch_load_dwordx4 v[200:203], v198, off
	ds_read_b128 v[204:207], v7
	v_add_u32_e32 v6, -1, v6
	v_cmp_eq_u32_e32 vcc, 0, v6
	v_add_u32_e32 v7, 16, v7
	v_add_u32_e32 v198, 16, v198
	s_or_b64 s[10:11], vcc, s[10:11]
	s_waitcnt vmcnt(0) lgkmcnt(0)
	v_mul_f64 v[64:65], v[206:207], v[202:203]
	v_mul_f64 v[202:203], v[204:205], v[202:203]
	v_fma_f64 v[64:65], v[204:205], v[200:201], -v[64:65]
	v_fmac_f64_e32 v[202:203], v[206:207], v[200:201]
	v_add_f64 v[2:3], v[2:3], v[64:65]
	v_add_f64 v[4:5], v[4:5], v[202:203]
	s_andn2_b64 exec, exec, s[10:11]
	s_cbranch_execnz .LBB62_687
; %bb.688:
	s_or_b64 exec, exec, s[10:11]
.LBB62_689:
	s_or_b64 exec, exec, s[2:3]
.LBB62_690:
	s_or_b64 exec, exec, s[8:9]
	v_mov_b32_e32 v6, 0
	ds_read_b128 v[198:201], v6 offset:192
	s_waitcnt lgkmcnt(0)
	v_mul_f64 v[6:7], v[4:5], v[200:201]
	v_mul_f64 v[202:203], v[2:3], v[200:201]
	v_fma_f64 v[200:201], v[2:3], v[198:199], -v[6:7]
	v_fmac_f64_e32 v[202:203], v[4:5], v[198:199]
	scratch_store_dwordx4 off, v[200:203], off offset:192
.LBB62_691:
	s_or_b64 exec, exec, s[4:5]
	scratch_load_dwordx4 v[2:5], v187, off
	v_cmp_lt_u32_e64 s[2:3], 11, v0
	s_waitcnt vmcnt(0)
	ds_write_b128 v9, v[2:5]
	s_waitcnt lgkmcnt(0)
	; wave barrier
	s_waitcnt lgkmcnt(0)
	s_and_saveexec_b64 s[4:5], s[2:3]
	s_cbranch_execz .LBB62_705
; %bb.692:
	ds_read_b128 v[2:5], v9
	s_andn2_b64 vcc, exec, s[6:7]
	s_cbranch_vccnz .LBB62_694
; %bb.693:
	scratch_load_dwordx4 v[198:201], v8, off
	s_waitcnt vmcnt(0) lgkmcnt(0)
	v_mul_f64 v[64:65], v[2:3], v[200:201]
	v_mul_f64 v[6:7], v[4:5], v[200:201]
	v_fmac_f64_e32 v[64:65], v[4:5], v[198:199]
	v_fma_f64 v[2:3], v[2:3], v[198:199], -v[6:7]
	v_mov_b64_e32 v[4:5], v[64:65]
.LBB62_694:
	s_and_saveexec_b64 s[8:9], s[0:1]
	s_cbranch_execz .LBB62_704
; %bb.695:
	v_add_u32_e32 v7, -13, v0
	v_add_u32_e32 v6, -12, v0
	v_cmp_lt_u32_e32 vcc, 6, v7
	v_mov_b32_e32 v199, 12
	s_and_saveexec_b64 s[0:1], vcc
	s_cbranch_execz .LBB62_699
; %bb.696:
	v_and_b32_e32 v7, -8, v6
	s_mov_b32 s12, 0
	s_mov_b64 s[10:11], 0
	v_mov_b32_e32 v198, 0
	s_mov_b32 s13, 0
.LBB62_697:                             ; =>This Inner Loop Header: Depth=1
	v_readfirstlane_b32 s14, v198
	s_add_i32 s14, s14, s12
	s_add_i32 s15, s14, 0xc0
	v_mov_b32_e32 v199, s12
	ds_read_b128 v[200:203], v199 offset:1200
	ds_read_b128 v[204:207], v199 offset:1216
	;; [unrolled: 1-line block ×4, first 2 shown]
	scratch_load_dwordx4 v[216:219], off, s15
	s_add_i32 s15, s14, 0xd0
	s_addk_i32 s12, 0x80
	s_waitcnt vmcnt(0) lgkmcnt(3)
	v_mul_f64 v[64:65], v[202:203], v[218:219]
	v_fma_f64 v[64:65], v[200:201], v[216:217], -v[64:65]
	v_mul_f64 v[200:201], v[200:201], v[218:219]
	v_fmac_f64_e32 v[200:201], v[202:203], v[216:217]
	v_add_f64 v[64:65], v[2:3], v[64:65]
	v_add_f64 v[200:201], v[4:5], v[200:201]
	scratch_load_dwordx4 v[2:5], off, s15
	s_add_i32 s15, s14, 0xe0
	s_waitcnt vmcnt(0) lgkmcnt(2)
	v_mul_f64 v[202:203], v[206:207], v[4:5]
	v_mul_f64 v[4:5], v[204:205], v[4:5]
	v_fmac_f64_e32 v[4:5], v[206:207], v[2:3]
	v_fma_f64 v[202:203], v[204:205], v[2:3], -v[202:203]
	v_add_f64 v[200:201], v[200:201], v[4:5]
	scratch_load_dwordx4 v[2:5], off, s15
	v_add_f64 v[64:65], v[64:65], v[202:203]
	s_add_i32 s15, s14, 0xf0
	s_waitcnt vmcnt(0) lgkmcnt(1)
	v_mul_f64 v[202:203], v[210:211], v[4:5]
	v_mul_f64 v[4:5], v[208:209], v[4:5]
	v_fmac_f64_e32 v[4:5], v[210:211], v[2:3]
	v_fma_f64 v[202:203], v[208:209], v[2:3], -v[202:203]
	v_add_f64 v[200:201], v[200:201], v[4:5]
	scratch_load_dwordx4 v[2:5], off, s15
	v_add_f64 v[64:65], v[64:65], v[202:203]
	s_add_i32 s15, s14, 0x100
	s_waitcnt vmcnt(0) lgkmcnt(0)
	v_mul_f64 v[202:203], v[214:215], v[4:5]
	v_mul_f64 v[4:5], v[212:213], v[4:5]
	v_fma_f64 v[202:203], v[212:213], v[2:3], -v[202:203]
	v_fmac_f64_e32 v[4:5], v[214:215], v[2:3]
	v_add_f64 v[64:65], v[64:65], v[202:203]
	v_add_f64 v[204:205], v[200:201], v[4:5]
	scratch_load_dwordx4 v[200:203], off, s15
	ds_read_b128 v[2:5], v199 offset:1264
	s_add_i32 s15, s14, 0x110
	s_waitcnt vmcnt(0) lgkmcnt(0)
	v_mul_f64 v[206:207], v[4:5], v[202:203]
	v_fma_f64 v[206:207], v[2:3], v[200:201], -v[206:207]
	v_mul_f64 v[2:3], v[2:3], v[202:203]
	v_fmac_f64_e32 v[2:3], v[4:5], v[200:201]
	scratch_load_dwordx4 v[200:203], off, s15
	v_add_f64 v[204:205], v[204:205], v[2:3]
	ds_read_b128 v[2:5], v199 offset:1280
	v_add_f64 v[64:65], v[64:65], v[206:207]
	s_add_i32 s15, s14, 0x120
	s_addk_i32 s14, 0x130
	s_waitcnt vmcnt(0) lgkmcnt(0)
	v_mul_f64 v[206:207], v[4:5], v[202:203]
	v_fma_f64 v[206:207], v[2:3], v[200:201], -v[206:207]
	v_mul_f64 v[2:3], v[2:3], v[202:203]
	v_fmac_f64_e32 v[2:3], v[4:5], v[200:201]
	scratch_load_dwordx4 v[200:203], off, s15
	v_add_f64 v[204:205], v[204:205], v[2:3]
	ds_read_b128 v[2:5], v199 offset:1296
	v_add_f64 v[64:65], v[64:65], v[206:207]
	s_waitcnt vmcnt(0) lgkmcnt(0)
	v_mul_f64 v[206:207], v[4:5], v[202:203]
	v_fma_f64 v[206:207], v[2:3], v[200:201], -v[206:207]
	v_mul_f64 v[2:3], v[2:3], v[202:203]
	v_fmac_f64_e32 v[2:3], v[4:5], v[200:201]
	scratch_load_dwordx4 v[200:203], off, s14
	v_add_f64 v[204:205], v[204:205], v[2:3]
	ds_read_b128 v[2:5], v199 offset:1312
	v_add_f64 v[64:65], v[64:65], v[206:207]
	s_add_i32 s14, s13, 8
	v_cmp_eq_u32_e32 vcc, s14, v7
	s_add_i32 s13, s13, 20
	s_or_b64 s[10:11], vcc, s[10:11]
	v_mov_b32_e32 v199, s13
	s_mov_b32 s13, s14
	s_waitcnt vmcnt(0) lgkmcnt(0)
	v_mul_f64 v[206:207], v[4:5], v[202:203]
	v_mul_f64 v[202:203], v[2:3], v[202:203]
	v_fma_f64 v[206:207], v[2:3], v[200:201], -v[206:207]
	v_fmac_f64_e32 v[202:203], v[4:5], v[200:201]
	v_add_f64 v[2:3], v[64:65], v[206:207]
	v_add_f64 v[4:5], v[204:205], v[202:203]
	s_andn2_b64 exec, exec, s[10:11]
	s_cbranch_execnz .LBB62_697
; %bb.698:
	s_or_b64 exec, exec, s[10:11]
.LBB62_699:
	s_or_b64 exec, exec, s[0:1]
	v_and_b32_e32 v6, 7, v6
	v_cmp_ne_u32_e32 vcc, 0, v6
	s_and_saveexec_b64 s[0:1], vcc
	s_cbranch_execz .LBB62_703
; %bb.700:
	v_lshlrev_b32_e32 v64, 4, v199
	v_add_u32_e32 v7, 0x3f0, v64
	v_add_u32_e32 v198, 0, v64
	s_mov_b64 s[10:11], 0
.LBB62_701:                             ; =>This Inner Loop Header: Depth=1
	scratch_load_dwordx4 v[200:203], v198, off
	ds_read_b128 v[204:207], v7
	v_add_u32_e32 v6, -1, v6
	v_cmp_eq_u32_e32 vcc, 0, v6
	v_add_u32_e32 v7, 16, v7
	v_add_u32_e32 v198, 16, v198
	s_or_b64 s[10:11], vcc, s[10:11]
	s_waitcnt vmcnt(0) lgkmcnt(0)
	v_mul_f64 v[64:65], v[206:207], v[202:203]
	v_mul_f64 v[202:203], v[204:205], v[202:203]
	v_fma_f64 v[64:65], v[204:205], v[200:201], -v[64:65]
	v_fmac_f64_e32 v[202:203], v[206:207], v[200:201]
	v_add_f64 v[2:3], v[2:3], v[64:65]
	v_add_f64 v[4:5], v[4:5], v[202:203]
	s_andn2_b64 exec, exec, s[10:11]
	s_cbranch_execnz .LBB62_701
; %bb.702:
	s_or_b64 exec, exec, s[10:11]
.LBB62_703:
	s_or_b64 exec, exec, s[0:1]
.LBB62_704:
	s_or_b64 exec, exec, s[8:9]
	v_mov_b32_e32 v6, 0
	ds_read_b128 v[198:201], v6 offset:176
	s_waitcnt lgkmcnt(0)
	v_mul_f64 v[6:7], v[4:5], v[200:201]
	v_mul_f64 v[202:203], v[2:3], v[200:201]
	v_fma_f64 v[200:201], v[2:3], v[198:199], -v[6:7]
	v_fmac_f64_e32 v[202:203], v[4:5], v[198:199]
	scratch_store_dwordx4 off, v[200:203], off offset:176
.LBB62_705:
	s_or_b64 exec, exec, s[4:5]
	scratch_load_dwordx4 v[2:5], v188, off
	v_cmp_lt_u32_e64 s[0:1], 10, v0
	s_waitcnt vmcnt(0)
	ds_write_b128 v9, v[2:5]
	s_waitcnt lgkmcnt(0)
	; wave barrier
	s_waitcnt lgkmcnt(0)
	s_and_saveexec_b64 s[4:5], s[0:1]
	s_cbranch_execz .LBB62_719
; %bb.706:
	ds_read_b128 v[2:5], v9
	s_andn2_b64 vcc, exec, s[6:7]
	s_cbranch_vccnz .LBB62_708
; %bb.707:
	scratch_load_dwordx4 v[198:201], v8, off
	s_waitcnt vmcnt(0) lgkmcnt(0)
	v_mul_f64 v[64:65], v[2:3], v[200:201]
	v_mul_f64 v[6:7], v[4:5], v[200:201]
	v_fmac_f64_e32 v[64:65], v[4:5], v[198:199]
	v_fma_f64 v[2:3], v[2:3], v[198:199], -v[6:7]
	v_mov_b64_e32 v[4:5], v[64:65]
.LBB62_708:
	s_and_saveexec_b64 s[8:9], s[2:3]
	s_cbranch_execz .LBB62_718
; %bb.709:
	v_add_u32_e32 v7, -12, v0
	v_add_u32_e32 v6, -11, v0
	v_cmp_lt_u32_e32 vcc, 6, v7
	v_mov_b32_e32 v199, 11
	s_and_saveexec_b64 s[2:3], vcc
	s_cbranch_execz .LBB62_713
; %bb.710:
	v_and_b32_e32 v7, -8, v6
	s_mov_b32 s12, 0
	s_mov_b64 s[10:11], 0
	v_mov_b32_e32 v198, 0
	s_mov_b32 s13, 0
.LBB62_711:                             ; =>This Inner Loop Header: Depth=1
	v_readfirstlane_b32 s14, v198
	s_add_i32 s14, s14, s12
	s_add_i32 s15, s14, 0xb0
	v_mov_b32_e32 v199, s12
	ds_read_b128 v[200:203], v199 offset:1184
	ds_read_b128 v[204:207], v199 offset:1200
	;; [unrolled: 1-line block ×4, first 2 shown]
	scratch_load_dwordx4 v[216:219], off, s15
	s_add_i32 s15, s14, 0xc0
	s_addk_i32 s12, 0x80
	s_waitcnt vmcnt(0) lgkmcnt(3)
	v_mul_f64 v[64:65], v[202:203], v[218:219]
	v_fma_f64 v[64:65], v[200:201], v[216:217], -v[64:65]
	v_mul_f64 v[200:201], v[200:201], v[218:219]
	v_fmac_f64_e32 v[200:201], v[202:203], v[216:217]
	v_add_f64 v[64:65], v[2:3], v[64:65]
	v_add_f64 v[200:201], v[4:5], v[200:201]
	scratch_load_dwordx4 v[2:5], off, s15
	s_add_i32 s15, s14, 0xd0
	s_waitcnt vmcnt(0) lgkmcnt(2)
	v_mul_f64 v[202:203], v[206:207], v[4:5]
	v_mul_f64 v[4:5], v[204:205], v[4:5]
	v_fmac_f64_e32 v[4:5], v[206:207], v[2:3]
	v_fma_f64 v[202:203], v[204:205], v[2:3], -v[202:203]
	v_add_f64 v[200:201], v[200:201], v[4:5]
	scratch_load_dwordx4 v[2:5], off, s15
	v_add_f64 v[64:65], v[64:65], v[202:203]
	s_add_i32 s15, s14, 0xe0
	s_waitcnt vmcnt(0) lgkmcnt(1)
	v_mul_f64 v[202:203], v[210:211], v[4:5]
	v_mul_f64 v[4:5], v[208:209], v[4:5]
	v_fmac_f64_e32 v[4:5], v[210:211], v[2:3]
	v_fma_f64 v[202:203], v[208:209], v[2:3], -v[202:203]
	v_add_f64 v[200:201], v[200:201], v[4:5]
	scratch_load_dwordx4 v[2:5], off, s15
	v_add_f64 v[64:65], v[64:65], v[202:203]
	s_add_i32 s15, s14, 0xf0
	s_waitcnt vmcnt(0) lgkmcnt(0)
	v_mul_f64 v[202:203], v[214:215], v[4:5]
	v_mul_f64 v[4:5], v[212:213], v[4:5]
	v_fma_f64 v[202:203], v[212:213], v[2:3], -v[202:203]
	v_fmac_f64_e32 v[4:5], v[214:215], v[2:3]
	v_add_f64 v[64:65], v[64:65], v[202:203]
	v_add_f64 v[204:205], v[200:201], v[4:5]
	scratch_load_dwordx4 v[200:203], off, s15
	ds_read_b128 v[2:5], v199 offset:1248
	s_add_i32 s15, s14, 0x100
	s_waitcnt vmcnt(0) lgkmcnt(0)
	v_mul_f64 v[206:207], v[4:5], v[202:203]
	v_fma_f64 v[206:207], v[2:3], v[200:201], -v[206:207]
	v_mul_f64 v[2:3], v[2:3], v[202:203]
	v_fmac_f64_e32 v[2:3], v[4:5], v[200:201]
	scratch_load_dwordx4 v[200:203], off, s15
	v_add_f64 v[204:205], v[204:205], v[2:3]
	ds_read_b128 v[2:5], v199 offset:1264
	v_add_f64 v[64:65], v[64:65], v[206:207]
	s_add_i32 s15, s14, 0x110
	s_addk_i32 s14, 0x120
	s_waitcnt vmcnt(0) lgkmcnt(0)
	v_mul_f64 v[206:207], v[4:5], v[202:203]
	v_fma_f64 v[206:207], v[2:3], v[200:201], -v[206:207]
	v_mul_f64 v[2:3], v[2:3], v[202:203]
	v_fmac_f64_e32 v[2:3], v[4:5], v[200:201]
	scratch_load_dwordx4 v[200:203], off, s15
	v_add_f64 v[204:205], v[204:205], v[2:3]
	ds_read_b128 v[2:5], v199 offset:1280
	v_add_f64 v[64:65], v[64:65], v[206:207]
	s_waitcnt vmcnt(0) lgkmcnt(0)
	v_mul_f64 v[206:207], v[4:5], v[202:203]
	v_fma_f64 v[206:207], v[2:3], v[200:201], -v[206:207]
	v_mul_f64 v[2:3], v[2:3], v[202:203]
	v_fmac_f64_e32 v[2:3], v[4:5], v[200:201]
	scratch_load_dwordx4 v[200:203], off, s14
	v_add_f64 v[204:205], v[204:205], v[2:3]
	ds_read_b128 v[2:5], v199 offset:1296
	v_add_f64 v[64:65], v[64:65], v[206:207]
	s_add_i32 s14, s13, 8
	v_cmp_eq_u32_e32 vcc, s14, v7
	s_add_i32 s13, s13, 19
	s_or_b64 s[10:11], vcc, s[10:11]
	v_mov_b32_e32 v199, s13
	s_mov_b32 s13, s14
	s_waitcnt vmcnt(0) lgkmcnt(0)
	v_mul_f64 v[206:207], v[4:5], v[202:203]
	v_mul_f64 v[202:203], v[2:3], v[202:203]
	v_fma_f64 v[206:207], v[2:3], v[200:201], -v[206:207]
	v_fmac_f64_e32 v[202:203], v[4:5], v[200:201]
	v_add_f64 v[2:3], v[64:65], v[206:207]
	v_add_f64 v[4:5], v[204:205], v[202:203]
	s_andn2_b64 exec, exec, s[10:11]
	s_cbranch_execnz .LBB62_711
; %bb.712:
	s_or_b64 exec, exec, s[10:11]
.LBB62_713:
	s_or_b64 exec, exec, s[2:3]
	v_and_b32_e32 v6, 7, v6
	v_cmp_ne_u32_e32 vcc, 0, v6
	s_and_saveexec_b64 s[2:3], vcc
	s_cbranch_execz .LBB62_717
; %bb.714:
	v_lshlrev_b32_e32 v64, 4, v199
	v_add_u32_e32 v7, 0x3f0, v64
	v_add_u32_e32 v198, 0, v64
	s_mov_b64 s[10:11], 0
.LBB62_715:                             ; =>This Inner Loop Header: Depth=1
	scratch_load_dwordx4 v[200:203], v198, off
	ds_read_b128 v[204:207], v7
	v_add_u32_e32 v6, -1, v6
	v_cmp_eq_u32_e32 vcc, 0, v6
	v_add_u32_e32 v7, 16, v7
	v_add_u32_e32 v198, 16, v198
	s_or_b64 s[10:11], vcc, s[10:11]
	s_waitcnt vmcnt(0) lgkmcnt(0)
	v_mul_f64 v[64:65], v[206:207], v[202:203]
	v_mul_f64 v[202:203], v[204:205], v[202:203]
	v_fma_f64 v[64:65], v[204:205], v[200:201], -v[64:65]
	v_fmac_f64_e32 v[202:203], v[206:207], v[200:201]
	v_add_f64 v[2:3], v[2:3], v[64:65]
	v_add_f64 v[4:5], v[4:5], v[202:203]
	s_andn2_b64 exec, exec, s[10:11]
	s_cbranch_execnz .LBB62_715
; %bb.716:
	s_or_b64 exec, exec, s[10:11]
.LBB62_717:
	s_or_b64 exec, exec, s[2:3]
.LBB62_718:
	s_or_b64 exec, exec, s[8:9]
	v_mov_b32_e32 v6, 0
	ds_read_b128 v[198:201], v6 offset:160
	s_waitcnt lgkmcnt(0)
	v_mul_f64 v[6:7], v[4:5], v[200:201]
	v_mul_f64 v[202:203], v[2:3], v[200:201]
	v_fma_f64 v[200:201], v[2:3], v[198:199], -v[6:7]
	v_fmac_f64_e32 v[202:203], v[4:5], v[198:199]
	scratch_store_dwordx4 off, v[200:203], off offset:160
.LBB62_719:
	s_or_b64 exec, exec, s[4:5]
	scratch_load_dwordx4 v[2:5], v189, off
	v_cmp_lt_u32_e64 s[2:3], 9, v0
	s_waitcnt vmcnt(0)
	ds_write_b128 v9, v[2:5]
	s_waitcnt lgkmcnt(0)
	; wave barrier
	s_waitcnt lgkmcnt(0)
	s_and_saveexec_b64 s[4:5], s[2:3]
	s_cbranch_execz .LBB62_733
; %bb.720:
	ds_read_b128 v[2:5], v9
	s_andn2_b64 vcc, exec, s[6:7]
	s_cbranch_vccnz .LBB62_722
; %bb.721:
	scratch_load_dwordx4 v[198:201], v8, off
	s_waitcnt vmcnt(0) lgkmcnt(0)
	v_mul_f64 v[64:65], v[2:3], v[200:201]
	v_mul_f64 v[6:7], v[4:5], v[200:201]
	v_fmac_f64_e32 v[64:65], v[4:5], v[198:199]
	v_fma_f64 v[2:3], v[2:3], v[198:199], -v[6:7]
	v_mov_b64_e32 v[4:5], v[64:65]
.LBB62_722:
	s_and_saveexec_b64 s[8:9], s[0:1]
	s_cbranch_execz .LBB62_732
; %bb.723:
	v_add_u32_e32 v7, -11, v0
	v_add_u32_e32 v6, -10, v0
	v_cmp_lt_u32_e32 vcc, 6, v7
	v_mov_b32_e32 v199, 10
	s_and_saveexec_b64 s[0:1], vcc
	s_cbranch_execz .LBB62_727
; %bb.724:
	v_and_b32_e32 v7, -8, v6
	s_mov_b32 s12, 0
	s_mov_b64 s[10:11], 0
	v_mov_b32_e32 v198, 0
	s_mov_b32 s13, 0
.LBB62_725:                             ; =>This Inner Loop Header: Depth=1
	v_readfirstlane_b32 s14, v198
	s_add_i32 s14, s14, s12
	s_add_i32 s15, s14, 0xa0
	v_mov_b32_e32 v199, s12
	ds_read_b128 v[200:203], v199 offset:1168
	ds_read_b128 v[204:207], v199 offset:1184
	;; [unrolled: 1-line block ×4, first 2 shown]
	scratch_load_dwordx4 v[216:219], off, s15
	s_add_i32 s15, s14, 0xb0
	s_addk_i32 s12, 0x80
	s_waitcnt vmcnt(0) lgkmcnt(3)
	v_mul_f64 v[64:65], v[202:203], v[218:219]
	v_fma_f64 v[64:65], v[200:201], v[216:217], -v[64:65]
	v_mul_f64 v[200:201], v[200:201], v[218:219]
	v_fmac_f64_e32 v[200:201], v[202:203], v[216:217]
	v_add_f64 v[64:65], v[2:3], v[64:65]
	v_add_f64 v[200:201], v[4:5], v[200:201]
	scratch_load_dwordx4 v[2:5], off, s15
	s_add_i32 s15, s14, 0xc0
	s_waitcnt vmcnt(0) lgkmcnt(2)
	v_mul_f64 v[202:203], v[206:207], v[4:5]
	v_mul_f64 v[4:5], v[204:205], v[4:5]
	v_fmac_f64_e32 v[4:5], v[206:207], v[2:3]
	v_fma_f64 v[202:203], v[204:205], v[2:3], -v[202:203]
	v_add_f64 v[200:201], v[200:201], v[4:5]
	scratch_load_dwordx4 v[2:5], off, s15
	v_add_f64 v[64:65], v[64:65], v[202:203]
	s_add_i32 s15, s14, 0xd0
	s_waitcnt vmcnt(0) lgkmcnt(1)
	v_mul_f64 v[202:203], v[210:211], v[4:5]
	v_mul_f64 v[4:5], v[208:209], v[4:5]
	v_fmac_f64_e32 v[4:5], v[210:211], v[2:3]
	v_fma_f64 v[202:203], v[208:209], v[2:3], -v[202:203]
	v_add_f64 v[200:201], v[200:201], v[4:5]
	scratch_load_dwordx4 v[2:5], off, s15
	v_add_f64 v[64:65], v[64:65], v[202:203]
	s_add_i32 s15, s14, 0xe0
	s_waitcnt vmcnt(0) lgkmcnt(0)
	v_mul_f64 v[202:203], v[214:215], v[4:5]
	v_mul_f64 v[4:5], v[212:213], v[4:5]
	v_fma_f64 v[202:203], v[212:213], v[2:3], -v[202:203]
	v_fmac_f64_e32 v[4:5], v[214:215], v[2:3]
	v_add_f64 v[64:65], v[64:65], v[202:203]
	v_add_f64 v[204:205], v[200:201], v[4:5]
	scratch_load_dwordx4 v[200:203], off, s15
	ds_read_b128 v[2:5], v199 offset:1232
	s_add_i32 s15, s14, 0xf0
	s_waitcnt vmcnt(0) lgkmcnt(0)
	v_mul_f64 v[206:207], v[4:5], v[202:203]
	v_fma_f64 v[206:207], v[2:3], v[200:201], -v[206:207]
	v_mul_f64 v[2:3], v[2:3], v[202:203]
	v_fmac_f64_e32 v[2:3], v[4:5], v[200:201]
	scratch_load_dwordx4 v[200:203], off, s15
	v_add_f64 v[204:205], v[204:205], v[2:3]
	ds_read_b128 v[2:5], v199 offset:1248
	v_add_f64 v[64:65], v[64:65], v[206:207]
	s_add_i32 s15, s14, 0x100
	s_addk_i32 s14, 0x110
	s_waitcnt vmcnt(0) lgkmcnt(0)
	v_mul_f64 v[206:207], v[4:5], v[202:203]
	v_fma_f64 v[206:207], v[2:3], v[200:201], -v[206:207]
	v_mul_f64 v[2:3], v[2:3], v[202:203]
	v_fmac_f64_e32 v[2:3], v[4:5], v[200:201]
	scratch_load_dwordx4 v[200:203], off, s15
	v_add_f64 v[204:205], v[204:205], v[2:3]
	ds_read_b128 v[2:5], v199 offset:1264
	v_add_f64 v[64:65], v[64:65], v[206:207]
	s_waitcnt vmcnt(0) lgkmcnt(0)
	v_mul_f64 v[206:207], v[4:5], v[202:203]
	v_fma_f64 v[206:207], v[2:3], v[200:201], -v[206:207]
	v_mul_f64 v[2:3], v[2:3], v[202:203]
	v_fmac_f64_e32 v[2:3], v[4:5], v[200:201]
	scratch_load_dwordx4 v[200:203], off, s14
	v_add_f64 v[204:205], v[204:205], v[2:3]
	ds_read_b128 v[2:5], v199 offset:1280
	v_add_f64 v[64:65], v[64:65], v[206:207]
	s_add_i32 s14, s13, 8
	v_cmp_eq_u32_e32 vcc, s14, v7
	s_add_i32 s13, s13, 18
	s_or_b64 s[10:11], vcc, s[10:11]
	v_mov_b32_e32 v199, s13
	s_mov_b32 s13, s14
	s_waitcnt vmcnt(0) lgkmcnt(0)
	v_mul_f64 v[206:207], v[4:5], v[202:203]
	v_mul_f64 v[202:203], v[2:3], v[202:203]
	v_fma_f64 v[206:207], v[2:3], v[200:201], -v[206:207]
	v_fmac_f64_e32 v[202:203], v[4:5], v[200:201]
	v_add_f64 v[2:3], v[64:65], v[206:207]
	v_add_f64 v[4:5], v[204:205], v[202:203]
	s_andn2_b64 exec, exec, s[10:11]
	s_cbranch_execnz .LBB62_725
; %bb.726:
	s_or_b64 exec, exec, s[10:11]
.LBB62_727:
	s_or_b64 exec, exec, s[0:1]
	v_and_b32_e32 v6, 7, v6
	v_cmp_ne_u32_e32 vcc, 0, v6
	s_and_saveexec_b64 s[0:1], vcc
	s_cbranch_execz .LBB62_731
; %bb.728:
	v_lshlrev_b32_e32 v64, 4, v199
	v_add_u32_e32 v7, 0x3f0, v64
	v_add_u32_e32 v198, 0, v64
	s_mov_b64 s[10:11], 0
.LBB62_729:                             ; =>This Inner Loop Header: Depth=1
	scratch_load_dwordx4 v[200:203], v198, off
	ds_read_b128 v[204:207], v7
	v_add_u32_e32 v6, -1, v6
	v_cmp_eq_u32_e32 vcc, 0, v6
	v_add_u32_e32 v7, 16, v7
	v_add_u32_e32 v198, 16, v198
	s_or_b64 s[10:11], vcc, s[10:11]
	s_waitcnt vmcnt(0) lgkmcnt(0)
	v_mul_f64 v[64:65], v[206:207], v[202:203]
	v_mul_f64 v[202:203], v[204:205], v[202:203]
	v_fma_f64 v[64:65], v[204:205], v[200:201], -v[64:65]
	v_fmac_f64_e32 v[202:203], v[206:207], v[200:201]
	v_add_f64 v[2:3], v[2:3], v[64:65]
	v_add_f64 v[4:5], v[4:5], v[202:203]
	s_andn2_b64 exec, exec, s[10:11]
	s_cbranch_execnz .LBB62_729
; %bb.730:
	s_or_b64 exec, exec, s[10:11]
.LBB62_731:
	s_or_b64 exec, exec, s[0:1]
.LBB62_732:
	s_or_b64 exec, exec, s[8:9]
	v_mov_b32_e32 v6, 0
	ds_read_b128 v[198:201], v6 offset:144
	s_waitcnt lgkmcnt(0)
	v_mul_f64 v[6:7], v[4:5], v[200:201]
	v_mul_f64 v[202:203], v[2:3], v[200:201]
	v_fma_f64 v[200:201], v[2:3], v[198:199], -v[6:7]
	v_fmac_f64_e32 v[202:203], v[4:5], v[198:199]
	scratch_store_dwordx4 off, v[200:203], off offset:144
.LBB62_733:
	s_or_b64 exec, exec, s[4:5]
	scratch_load_dwordx4 v[2:5], v190, off
	v_cmp_lt_u32_e64 s[0:1], 8, v0
	s_waitcnt vmcnt(0)
	ds_write_b128 v9, v[2:5]
	s_waitcnt lgkmcnt(0)
	; wave barrier
	s_waitcnt lgkmcnt(0)
	s_and_saveexec_b64 s[4:5], s[0:1]
	s_cbranch_execz .LBB62_747
; %bb.734:
	ds_read_b128 v[2:5], v9
	s_andn2_b64 vcc, exec, s[6:7]
	s_cbranch_vccnz .LBB62_736
; %bb.735:
	scratch_load_dwordx4 v[198:201], v8, off
	s_waitcnt vmcnt(0) lgkmcnt(0)
	v_mul_f64 v[64:65], v[2:3], v[200:201]
	v_mul_f64 v[6:7], v[4:5], v[200:201]
	v_fmac_f64_e32 v[64:65], v[4:5], v[198:199]
	v_fma_f64 v[2:3], v[2:3], v[198:199], -v[6:7]
	v_mov_b64_e32 v[4:5], v[64:65]
.LBB62_736:
	s_and_saveexec_b64 s[8:9], s[2:3]
	s_cbranch_execz .LBB62_746
; %bb.737:
	v_add_u32_e32 v7, -10, v0
	v_add_u32_e32 v6, -9, v0
	v_cmp_lt_u32_e32 vcc, 6, v7
	v_mov_b32_e32 v199, 9
	s_and_saveexec_b64 s[2:3], vcc
	s_cbranch_execz .LBB62_741
; %bb.738:
	v_and_b32_e32 v7, -8, v6
	s_mov_b32 s12, 0
	s_mov_b64 s[10:11], 0
	v_mov_b32_e32 v198, 0
	s_mov_b32 s13, 0
.LBB62_739:                             ; =>This Inner Loop Header: Depth=1
	v_readfirstlane_b32 s14, v198
	s_add_i32 s14, s14, s12
	s_add_i32 s15, s14, 0x90
	v_mov_b32_e32 v199, s12
	ds_read_b128 v[200:203], v199 offset:1152
	ds_read_b128 v[204:207], v199 offset:1168
	;; [unrolled: 1-line block ×4, first 2 shown]
	scratch_load_dwordx4 v[216:219], off, s15
	s_add_i32 s15, s14, 0xa0
	s_addk_i32 s12, 0x80
	s_waitcnt vmcnt(0) lgkmcnt(3)
	v_mul_f64 v[64:65], v[202:203], v[218:219]
	v_fma_f64 v[64:65], v[200:201], v[216:217], -v[64:65]
	v_mul_f64 v[200:201], v[200:201], v[218:219]
	v_fmac_f64_e32 v[200:201], v[202:203], v[216:217]
	v_add_f64 v[64:65], v[2:3], v[64:65]
	v_add_f64 v[200:201], v[4:5], v[200:201]
	scratch_load_dwordx4 v[2:5], off, s15
	s_add_i32 s15, s14, 0xb0
	s_waitcnt vmcnt(0) lgkmcnt(2)
	v_mul_f64 v[202:203], v[206:207], v[4:5]
	v_mul_f64 v[4:5], v[204:205], v[4:5]
	v_fmac_f64_e32 v[4:5], v[206:207], v[2:3]
	v_fma_f64 v[202:203], v[204:205], v[2:3], -v[202:203]
	v_add_f64 v[200:201], v[200:201], v[4:5]
	scratch_load_dwordx4 v[2:5], off, s15
	v_add_f64 v[64:65], v[64:65], v[202:203]
	s_add_i32 s15, s14, 0xc0
	s_waitcnt vmcnt(0) lgkmcnt(1)
	v_mul_f64 v[202:203], v[210:211], v[4:5]
	v_mul_f64 v[4:5], v[208:209], v[4:5]
	v_fmac_f64_e32 v[4:5], v[210:211], v[2:3]
	v_fma_f64 v[202:203], v[208:209], v[2:3], -v[202:203]
	v_add_f64 v[200:201], v[200:201], v[4:5]
	scratch_load_dwordx4 v[2:5], off, s15
	v_add_f64 v[64:65], v[64:65], v[202:203]
	s_add_i32 s15, s14, 0xd0
	s_waitcnt vmcnt(0) lgkmcnt(0)
	v_mul_f64 v[202:203], v[214:215], v[4:5]
	v_mul_f64 v[4:5], v[212:213], v[4:5]
	v_fma_f64 v[202:203], v[212:213], v[2:3], -v[202:203]
	v_fmac_f64_e32 v[4:5], v[214:215], v[2:3]
	v_add_f64 v[64:65], v[64:65], v[202:203]
	v_add_f64 v[204:205], v[200:201], v[4:5]
	scratch_load_dwordx4 v[200:203], off, s15
	ds_read_b128 v[2:5], v199 offset:1216
	s_add_i32 s15, s14, 0xe0
	s_waitcnt vmcnt(0) lgkmcnt(0)
	v_mul_f64 v[206:207], v[4:5], v[202:203]
	v_fma_f64 v[206:207], v[2:3], v[200:201], -v[206:207]
	v_mul_f64 v[2:3], v[2:3], v[202:203]
	v_fmac_f64_e32 v[2:3], v[4:5], v[200:201]
	scratch_load_dwordx4 v[200:203], off, s15
	v_add_f64 v[204:205], v[204:205], v[2:3]
	ds_read_b128 v[2:5], v199 offset:1232
	v_add_f64 v[64:65], v[64:65], v[206:207]
	s_add_i32 s15, s14, 0xf0
	s_addk_i32 s14, 0x100
	s_waitcnt vmcnt(0) lgkmcnt(0)
	v_mul_f64 v[206:207], v[4:5], v[202:203]
	v_fma_f64 v[206:207], v[2:3], v[200:201], -v[206:207]
	v_mul_f64 v[2:3], v[2:3], v[202:203]
	v_fmac_f64_e32 v[2:3], v[4:5], v[200:201]
	scratch_load_dwordx4 v[200:203], off, s15
	v_add_f64 v[204:205], v[204:205], v[2:3]
	ds_read_b128 v[2:5], v199 offset:1248
	v_add_f64 v[64:65], v[64:65], v[206:207]
	s_waitcnt vmcnt(0) lgkmcnt(0)
	v_mul_f64 v[206:207], v[4:5], v[202:203]
	v_fma_f64 v[206:207], v[2:3], v[200:201], -v[206:207]
	v_mul_f64 v[2:3], v[2:3], v[202:203]
	v_fmac_f64_e32 v[2:3], v[4:5], v[200:201]
	scratch_load_dwordx4 v[200:203], off, s14
	v_add_f64 v[204:205], v[204:205], v[2:3]
	ds_read_b128 v[2:5], v199 offset:1264
	v_add_f64 v[64:65], v[64:65], v[206:207]
	s_add_i32 s14, s13, 8
	v_cmp_eq_u32_e32 vcc, s14, v7
	s_add_i32 s13, s13, 17
	s_or_b64 s[10:11], vcc, s[10:11]
	v_mov_b32_e32 v199, s13
	s_mov_b32 s13, s14
	s_waitcnt vmcnt(0) lgkmcnt(0)
	v_mul_f64 v[206:207], v[4:5], v[202:203]
	v_mul_f64 v[202:203], v[2:3], v[202:203]
	v_fma_f64 v[206:207], v[2:3], v[200:201], -v[206:207]
	v_fmac_f64_e32 v[202:203], v[4:5], v[200:201]
	v_add_f64 v[2:3], v[64:65], v[206:207]
	v_add_f64 v[4:5], v[204:205], v[202:203]
	s_andn2_b64 exec, exec, s[10:11]
	s_cbranch_execnz .LBB62_739
; %bb.740:
	s_or_b64 exec, exec, s[10:11]
.LBB62_741:
	s_or_b64 exec, exec, s[2:3]
	v_and_b32_e32 v6, 7, v6
	v_cmp_ne_u32_e32 vcc, 0, v6
	s_and_saveexec_b64 s[2:3], vcc
	s_cbranch_execz .LBB62_745
; %bb.742:
	v_lshlrev_b32_e32 v64, 4, v199
	v_add_u32_e32 v7, 0x3f0, v64
	v_add_u32_e32 v198, 0, v64
	s_mov_b64 s[10:11], 0
.LBB62_743:                             ; =>This Inner Loop Header: Depth=1
	scratch_load_dwordx4 v[200:203], v198, off
	ds_read_b128 v[204:207], v7
	v_add_u32_e32 v6, -1, v6
	v_cmp_eq_u32_e32 vcc, 0, v6
	v_add_u32_e32 v7, 16, v7
	v_add_u32_e32 v198, 16, v198
	s_or_b64 s[10:11], vcc, s[10:11]
	s_waitcnt vmcnt(0) lgkmcnt(0)
	v_mul_f64 v[64:65], v[206:207], v[202:203]
	v_mul_f64 v[202:203], v[204:205], v[202:203]
	v_fma_f64 v[64:65], v[204:205], v[200:201], -v[64:65]
	v_fmac_f64_e32 v[202:203], v[206:207], v[200:201]
	v_add_f64 v[2:3], v[2:3], v[64:65]
	v_add_f64 v[4:5], v[4:5], v[202:203]
	s_andn2_b64 exec, exec, s[10:11]
	s_cbranch_execnz .LBB62_743
; %bb.744:
	s_or_b64 exec, exec, s[10:11]
.LBB62_745:
	s_or_b64 exec, exec, s[2:3]
.LBB62_746:
	s_or_b64 exec, exec, s[8:9]
	v_mov_b32_e32 v6, 0
	ds_read_b128 v[198:201], v6 offset:128
	s_waitcnt lgkmcnt(0)
	v_mul_f64 v[6:7], v[4:5], v[200:201]
	v_mul_f64 v[202:203], v[2:3], v[200:201]
	v_fma_f64 v[200:201], v[2:3], v[198:199], -v[6:7]
	v_fmac_f64_e32 v[202:203], v[4:5], v[198:199]
	scratch_store_dwordx4 off, v[200:203], off offset:128
.LBB62_747:
	s_or_b64 exec, exec, s[4:5]
	scratch_load_dwordx4 v[2:5], v191, off
	v_cmp_lt_u32_e64 s[2:3], 7, v0
	s_waitcnt vmcnt(0)
	ds_write_b128 v9, v[2:5]
	s_waitcnt lgkmcnt(0)
	; wave barrier
	s_waitcnt lgkmcnt(0)
	s_and_saveexec_b64 s[4:5], s[2:3]
	s_cbranch_execz .LBB62_761
; %bb.748:
	ds_read_b128 v[2:5], v9
	s_andn2_b64 vcc, exec, s[6:7]
	s_cbranch_vccnz .LBB62_750
; %bb.749:
	scratch_load_dwordx4 v[198:201], v8, off
	s_waitcnt vmcnt(0) lgkmcnt(0)
	v_mul_f64 v[64:65], v[2:3], v[200:201]
	v_mul_f64 v[6:7], v[4:5], v[200:201]
	v_fmac_f64_e32 v[64:65], v[4:5], v[198:199]
	v_fma_f64 v[2:3], v[2:3], v[198:199], -v[6:7]
	v_mov_b64_e32 v[4:5], v[64:65]
.LBB62_750:
	s_and_saveexec_b64 s[8:9], s[0:1]
	s_cbranch_execz .LBB62_760
; %bb.751:
	v_add_u32_e32 v6, -9, v0
	v_cmp_lt_u32_e32 vcc, 6, v6
	v_mov_b32_e32 v6, 8
	s_and_saveexec_b64 s[0:1], vcc
	s_cbranch_execz .LBB62_755
; %bb.752:
	v_and_b32_e32 v6, 56, v0
	s_mov_b32 s12, 8
	s_mov_b32 s13, 0
	s_mov_b64 s[10:11], 0
	v_mov_b32_e32 v7, 0
.LBB62_753:                             ; =>This Inner Loop Header: Depth=1
	s_nop 0
	v_readfirstlane_b32 s14, v7
	s_add_i32 s14, s14, s13
	s_add_i32 s15, s14, 0x80
	v_mov_b32_e32 v218, s13
	ds_read_b128 v[198:201], v218 offset:1136
	ds_read_b128 v[202:205], v218 offset:1152
	;; [unrolled: 1-line block ×4, first 2 shown]
	scratch_load_dwordx4 v[214:217], off, s15
	s_add_i32 s15, s14, 0x90
	s_add_i32 s12, s12, 8
	s_addk_i32 s13, 0x80
	v_cmp_eq_u32_e32 vcc, s12, v6
	s_waitcnt vmcnt(0) lgkmcnt(3)
	v_mul_f64 v[64:65], v[200:201], v[216:217]
	v_fma_f64 v[64:65], v[198:199], v[214:215], -v[64:65]
	v_mul_f64 v[198:199], v[198:199], v[216:217]
	v_fmac_f64_e32 v[198:199], v[200:201], v[214:215]
	v_add_f64 v[64:65], v[2:3], v[64:65]
	v_add_f64 v[198:199], v[4:5], v[198:199]
	scratch_load_dwordx4 v[2:5], off, s15
	s_add_i32 s15, s14, 0xa0
	s_waitcnt vmcnt(0) lgkmcnt(2)
	v_mul_f64 v[200:201], v[204:205], v[4:5]
	v_mul_f64 v[4:5], v[202:203], v[4:5]
	v_fmac_f64_e32 v[4:5], v[204:205], v[2:3]
	v_fma_f64 v[200:201], v[202:203], v[2:3], -v[200:201]
	v_add_f64 v[198:199], v[198:199], v[4:5]
	scratch_load_dwordx4 v[2:5], off, s15
	v_add_f64 v[64:65], v[64:65], v[200:201]
	s_add_i32 s15, s14, 0xb0
	s_waitcnt vmcnt(0) lgkmcnt(1)
	v_mul_f64 v[200:201], v[208:209], v[4:5]
	v_mul_f64 v[4:5], v[206:207], v[4:5]
	v_fmac_f64_e32 v[4:5], v[208:209], v[2:3]
	v_fma_f64 v[200:201], v[206:207], v[2:3], -v[200:201]
	v_add_f64 v[198:199], v[198:199], v[4:5]
	scratch_load_dwordx4 v[2:5], off, s15
	v_add_f64 v[64:65], v[64:65], v[200:201]
	s_add_i32 s15, s14, 0xc0
	s_waitcnt vmcnt(0) lgkmcnt(0)
	v_mul_f64 v[200:201], v[212:213], v[4:5]
	v_mul_f64 v[4:5], v[210:211], v[4:5]
	v_fma_f64 v[200:201], v[210:211], v[2:3], -v[200:201]
	v_fmac_f64_e32 v[4:5], v[212:213], v[2:3]
	v_add_f64 v[64:65], v[64:65], v[200:201]
	v_add_f64 v[202:203], v[198:199], v[4:5]
	scratch_load_dwordx4 v[198:201], off, s15
	ds_read_b128 v[2:5], v218 offset:1200
	s_add_i32 s15, s14, 0xd0
	s_waitcnt vmcnt(0) lgkmcnt(0)
	v_mul_f64 v[204:205], v[4:5], v[200:201]
	v_fma_f64 v[204:205], v[2:3], v[198:199], -v[204:205]
	v_mul_f64 v[2:3], v[2:3], v[200:201]
	v_fmac_f64_e32 v[2:3], v[4:5], v[198:199]
	scratch_load_dwordx4 v[198:201], off, s15
	v_add_f64 v[202:203], v[202:203], v[2:3]
	ds_read_b128 v[2:5], v218 offset:1216
	v_add_f64 v[64:65], v[64:65], v[204:205]
	s_add_i32 s15, s14, 0xe0
	s_addk_i32 s14, 0xf0
	s_or_b64 s[10:11], vcc, s[10:11]
	s_waitcnt vmcnt(0) lgkmcnt(0)
	v_mul_f64 v[204:205], v[4:5], v[200:201]
	v_fma_f64 v[204:205], v[2:3], v[198:199], -v[204:205]
	v_mul_f64 v[2:3], v[2:3], v[200:201]
	v_fmac_f64_e32 v[2:3], v[4:5], v[198:199]
	scratch_load_dwordx4 v[198:201], off, s15
	v_add_f64 v[202:203], v[202:203], v[2:3]
	ds_read_b128 v[2:5], v218 offset:1232
	v_add_f64 v[64:65], v[64:65], v[204:205]
	s_waitcnt vmcnt(0) lgkmcnt(0)
	v_mul_f64 v[204:205], v[4:5], v[200:201]
	v_fma_f64 v[204:205], v[2:3], v[198:199], -v[204:205]
	v_mul_f64 v[2:3], v[2:3], v[200:201]
	v_fmac_f64_e32 v[2:3], v[4:5], v[198:199]
	scratch_load_dwordx4 v[198:201], off, s14
	v_add_f64 v[202:203], v[202:203], v[2:3]
	ds_read_b128 v[2:5], v218 offset:1248
	v_add_f64 v[64:65], v[64:65], v[204:205]
	s_waitcnt vmcnt(0) lgkmcnt(0)
	v_mul_f64 v[204:205], v[4:5], v[200:201]
	v_mul_f64 v[200:201], v[2:3], v[200:201]
	v_fma_f64 v[204:205], v[2:3], v[198:199], -v[204:205]
	v_fmac_f64_e32 v[200:201], v[4:5], v[198:199]
	v_add_f64 v[2:3], v[64:65], v[204:205]
	v_add_f64 v[4:5], v[202:203], v[200:201]
	s_andn2_b64 exec, exec, s[10:11]
	s_cbranch_execnz .LBB62_753
; %bb.754:
	s_or_b64 exec, exec, s[10:11]
.LBB62_755:
	s_or_b64 exec, exec, s[0:1]
	v_and_b32_e32 v7, 7, v0
	v_cmp_ne_u32_e32 vcc, 0, v7
	s_and_saveexec_b64 s[0:1], vcc
	s_cbranch_execz .LBB62_759
; %bb.756:
	v_lshlrev_b32_e32 v64, 4, v6
	v_add_u32_e32 v6, 0x3f0, v64
	v_add_u32_e32 v198, 0, v64
	s_mov_b64 s[10:11], 0
.LBB62_757:                             ; =>This Inner Loop Header: Depth=1
	scratch_load_dwordx4 v[200:203], v198, off
	ds_read_b128 v[204:207], v6
	v_add_u32_e32 v7, -1, v7
	v_cmp_eq_u32_e32 vcc, 0, v7
	v_add_u32_e32 v6, 16, v6
	v_add_u32_e32 v198, 16, v198
	s_or_b64 s[10:11], vcc, s[10:11]
	s_waitcnt vmcnt(0) lgkmcnt(0)
	v_mul_f64 v[64:65], v[206:207], v[202:203]
	v_mul_f64 v[202:203], v[204:205], v[202:203]
	v_fma_f64 v[64:65], v[204:205], v[200:201], -v[64:65]
	v_fmac_f64_e32 v[202:203], v[206:207], v[200:201]
	v_add_f64 v[2:3], v[2:3], v[64:65]
	v_add_f64 v[4:5], v[4:5], v[202:203]
	s_andn2_b64 exec, exec, s[10:11]
	s_cbranch_execnz .LBB62_757
; %bb.758:
	s_or_b64 exec, exec, s[10:11]
.LBB62_759:
	s_or_b64 exec, exec, s[0:1]
.LBB62_760:
	s_or_b64 exec, exec, s[8:9]
	v_mov_b32_e32 v6, 0
	ds_read_b128 v[198:201], v6 offset:112
	s_waitcnt lgkmcnt(0)
	v_mul_f64 v[6:7], v[4:5], v[200:201]
	v_mul_f64 v[202:203], v[2:3], v[200:201]
	v_fma_f64 v[200:201], v[2:3], v[198:199], -v[6:7]
	v_fmac_f64_e32 v[202:203], v[4:5], v[198:199]
	scratch_store_dwordx4 off, v[200:203], off offset:112
.LBB62_761:
	s_or_b64 exec, exec, s[4:5]
	scratch_load_dwordx4 v[2:5], v192, off
	v_cmp_lt_u32_e64 s[0:1], 6, v0
	s_waitcnt vmcnt(0)
	ds_write_b128 v9, v[2:5]
	s_waitcnt lgkmcnt(0)
	; wave barrier
	s_waitcnt lgkmcnt(0)
	s_and_saveexec_b64 s[4:5], s[0:1]
	s_cbranch_execz .LBB62_775
; %bb.762:
	ds_read_b128 v[2:5], v9
	s_andn2_b64 vcc, exec, s[6:7]
	s_cbranch_vccnz .LBB62_764
; %bb.763:
	scratch_load_dwordx4 v[198:201], v8, off
	s_waitcnt vmcnt(0) lgkmcnt(0)
	v_mul_f64 v[64:65], v[2:3], v[200:201]
	v_mul_f64 v[6:7], v[4:5], v[200:201]
	v_fmac_f64_e32 v[64:65], v[4:5], v[198:199]
	v_fma_f64 v[2:3], v[2:3], v[198:199], -v[6:7]
	v_mov_b64_e32 v[4:5], v[64:65]
.LBB62_764:
	s_and_saveexec_b64 s[8:9], s[2:3]
	s_cbranch_execz .LBB62_774
; %bb.765:
	v_add_u32_e32 v7, -8, v0
	v_add_u32_e32 v6, -7, v0
	v_cmp_lt_u32_e32 vcc, 6, v7
	v_mov_b32_e32 v199, 7
	s_and_saveexec_b64 s[2:3], vcc
	s_cbranch_execz .LBB62_769
; %bb.766:
	v_and_b32_e32 v7, -8, v6
	s_mov_b32 s12, 0
	s_mov_b64 s[10:11], 0
	v_mov_b32_e32 v198, 0
	s_mov_b32 s13, 0
.LBB62_767:                             ; =>This Inner Loop Header: Depth=1
	v_readfirstlane_b32 s14, v198
	s_add_i32 s14, s14, s12
	s_add_i32 s15, s14, 0x70
	v_mov_b32_e32 v199, s12
	ds_read_b128 v[200:203], v199 offset:1120
	ds_read_b128 v[204:207], v199 offset:1136
	;; [unrolled: 1-line block ×4, first 2 shown]
	scratch_load_dwordx4 v[216:219], off, s15
	s_add_i32 s15, s14, 0x80
	s_addk_i32 s12, 0x80
	s_waitcnt vmcnt(0) lgkmcnt(3)
	v_mul_f64 v[64:65], v[202:203], v[218:219]
	v_fma_f64 v[64:65], v[200:201], v[216:217], -v[64:65]
	v_mul_f64 v[200:201], v[200:201], v[218:219]
	v_fmac_f64_e32 v[200:201], v[202:203], v[216:217]
	v_add_f64 v[64:65], v[2:3], v[64:65]
	v_add_f64 v[200:201], v[4:5], v[200:201]
	scratch_load_dwordx4 v[2:5], off, s15
	s_add_i32 s15, s14, 0x90
	s_waitcnt vmcnt(0) lgkmcnt(2)
	v_mul_f64 v[202:203], v[206:207], v[4:5]
	v_mul_f64 v[4:5], v[204:205], v[4:5]
	v_fmac_f64_e32 v[4:5], v[206:207], v[2:3]
	v_fma_f64 v[202:203], v[204:205], v[2:3], -v[202:203]
	v_add_f64 v[200:201], v[200:201], v[4:5]
	scratch_load_dwordx4 v[2:5], off, s15
	v_add_f64 v[64:65], v[64:65], v[202:203]
	s_add_i32 s15, s14, 0xa0
	s_waitcnt vmcnt(0) lgkmcnt(1)
	v_mul_f64 v[202:203], v[210:211], v[4:5]
	v_mul_f64 v[4:5], v[208:209], v[4:5]
	v_fmac_f64_e32 v[4:5], v[210:211], v[2:3]
	v_fma_f64 v[202:203], v[208:209], v[2:3], -v[202:203]
	v_add_f64 v[200:201], v[200:201], v[4:5]
	scratch_load_dwordx4 v[2:5], off, s15
	v_add_f64 v[64:65], v[64:65], v[202:203]
	s_add_i32 s15, s14, 0xb0
	s_waitcnt vmcnt(0) lgkmcnt(0)
	v_mul_f64 v[202:203], v[214:215], v[4:5]
	v_mul_f64 v[4:5], v[212:213], v[4:5]
	v_fma_f64 v[202:203], v[212:213], v[2:3], -v[202:203]
	v_fmac_f64_e32 v[4:5], v[214:215], v[2:3]
	v_add_f64 v[64:65], v[64:65], v[202:203]
	v_add_f64 v[204:205], v[200:201], v[4:5]
	scratch_load_dwordx4 v[200:203], off, s15
	ds_read_b128 v[2:5], v199 offset:1184
	s_add_i32 s15, s14, 0xc0
	s_waitcnt vmcnt(0) lgkmcnt(0)
	v_mul_f64 v[206:207], v[4:5], v[202:203]
	v_fma_f64 v[206:207], v[2:3], v[200:201], -v[206:207]
	v_mul_f64 v[2:3], v[2:3], v[202:203]
	v_fmac_f64_e32 v[2:3], v[4:5], v[200:201]
	scratch_load_dwordx4 v[200:203], off, s15
	v_add_f64 v[204:205], v[204:205], v[2:3]
	ds_read_b128 v[2:5], v199 offset:1200
	v_add_f64 v[64:65], v[64:65], v[206:207]
	s_add_i32 s15, s14, 0xd0
	s_addk_i32 s14, 0xe0
	s_waitcnt vmcnt(0) lgkmcnt(0)
	v_mul_f64 v[206:207], v[4:5], v[202:203]
	v_fma_f64 v[206:207], v[2:3], v[200:201], -v[206:207]
	v_mul_f64 v[2:3], v[2:3], v[202:203]
	v_fmac_f64_e32 v[2:3], v[4:5], v[200:201]
	scratch_load_dwordx4 v[200:203], off, s15
	v_add_f64 v[204:205], v[204:205], v[2:3]
	ds_read_b128 v[2:5], v199 offset:1216
	v_add_f64 v[64:65], v[64:65], v[206:207]
	s_waitcnt vmcnt(0) lgkmcnt(0)
	v_mul_f64 v[206:207], v[4:5], v[202:203]
	v_fma_f64 v[206:207], v[2:3], v[200:201], -v[206:207]
	v_mul_f64 v[2:3], v[2:3], v[202:203]
	v_fmac_f64_e32 v[2:3], v[4:5], v[200:201]
	scratch_load_dwordx4 v[200:203], off, s14
	v_add_f64 v[204:205], v[204:205], v[2:3]
	ds_read_b128 v[2:5], v199 offset:1232
	v_add_f64 v[64:65], v[64:65], v[206:207]
	s_add_i32 s14, s13, 8
	v_cmp_eq_u32_e32 vcc, s14, v7
	s_add_i32 s13, s13, 15
	s_or_b64 s[10:11], vcc, s[10:11]
	v_mov_b32_e32 v199, s13
	s_mov_b32 s13, s14
	s_waitcnt vmcnt(0) lgkmcnt(0)
	v_mul_f64 v[206:207], v[4:5], v[202:203]
	v_mul_f64 v[202:203], v[2:3], v[202:203]
	v_fma_f64 v[206:207], v[2:3], v[200:201], -v[206:207]
	v_fmac_f64_e32 v[202:203], v[4:5], v[200:201]
	v_add_f64 v[2:3], v[64:65], v[206:207]
	v_add_f64 v[4:5], v[204:205], v[202:203]
	s_andn2_b64 exec, exec, s[10:11]
	s_cbranch_execnz .LBB62_767
; %bb.768:
	s_or_b64 exec, exec, s[10:11]
.LBB62_769:
	s_or_b64 exec, exec, s[2:3]
	v_and_b32_e32 v6, 7, v6
	v_cmp_ne_u32_e32 vcc, 0, v6
	s_and_saveexec_b64 s[2:3], vcc
	s_cbranch_execz .LBB62_773
; %bb.770:
	v_lshlrev_b32_e32 v64, 4, v199
	v_add_u32_e32 v7, 0x3f0, v64
	v_add_u32_e32 v198, 0, v64
	s_mov_b64 s[10:11], 0
.LBB62_771:                             ; =>This Inner Loop Header: Depth=1
	scratch_load_dwordx4 v[200:203], v198, off
	ds_read_b128 v[204:207], v7
	v_add_u32_e32 v6, -1, v6
	v_cmp_eq_u32_e32 vcc, 0, v6
	v_add_u32_e32 v7, 16, v7
	v_add_u32_e32 v198, 16, v198
	s_or_b64 s[10:11], vcc, s[10:11]
	s_waitcnt vmcnt(0) lgkmcnt(0)
	v_mul_f64 v[64:65], v[206:207], v[202:203]
	v_mul_f64 v[202:203], v[204:205], v[202:203]
	v_fma_f64 v[64:65], v[204:205], v[200:201], -v[64:65]
	v_fmac_f64_e32 v[202:203], v[206:207], v[200:201]
	v_add_f64 v[2:3], v[2:3], v[64:65]
	v_add_f64 v[4:5], v[4:5], v[202:203]
	s_andn2_b64 exec, exec, s[10:11]
	s_cbranch_execnz .LBB62_771
; %bb.772:
	s_or_b64 exec, exec, s[10:11]
.LBB62_773:
	s_or_b64 exec, exec, s[2:3]
.LBB62_774:
	s_or_b64 exec, exec, s[8:9]
	v_mov_b32_e32 v6, 0
	ds_read_b128 v[198:201], v6 offset:96
	s_waitcnt lgkmcnt(0)
	v_mul_f64 v[6:7], v[4:5], v[200:201]
	v_mul_f64 v[202:203], v[2:3], v[200:201]
	v_fma_f64 v[200:201], v[2:3], v[198:199], -v[6:7]
	v_fmac_f64_e32 v[202:203], v[4:5], v[198:199]
	scratch_store_dwordx4 off, v[200:203], off offset:96
.LBB62_775:
	s_or_b64 exec, exec, s[4:5]
	scratch_load_dwordx4 v[2:5], v193, off
	v_cmp_lt_u32_e64 s[2:3], 5, v0
	s_waitcnt vmcnt(0)
	ds_write_b128 v9, v[2:5]
	s_waitcnt lgkmcnt(0)
	; wave barrier
	s_waitcnt lgkmcnt(0)
	s_and_saveexec_b64 s[4:5], s[2:3]
	s_cbranch_execz .LBB62_789
; %bb.776:
	ds_read_b128 v[2:5], v9
	s_andn2_b64 vcc, exec, s[6:7]
	s_cbranch_vccnz .LBB62_778
; %bb.777:
	scratch_load_dwordx4 v[198:201], v8, off
	s_waitcnt vmcnt(0) lgkmcnt(0)
	v_mul_f64 v[64:65], v[2:3], v[200:201]
	v_mul_f64 v[6:7], v[4:5], v[200:201]
	v_fmac_f64_e32 v[64:65], v[4:5], v[198:199]
	v_fma_f64 v[2:3], v[2:3], v[198:199], -v[6:7]
	v_mov_b64_e32 v[4:5], v[64:65]
.LBB62_778:
	s_and_saveexec_b64 s[8:9], s[0:1]
	s_cbranch_execz .LBB62_788
; %bb.779:
	v_add_u32_e32 v7, -7, v0
	v_add_u32_e32 v6, -6, v0
	v_cmp_lt_u32_e32 vcc, 6, v7
	v_mov_b32_e32 v199, 6
	s_and_saveexec_b64 s[0:1], vcc
	s_cbranch_execz .LBB62_783
; %bb.780:
	v_and_b32_e32 v7, -8, v6
	s_mov_b32 s12, 0
	s_mov_b64 s[10:11], 0
	v_mov_b32_e32 v198, 0
	s_mov_b32 s13, 0
.LBB62_781:                             ; =>This Inner Loop Header: Depth=1
	v_readfirstlane_b32 s14, v198
	s_add_i32 s14, s14, s12
	s_add_i32 s15, s14, 0x60
	v_mov_b32_e32 v199, s12
	ds_read_b128 v[200:203], v199 offset:1104
	ds_read_b128 v[204:207], v199 offset:1120
	;; [unrolled: 1-line block ×4, first 2 shown]
	scratch_load_dwordx4 v[216:219], off, s15
	s_add_i32 s15, s14, 0x70
	s_addk_i32 s12, 0x80
	s_waitcnt vmcnt(0) lgkmcnt(3)
	v_mul_f64 v[64:65], v[202:203], v[218:219]
	v_fma_f64 v[64:65], v[200:201], v[216:217], -v[64:65]
	v_mul_f64 v[200:201], v[200:201], v[218:219]
	v_fmac_f64_e32 v[200:201], v[202:203], v[216:217]
	v_add_f64 v[64:65], v[2:3], v[64:65]
	v_add_f64 v[200:201], v[4:5], v[200:201]
	scratch_load_dwordx4 v[2:5], off, s15
	s_add_i32 s15, s14, 0x80
	s_waitcnt vmcnt(0) lgkmcnt(2)
	v_mul_f64 v[202:203], v[206:207], v[4:5]
	v_mul_f64 v[4:5], v[204:205], v[4:5]
	v_fmac_f64_e32 v[4:5], v[206:207], v[2:3]
	v_fma_f64 v[202:203], v[204:205], v[2:3], -v[202:203]
	v_add_f64 v[200:201], v[200:201], v[4:5]
	scratch_load_dwordx4 v[2:5], off, s15
	v_add_f64 v[64:65], v[64:65], v[202:203]
	s_add_i32 s15, s14, 0x90
	s_waitcnt vmcnt(0) lgkmcnt(1)
	v_mul_f64 v[202:203], v[210:211], v[4:5]
	v_mul_f64 v[4:5], v[208:209], v[4:5]
	v_fmac_f64_e32 v[4:5], v[210:211], v[2:3]
	v_fma_f64 v[202:203], v[208:209], v[2:3], -v[202:203]
	v_add_f64 v[200:201], v[200:201], v[4:5]
	scratch_load_dwordx4 v[2:5], off, s15
	v_add_f64 v[64:65], v[64:65], v[202:203]
	s_add_i32 s15, s14, 0xa0
	s_waitcnt vmcnt(0) lgkmcnt(0)
	v_mul_f64 v[202:203], v[214:215], v[4:5]
	v_mul_f64 v[4:5], v[212:213], v[4:5]
	v_fma_f64 v[202:203], v[212:213], v[2:3], -v[202:203]
	v_fmac_f64_e32 v[4:5], v[214:215], v[2:3]
	v_add_f64 v[64:65], v[64:65], v[202:203]
	v_add_f64 v[204:205], v[200:201], v[4:5]
	scratch_load_dwordx4 v[200:203], off, s15
	ds_read_b128 v[2:5], v199 offset:1168
	s_add_i32 s15, s14, 0xb0
	s_waitcnt vmcnt(0) lgkmcnt(0)
	v_mul_f64 v[206:207], v[4:5], v[202:203]
	v_fma_f64 v[206:207], v[2:3], v[200:201], -v[206:207]
	v_mul_f64 v[2:3], v[2:3], v[202:203]
	v_fmac_f64_e32 v[2:3], v[4:5], v[200:201]
	scratch_load_dwordx4 v[200:203], off, s15
	v_add_f64 v[204:205], v[204:205], v[2:3]
	ds_read_b128 v[2:5], v199 offset:1184
	v_add_f64 v[64:65], v[64:65], v[206:207]
	s_add_i32 s15, s14, 0xc0
	s_addk_i32 s14, 0xd0
	s_waitcnt vmcnt(0) lgkmcnt(0)
	v_mul_f64 v[206:207], v[4:5], v[202:203]
	v_fma_f64 v[206:207], v[2:3], v[200:201], -v[206:207]
	v_mul_f64 v[2:3], v[2:3], v[202:203]
	v_fmac_f64_e32 v[2:3], v[4:5], v[200:201]
	scratch_load_dwordx4 v[200:203], off, s15
	v_add_f64 v[204:205], v[204:205], v[2:3]
	ds_read_b128 v[2:5], v199 offset:1200
	v_add_f64 v[64:65], v[64:65], v[206:207]
	s_waitcnt vmcnt(0) lgkmcnt(0)
	v_mul_f64 v[206:207], v[4:5], v[202:203]
	v_fma_f64 v[206:207], v[2:3], v[200:201], -v[206:207]
	v_mul_f64 v[2:3], v[2:3], v[202:203]
	v_fmac_f64_e32 v[2:3], v[4:5], v[200:201]
	scratch_load_dwordx4 v[200:203], off, s14
	v_add_f64 v[204:205], v[204:205], v[2:3]
	ds_read_b128 v[2:5], v199 offset:1216
	v_add_f64 v[64:65], v[64:65], v[206:207]
	s_add_i32 s14, s13, 8
	v_cmp_eq_u32_e32 vcc, s14, v7
	s_add_i32 s13, s13, 14
	s_or_b64 s[10:11], vcc, s[10:11]
	v_mov_b32_e32 v199, s13
	s_mov_b32 s13, s14
	s_waitcnt vmcnt(0) lgkmcnt(0)
	v_mul_f64 v[206:207], v[4:5], v[202:203]
	v_mul_f64 v[202:203], v[2:3], v[202:203]
	v_fma_f64 v[206:207], v[2:3], v[200:201], -v[206:207]
	v_fmac_f64_e32 v[202:203], v[4:5], v[200:201]
	v_add_f64 v[2:3], v[64:65], v[206:207]
	v_add_f64 v[4:5], v[204:205], v[202:203]
	s_andn2_b64 exec, exec, s[10:11]
	s_cbranch_execnz .LBB62_781
; %bb.782:
	s_or_b64 exec, exec, s[10:11]
.LBB62_783:
	s_or_b64 exec, exec, s[0:1]
	v_and_b32_e32 v6, 7, v6
	v_cmp_ne_u32_e32 vcc, 0, v6
	s_and_saveexec_b64 s[0:1], vcc
	s_cbranch_execz .LBB62_787
; %bb.784:
	v_lshlrev_b32_e32 v64, 4, v199
	v_add_u32_e32 v7, 0x3f0, v64
	v_add_u32_e32 v198, 0, v64
	s_mov_b64 s[10:11], 0
.LBB62_785:                             ; =>This Inner Loop Header: Depth=1
	scratch_load_dwordx4 v[200:203], v198, off
	ds_read_b128 v[204:207], v7
	v_add_u32_e32 v6, -1, v6
	v_cmp_eq_u32_e32 vcc, 0, v6
	v_add_u32_e32 v7, 16, v7
	v_add_u32_e32 v198, 16, v198
	s_or_b64 s[10:11], vcc, s[10:11]
	s_waitcnt vmcnt(0) lgkmcnt(0)
	v_mul_f64 v[64:65], v[206:207], v[202:203]
	v_mul_f64 v[202:203], v[204:205], v[202:203]
	v_fma_f64 v[64:65], v[204:205], v[200:201], -v[64:65]
	v_fmac_f64_e32 v[202:203], v[206:207], v[200:201]
	v_add_f64 v[2:3], v[2:3], v[64:65]
	v_add_f64 v[4:5], v[4:5], v[202:203]
	s_andn2_b64 exec, exec, s[10:11]
	s_cbranch_execnz .LBB62_785
; %bb.786:
	s_or_b64 exec, exec, s[10:11]
.LBB62_787:
	s_or_b64 exec, exec, s[0:1]
.LBB62_788:
	s_or_b64 exec, exec, s[8:9]
	v_mov_b32_e32 v6, 0
	ds_read_b128 v[198:201], v6 offset:80
	s_waitcnt lgkmcnt(0)
	v_mul_f64 v[6:7], v[4:5], v[200:201]
	v_mul_f64 v[202:203], v[2:3], v[200:201]
	v_fma_f64 v[200:201], v[2:3], v[198:199], -v[6:7]
	v_fmac_f64_e32 v[202:203], v[4:5], v[198:199]
	scratch_store_dwordx4 off, v[200:203], off offset:80
.LBB62_789:
	s_or_b64 exec, exec, s[4:5]
	scratch_load_dwordx4 v[2:5], v194, off
	v_cmp_lt_u32_e64 s[0:1], 4, v0
	s_waitcnt vmcnt(0)
	ds_write_b128 v9, v[2:5]
	s_waitcnt lgkmcnt(0)
	; wave barrier
	s_waitcnt lgkmcnt(0)
	s_and_saveexec_b64 s[4:5], s[0:1]
	s_cbranch_execz .LBB62_803
; %bb.790:
	ds_read_b128 v[2:5], v9
	s_andn2_b64 vcc, exec, s[6:7]
	s_cbranch_vccnz .LBB62_792
; %bb.791:
	scratch_load_dwordx4 v[198:201], v8, off
	s_waitcnt vmcnt(0) lgkmcnt(0)
	v_mul_f64 v[64:65], v[2:3], v[200:201]
	v_mul_f64 v[6:7], v[4:5], v[200:201]
	v_fmac_f64_e32 v[64:65], v[4:5], v[198:199]
	v_fma_f64 v[2:3], v[2:3], v[198:199], -v[6:7]
	v_mov_b64_e32 v[4:5], v[64:65]
.LBB62_792:
	s_and_saveexec_b64 s[8:9], s[2:3]
	s_cbranch_execz .LBB62_802
; %bb.793:
	v_add_u32_e32 v7, -6, v0
	v_add_u32_e32 v6, -5, v0
	v_cmp_lt_u32_e32 vcc, 6, v7
	v_mov_b32_e32 v199, 5
	s_and_saveexec_b64 s[2:3], vcc
	s_cbranch_execz .LBB62_797
; %bb.794:
	v_and_b32_e32 v7, -8, v6
	s_mov_b32 s12, 0
	s_mov_b64 s[10:11], 0
	v_mov_b32_e32 v198, 0
	s_mov_b32 s13, 0
.LBB62_795:                             ; =>This Inner Loop Header: Depth=1
	v_readfirstlane_b32 s14, v198
	s_add_i32 s14, s14, s12
	s_add_i32 s15, s14, 0x50
	v_mov_b32_e32 v199, s12
	ds_read_b128 v[200:203], v199 offset:1088
	ds_read_b128 v[204:207], v199 offset:1104
	;; [unrolled: 1-line block ×4, first 2 shown]
	scratch_load_dwordx4 v[216:219], off, s15
	s_add_i32 s15, s14, 0x60
	s_addk_i32 s12, 0x80
	s_waitcnt vmcnt(0) lgkmcnt(3)
	v_mul_f64 v[64:65], v[202:203], v[218:219]
	v_fma_f64 v[64:65], v[200:201], v[216:217], -v[64:65]
	v_mul_f64 v[200:201], v[200:201], v[218:219]
	v_fmac_f64_e32 v[200:201], v[202:203], v[216:217]
	v_add_f64 v[64:65], v[2:3], v[64:65]
	v_add_f64 v[200:201], v[4:5], v[200:201]
	scratch_load_dwordx4 v[2:5], off, s15
	s_add_i32 s15, s14, 0x70
	s_waitcnt vmcnt(0) lgkmcnt(2)
	v_mul_f64 v[202:203], v[206:207], v[4:5]
	v_mul_f64 v[4:5], v[204:205], v[4:5]
	v_fmac_f64_e32 v[4:5], v[206:207], v[2:3]
	v_fma_f64 v[202:203], v[204:205], v[2:3], -v[202:203]
	v_add_f64 v[200:201], v[200:201], v[4:5]
	scratch_load_dwordx4 v[2:5], off, s15
	v_add_f64 v[64:65], v[64:65], v[202:203]
	s_add_i32 s15, s14, 0x80
	s_waitcnt vmcnt(0) lgkmcnt(1)
	v_mul_f64 v[202:203], v[210:211], v[4:5]
	v_mul_f64 v[4:5], v[208:209], v[4:5]
	v_fmac_f64_e32 v[4:5], v[210:211], v[2:3]
	v_fma_f64 v[202:203], v[208:209], v[2:3], -v[202:203]
	v_add_f64 v[200:201], v[200:201], v[4:5]
	scratch_load_dwordx4 v[2:5], off, s15
	v_add_f64 v[64:65], v[64:65], v[202:203]
	s_add_i32 s15, s14, 0x90
	s_waitcnt vmcnt(0) lgkmcnt(0)
	v_mul_f64 v[202:203], v[214:215], v[4:5]
	v_mul_f64 v[4:5], v[212:213], v[4:5]
	v_fma_f64 v[202:203], v[212:213], v[2:3], -v[202:203]
	v_fmac_f64_e32 v[4:5], v[214:215], v[2:3]
	v_add_f64 v[64:65], v[64:65], v[202:203]
	v_add_f64 v[204:205], v[200:201], v[4:5]
	scratch_load_dwordx4 v[200:203], off, s15
	ds_read_b128 v[2:5], v199 offset:1152
	s_add_i32 s15, s14, 0xa0
	s_waitcnt vmcnt(0) lgkmcnt(0)
	v_mul_f64 v[206:207], v[4:5], v[202:203]
	v_fma_f64 v[206:207], v[2:3], v[200:201], -v[206:207]
	v_mul_f64 v[2:3], v[2:3], v[202:203]
	v_fmac_f64_e32 v[2:3], v[4:5], v[200:201]
	scratch_load_dwordx4 v[200:203], off, s15
	v_add_f64 v[204:205], v[204:205], v[2:3]
	ds_read_b128 v[2:5], v199 offset:1168
	v_add_f64 v[64:65], v[64:65], v[206:207]
	s_add_i32 s15, s14, 0xb0
	s_addk_i32 s14, 0xc0
	s_waitcnt vmcnt(0) lgkmcnt(0)
	v_mul_f64 v[206:207], v[4:5], v[202:203]
	v_fma_f64 v[206:207], v[2:3], v[200:201], -v[206:207]
	v_mul_f64 v[2:3], v[2:3], v[202:203]
	v_fmac_f64_e32 v[2:3], v[4:5], v[200:201]
	scratch_load_dwordx4 v[200:203], off, s15
	v_add_f64 v[204:205], v[204:205], v[2:3]
	ds_read_b128 v[2:5], v199 offset:1184
	v_add_f64 v[64:65], v[64:65], v[206:207]
	s_waitcnt vmcnt(0) lgkmcnt(0)
	v_mul_f64 v[206:207], v[4:5], v[202:203]
	v_fma_f64 v[206:207], v[2:3], v[200:201], -v[206:207]
	v_mul_f64 v[2:3], v[2:3], v[202:203]
	v_fmac_f64_e32 v[2:3], v[4:5], v[200:201]
	scratch_load_dwordx4 v[200:203], off, s14
	v_add_f64 v[204:205], v[204:205], v[2:3]
	ds_read_b128 v[2:5], v199 offset:1200
	v_add_f64 v[64:65], v[64:65], v[206:207]
	s_add_i32 s14, s13, 8
	v_cmp_eq_u32_e32 vcc, s14, v7
	s_add_i32 s13, s13, 13
	s_or_b64 s[10:11], vcc, s[10:11]
	v_mov_b32_e32 v199, s13
	s_mov_b32 s13, s14
	s_waitcnt vmcnt(0) lgkmcnt(0)
	v_mul_f64 v[206:207], v[4:5], v[202:203]
	v_mul_f64 v[202:203], v[2:3], v[202:203]
	v_fma_f64 v[206:207], v[2:3], v[200:201], -v[206:207]
	v_fmac_f64_e32 v[202:203], v[4:5], v[200:201]
	v_add_f64 v[2:3], v[64:65], v[206:207]
	v_add_f64 v[4:5], v[204:205], v[202:203]
	s_andn2_b64 exec, exec, s[10:11]
	s_cbranch_execnz .LBB62_795
; %bb.796:
	s_or_b64 exec, exec, s[10:11]
.LBB62_797:
	s_or_b64 exec, exec, s[2:3]
	v_and_b32_e32 v6, 7, v6
	v_cmp_ne_u32_e32 vcc, 0, v6
	s_and_saveexec_b64 s[2:3], vcc
	s_cbranch_execz .LBB62_801
; %bb.798:
	v_lshlrev_b32_e32 v64, 4, v199
	v_add_u32_e32 v7, 0x3f0, v64
	v_add_u32_e32 v198, 0, v64
	s_mov_b64 s[10:11], 0
.LBB62_799:                             ; =>This Inner Loop Header: Depth=1
	scratch_load_dwordx4 v[200:203], v198, off
	ds_read_b128 v[204:207], v7
	v_add_u32_e32 v6, -1, v6
	v_cmp_eq_u32_e32 vcc, 0, v6
	v_add_u32_e32 v7, 16, v7
	v_add_u32_e32 v198, 16, v198
	s_or_b64 s[10:11], vcc, s[10:11]
	s_waitcnt vmcnt(0) lgkmcnt(0)
	v_mul_f64 v[64:65], v[206:207], v[202:203]
	v_mul_f64 v[202:203], v[204:205], v[202:203]
	v_fma_f64 v[64:65], v[204:205], v[200:201], -v[64:65]
	v_fmac_f64_e32 v[202:203], v[206:207], v[200:201]
	v_add_f64 v[2:3], v[2:3], v[64:65]
	v_add_f64 v[4:5], v[4:5], v[202:203]
	s_andn2_b64 exec, exec, s[10:11]
	s_cbranch_execnz .LBB62_799
; %bb.800:
	s_or_b64 exec, exec, s[10:11]
.LBB62_801:
	s_or_b64 exec, exec, s[2:3]
.LBB62_802:
	s_or_b64 exec, exec, s[8:9]
	v_mov_b32_e32 v6, 0
	ds_read_b128 v[198:201], v6 offset:64
	s_waitcnt lgkmcnt(0)
	v_mul_f64 v[6:7], v[4:5], v[200:201]
	v_mul_f64 v[202:203], v[2:3], v[200:201]
	v_fma_f64 v[200:201], v[2:3], v[198:199], -v[6:7]
	v_fmac_f64_e32 v[202:203], v[4:5], v[198:199]
	scratch_store_dwordx4 off, v[200:203], off offset:64
.LBB62_803:
	s_or_b64 exec, exec, s[4:5]
	scratch_load_dwordx4 v[2:5], v195, off
	v_cmp_lt_u32_e64 s[2:3], 3, v0
	s_waitcnt vmcnt(0)
	ds_write_b128 v9, v[2:5]
	s_waitcnt lgkmcnt(0)
	; wave barrier
	s_waitcnt lgkmcnt(0)
	s_and_saveexec_b64 s[4:5], s[2:3]
	s_cbranch_execz .LBB62_817
; %bb.804:
	ds_read_b128 v[2:5], v9
	s_andn2_b64 vcc, exec, s[6:7]
	s_cbranch_vccnz .LBB62_806
; %bb.805:
	scratch_load_dwordx4 v[198:201], v8, off
	s_waitcnt vmcnt(0) lgkmcnt(0)
	v_mul_f64 v[64:65], v[2:3], v[200:201]
	v_mul_f64 v[6:7], v[4:5], v[200:201]
	v_fmac_f64_e32 v[64:65], v[4:5], v[198:199]
	v_fma_f64 v[2:3], v[2:3], v[198:199], -v[6:7]
	v_mov_b64_e32 v[4:5], v[64:65]
.LBB62_806:
	s_and_saveexec_b64 s[8:9], s[0:1]
	s_cbranch_execz .LBB62_816
; %bb.807:
	v_add_u32_e32 v7, -5, v0
	v_add_u32_e32 v6, -4, v0
	v_cmp_lt_u32_e32 vcc, 6, v7
	v_mov_b32_e32 v199, 4
	s_and_saveexec_b64 s[0:1], vcc
	s_cbranch_execz .LBB62_811
; %bb.808:
	v_and_b32_e32 v7, -8, v6
	s_mov_b32 s12, 0
	s_mov_b64 s[10:11], 0
	v_mov_b32_e32 v198, 0
	s_mov_b32 s13, 0
.LBB62_809:                             ; =>This Inner Loop Header: Depth=1
	v_readfirstlane_b32 s14, v198
	s_add_i32 s14, s14, s12
	s_add_i32 s15, s14, 64
	v_mov_b32_e32 v199, s12
	ds_read_b128 v[200:203], v199 offset:1072
	ds_read_b128 v[204:207], v199 offset:1088
	;; [unrolled: 1-line block ×4, first 2 shown]
	scratch_load_dwordx4 v[216:219], off, s15
	s_add_i32 s15, s14, 0x50
	s_addk_i32 s12, 0x80
	s_waitcnt vmcnt(0) lgkmcnt(3)
	v_mul_f64 v[64:65], v[202:203], v[218:219]
	v_fma_f64 v[64:65], v[200:201], v[216:217], -v[64:65]
	v_mul_f64 v[200:201], v[200:201], v[218:219]
	v_fmac_f64_e32 v[200:201], v[202:203], v[216:217]
	v_add_f64 v[64:65], v[2:3], v[64:65]
	v_add_f64 v[200:201], v[4:5], v[200:201]
	scratch_load_dwordx4 v[2:5], off, s15
	s_add_i32 s15, s14, 0x60
	s_waitcnt vmcnt(0) lgkmcnt(2)
	v_mul_f64 v[202:203], v[206:207], v[4:5]
	v_mul_f64 v[4:5], v[204:205], v[4:5]
	v_fmac_f64_e32 v[4:5], v[206:207], v[2:3]
	v_fma_f64 v[202:203], v[204:205], v[2:3], -v[202:203]
	v_add_f64 v[200:201], v[200:201], v[4:5]
	scratch_load_dwordx4 v[2:5], off, s15
	v_add_f64 v[64:65], v[64:65], v[202:203]
	s_add_i32 s15, s14, 0x70
	s_waitcnt vmcnt(0) lgkmcnt(1)
	v_mul_f64 v[202:203], v[210:211], v[4:5]
	v_mul_f64 v[4:5], v[208:209], v[4:5]
	v_fmac_f64_e32 v[4:5], v[210:211], v[2:3]
	v_fma_f64 v[202:203], v[208:209], v[2:3], -v[202:203]
	v_add_f64 v[200:201], v[200:201], v[4:5]
	scratch_load_dwordx4 v[2:5], off, s15
	v_add_f64 v[64:65], v[64:65], v[202:203]
	s_add_i32 s15, s14, 0x80
	s_waitcnt vmcnt(0) lgkmcnt(0)
	v_mul_f64 v[202:203], v[214:215], v[4:5]
	v_mul_f64 v[4:5], v[212:213], v[4:5]
	v_fma_f64 v[202:203], v[212:213], v[2:3], -v[202:203]
	v_fmac_f64_e32 v[4:5], v[214:215], v[2:3]
	v_add_f64 v[64:65], v[64:65], v[202:203]
	v_add_f64 v[204:205], v[200:201], v[4:5]
	scratch_load_dwordx4 v[200:203], off, s15
	ds_read_b128 v[2:5], v199 offset:1136
	s_add_i32 s15, s14, 0x90
	s_waitcnt vmcnt(0) lgkmcnt(0)
	v_mul_f64 v[206:207], v[4:5], v[202:203]
	v_fma_f64 v[206:207], v[2:3], v[200:201], -v[206:207]
	v_mul_f64 v[2:3], v[2:3], v[202:203]
	v_fmac_f64_e32 v[2:3], v[4:5], v[200:201]
	scratch_load_dwordx4 v[200:203], off, s15
	v_add_f64 v[204:205], v[204:205], v[2:3]
	ds_read_b128 v[2:5], v199 offset:1152
	v_add_f64 v[64:65], v[64:65], v[206:207]
	s_add_i32 s15, s14, 0xa0
	s_addk_i32 s14, 0xb0
	s_waitcnt vmcnt(0) lgkmcnt(0)
	v_mul_f64 v[206:207], v[4:5], v[202:203]
	v_fma_f64 v[206:207], v[2:3], v[200:201], -v[206:207]
	v_mul_f64 v[2:3], v[2:3], v[202:203]
	v_fmac_f64_e32 v[2:3], v[4:5], v[200:201]
	scratch_load_dwordx4 v[200:203], off, s15
	v_add_f64 v[204:205], v[204:205], v[2:3]
	ds_read_b128 v[2:5], v199 offset:1168
	v_add_f64 v[64:65], v[64:65], v[206:207]
	s_waitcnt vmcnt(0) lgkmcnt(0)
	v_mul_f64 v[206:207], v[4:5], v[202:203]
	v_fma_f64 v[206:207], v[2:3], v[200:201], -v[206:207]
	v_mul_f64 v[2:3], v[2:3], v[202:203]
	v_fmac_f64_e32 v[2:3], v[4:5], v[200:201]
	scratch_load_dwordx4 v[200:203], off, s14
	v_add_f64 v[204:205], v[204:205], v[2:3]
	ds_read_b128 v[2:5], v199 offset:1184
	v_add_f64 v[64:65], v[64:65], v[206:207]
	s_add_i32 s14, s13, 8
	v_cmp_eq_u32_e32 vcc, s14, v7
	s_add_i32 s13, s13, 12
	s_or_b64 s[10:11], vcc, s[10:11]
	v_mov_b32_e32 v199, s13
	s_mov_b32 s13, s14
	s_waitcnt vmcnt(0) lgkmcnt(0)
	v_mul_f64 v[206:207], v[4:5], v[202:203]
	v_mul_f64 v[202:203], v[2:3], v[202:203]
	v_fma_f64 v[206:207], v[2:3], v[200:201], -v[206:207]
	v_fmac_f64_e32 v[202:203], v[4:5], v[200:201]
	v_add_f64 v[2:3], v[64:65], v[206:207]
	v_add_f64 v[4:5], v[204:205], v[202:203]
	s_andn2_b64 exec, exec, s[10:11]
	s_cbranch_execnz .LBB62_809
; %bb.810:
	s_or_b64 exec, exec, s[10:11]
.LBB62_811:
	s_or_b64 exec, exec, s[0:1]
	v_and_b32_e32 v6, 7, v6
	v_cmp_ne_u32_e32 vcc, 0, v6
	s_and_saveexec_b64 s[0:1], vcc
	s_cbranch_execz .LBB62_815
; %bb.812:
	v_lshlrev_b32_e32 v64, 4, v199
	v_add_u32_e32 v7, 0x3f0, v64
	v_add_u32_e32 v198, 0, v64
	s_mov_b64 s[10:11], 0
.LBB62_813:                             ; =>This Inner Loop Header: Depth=1
	scratch_load_dwordx4 v[200:203], v198, off
	ds_read_b128 v[204:207], v7
	v_add_u32_e32 v6, -1, v6
	v_cmp_eq_u32_e32 vcc, 0, v6
	v_add_u32_e32 v7, 16, v7
	v_add_u32_e32 v198, 16, v198
	s_or_b64 s[10:11], vcc, s[10:11]
	s_waitcnt vmcnt(0) lgkmcnt(0)
	v_mul_f64 v[64:65], v[206:207], v[202:203]
	v_mul_f64 v[202:203], v[204:205], v[202:203]
	v_fma_f64 v[64:65], v[204:205], v[200:201], -v[64:65]
	v_fmac_f64_e32 v[202:203], v[206:207], v[200:201]
	v_add_f64 v[2:3], v[2:3], v[64:65]
	v_add_f64 v[4:5], v[4:5], v[202:203]
	s_andn2_b64 exec, exec, s[10:11]
	s_cbranch_execnz .LBB62_813
; %bb.814:
	s_or_b64 exec, exec, s[10:11]
.LBB62_815:
	s_or_b64 exec, exec, s[0:1]
.LBB62_816:
	s_or_b64 exec, exec, s[8:9]
	v_mov_b32_e32 v6, 0
	ds_read_b128 v[198:201], v6 offset:48
	s_waitcnt lgkmcnt(0)
	v_mul_f64 v[6:7], v[4:5], v[200:201]
	v_mul_f64 v[202:203], v[2:3], v[200:201]
	v_fma_f64 v[200:201], v[2:3], v[198:199], -v[6:7]
	v_fmac_f64_e32 v[202:203], v[4:5], v[198:199]
	scratch_store_dwordx4 off, v[200:203], off offset:48
.LBB62_817:
	s_or_b64 exec, exec, s[4:5]
	scratch_load_dwordx4 v[2:5], v196, off
	v_cmp_lt_u32_e64 s[4:5], 2, v0
	s_waitcnt vmcnt(0)
	ds_write_b128 v9, v[2:5]
	s_waitcnt lgkmcnt(0)
	; wave barrier
	s_waitcnt lgkmcnt(0)
	s_and_saveexec_b64 s[0:1], s[4:5]
	s_cbranch_execz .LBB62_831
; %bb.818:
	ds_read_b128 v[2:5], v9
	s_andn2_b64 vcc, exec, s[6:7]
	s_cbranch_vccnz .LBB62_820
; %bb.819:
	scratch_load_dwordx4 v[198:201], v8, off
	s_waitcnt vmcnt(0) lgkmcnt(0)
	v_mul_f64 v[64:65], v[2:3], v[200:201]
	v_mul_f64 v[6:7], v[4:5], v[200:201]
	v_fmac_f64_e32 v[64:65], v[4:5], v[198:199]
	v_fma_f64 v[2:3], v[2:3], v[198:199], -v[6:7]
	v_mov_b64_e32 v[4:5], v[64:65]
.LBB62_820:
	s_and_saveexec_b64 s[8:9], s[2:3]
	s_cbranch_execz .LBB62_830
; %bb.821:
	v_add_u32_e32 v7, -4, v0
	v_add_u32_e32 v6, -3, v0
	v_cmp_lt_u32_e32 vcc, 6, v7
	v_mov_b32_e32 v199, 3
	s_and_saveexec_b64 s[2:3], vcc
	s_cbranch_execz .LBB62_825
; %bb.822:
	v_and_b32_e32 v7, -8, v6
	s_mov_b32 s12, 0
	s_mov_b64 s[10:11], 0
	v_mov_b32_e32 v198, 0
	s_mov_b32 s13, 0
.LBB62_823:                             ; =>This Inner Loop Header: Depth=1
	v_readfirstlane_b32 s14, v198
	s_add_i32 s14, s14, s12
	s_add_i32 s15, s14, 48
	v_mov_b32_e32 v199, s12
	ds_read_b128 v[200:203], v199 offset:1056
	ds_read_b128 v[204:207], v199 offset:1072
	;; [unrolled: 1-line block ×4, first 2 shown]
	scratch_load_dwordx4 v[216:219], off, s15
	s_add_i32 s15, s14, 64
	s_addk_i32 s12, 0x80
	s_waitcnt vmcnt(0) lgkmcnt(3)
	v_mul_f64 v[64:65], v[202:203], v[218:219]
	v_fma_f64 v[64:65], v[200:201], v[216:217], -v[64:65]
	v_mul_f64 v[200:201], v[200:201], v[218:219]
	v_fmac_f64_e32 v[200:201], v[202:203], v[216:217]
	v_add_f64 v[64:65], v[2:3], v[64:65]
	v_add_f64 v[200:201], v[4:5], v[200:201]
	scratch_load_dwordx4 v[2:5], off, s15
	s_add_i32 s15, s14, 0x50
	s_waitcnt vmcnt(0) lgkmcnt(2)
	v_mul_f64 v[202:203], v[206:207], v[4:5]
	v_mul_f64 v[4:5], v[204:205], v[4:5]
	v_fmac_f64_e32 v[4:5], v[206:207], v[2:3]
	v_fma_f64 v[202:203], v[204:205], v[2:3], -v[202:203]
	v_add_f64 v[200:201], v[200:201], v[4:5]
	scratch_load_dwordx4 v[2:5], off, s15
	v_add_f64 v[64:65], v[64:65], v[202:203]
	s_add_i32 s15, s14, 0x60
	s_waitcnt vmcnt(0) lgkmcnt(1)
	v_mul_f64 v[202:203], v[210:211], v[4:5]
	v_mul_f64 v[4:5], v[208:209], v[4:5]
	v_fmac_f64_e32 v[4:5], v[210:211], v[2:3]
	v_fma_f64 v[202:203], v[208:209], v[2:3], -v[202:203]
	v_add_f64 v[200:201], v[200:201], v[4:5]
	scratch_load_dwordx4 v[2:5], off, s15
	v_add_f64 v[64:65], v[64:65], v[202:203]
	s_add_i32 s15, s14, 0x70
	s_waitcnt vmcnt(0) lgkmcnt(0)
	v_mul_f64 v[202:203], v[214:215], v[4:5]
	v_mul_f64 v[4:5], v[212:213], v[4:5]
	v_fma_f64 v[202:203], v[212:213], v[2:3], -v[202:203]
	v_fmac_f64_e32 v[4:5], v[214:215], v[2:3]
	v_add_f64 v[64:65], v[64:65], v[202:203]
	v_add_f64 v[204:205], v[200:201], v[4:5]
	scratch_load_dwordx4 v[200:203], off, s15
	ds_read_b128 v[2:5], v199 offset:1120
	s_add_i32 s15, s14, 0x80
	s_waitcnt vmcnt(0) lgkmcnt(0)
	v_mul_f64 v[206:207], v[4:5], v[202:203]
	v_fma_f64 v[206:207], v[2:3], v[200:201], -v[206:207]
	v_mul_f64 v[2:3], v[2:3], v[202:203]
	v_fmac_f64_e32 v[2:3], v[4:5], v[200:201]
	scratch_load_dwordx4 v[200:203], off, s15
	v_add_f64 v[204:205], v[204:205], v[2:3]
	ds_read_b128 v[2:5], v199 offset:1136
	v_add_f64 v[64:65], v[64:65], v[206:207]
	s_add_i32 s15, s14, 0x90
	s_addk_i32 s14, 0xa0
	s_waitcnt vmcnt(0) lgkmcnt(0)
	v_mul_f64 v[206:207], v[4:5], v[202:203]
	v_fma_f64 v[206:207], v[2:3], v[200:201], -v[206:207]
	v_mul_f64 v[2:3], v[2:3], v[202:203]
	v_fmac_f64_e32 v[2:3], v[4:5], v[200:201]
	scratch_load_dwordx4 v[200:203], off, s15
	v_add_f64 v[204:205], v[204:205], v[2:3]
	ds_read_b128 v[2:5], v199 offset:1152
	v_add_f64 v[64:65], v[64:65], v[206:207]
	s_waitcnt vmcnt(0) lgkmcnt(0)
	v_mul_f64 v[206:207], v[4:5], v[202:203]
	v_fma_f64 v[206:207], v[2:3], v[200:201], -v[206:207]
	v_mul_f64 v[2:3], v[2:3], v[202:203]
	v_fmac_f64_e32 v[2:3], v[4:5], v[200:201]
	scratch_load_dwordx4 v[200:203], off, s14
	v_add_f64 v[204:205], v[204:205], v[2:3]
	ds_read_b128 v[2:5], v199 offset:1168
	v_add_f64 v[64:65], v[64:65], v[206:207]
	s_add_i32 s14, s13, 8
	v_cmp_eq_u32_e32 vcc, s14, v7
	s_add_i32 s13, s13, 11
	s_or_b64 s[10:11], vcc, s[10:11]
	v_mov_b32_e32 v199, s13
	s_mov_b32 s13, s14
	s_waitcnt vmcnt(0) lgkmcnt(0)
	v_mul_f64 v[206:207], v[4:5], v[202:203]
	v_mul_f64 v[202:203], v[2:3], v[202:203]
	v_fma_f64 v[206:207], v[2:3], v[200:201], -v[206:207]
	v_fmac_f64_e32 v[202:203], v[4:5], v[200:201]
	v_add_f64 v[2:3], v[64:65], v[206:207]
	v_add_f64 v[4:5], v[204:205], v[202:203]
	s_andn2_b64 exec, exec, s[10:11]
	s_cbranch_execnz .LBB62_823
; %bb.824:
	s_or_b64 exec, exec, s[10:11]
.LBB62_825:
	s_or_b64 exec, exec, s[2:3]
	v_and_b32_e32 v6, 7, v6
	v_cmp_ne_u32_e32 vcc, 0, v6
	s_and_saveexec_b64 s[2:3], vcc
	s_cbranch_execz .LBB62_829
; %bb.826:
	v_lshlrev_b32_e32 v64, 4, v199
	v_add_u32_e32 v7, 0x3f0, v64
	v_add_u32_e32 v198, 0, v64
	s_mov_b64 s[10:11], 0
.LBB62_827:                             ; =>This Inner Loop Header: Depth=1
	scratch_load_dwordx4 v[200:203], v198, off
	ds_read_b128 v[204:207], v7
	v_add_u32_e32 v6, -1, v6
	v_cmp_eq_u32_e32 vcc, 0, v6
	v_add_u32_e32 v7, 16, v7
	v_add_u32_e32 v198, 16, v198
	s_or_b64 s[10:11], vcc, s[10:11]
	s_waitcnt vmcnt(0) lgkmcnt(0)
	v_mul_f64 v[64:65], v[206:207], v[202:203]
	v_mul_f64 v[202:203], v[204:205], v[202:203]
	v_fma_f64 v[64:65], v[204:205], v[200:201], -v[64:65]
	v_fmac_f64_e32 v[202:203], v[206:207], v[200:201]
	v_add_f64 v[2:3], v[2:3], v[64:65]
	v_add_f64 v[4:5], v[4:5], v[202:203]
	s_andn2_b64 exec, exec, s[10:11]
	s_cbranch_execnz .LBB62_827
; %bb.828:
	s_or_b64 exec, exec, s[10:11]
.LBB62_829:
	s_or_b64 exec, exec, s[2:3]
.LBB62_830:
	s_or_b64 exec, exec, s[8:9]
	v_mov_b32_e32 v6, 0
	ds_read_b128 v[198:201], v6 offset:32
	s_waitcnt lgkmcnt(0)
	v_mul_f64 v[6:7], v[4:5], v[200:201]
	v_mul_f64 v[202:203], v[2:3], v[200:201]
	v_fma_f64 v[200:201], v[2:3], v[198:199], -v[6:7]
	v_fmac_f64_e32 v[202:203], v[4:5], v[198:199]
	scratch_store_dwordx4 off, v[200:203], off offset:32
.LBB62_831:
	s_or_b64 exec, exec, s[0:1]
	scratch_load_dwordx4 v[2:5], v197, off
	v_cmp_lt_u32_e64 s[0:1], 1, v0
	s_waitcnt vmcnt(0)
	ds_write_b128 v9, v[2:5]
	s_waitcnt lgkmcnt(0)
	; wave barrier
	s_waitcnt lgkmcnt(0)
	s_and_saveexec_b64 s[2:3], s[0:1]
	s_cbranch_execz .LBB62_845
; %bb.832:
	ds_read_b128 v[2:5], v9
	s_andn2_b64 vcc, exec, s[6:7]
	s_cbranch_vccnz .LBB62_834
; %bb.833:
	scratch_load_dwordx4 v[198:201], v8, off
	s_waitcnt vmcnt(0) lgkmcnt(0)
	v_mul_f64 v[64:65], v[2:3], v[200:201]
	v_mul_f64 v[6:7], v[4:5], v[200:201]
	v_fmac_f64_e32 v[64:65], v[4:5], v[198:199]
	v_fma_f64 v[2:3], v[2:3], v[198:199], -v[6:7]
	v_mov_b64_e32 v[4:5], v[64:65]
.LBB62_834:
	s_and_saveexec_b64 s[8:9], s[4:5]
	s_cbranch_execz .LBB62_844
; %bb.835:
	v_add_u32_e32 v7, -3, v0
	v_add_u32_e32 v6, -2, v0
	v_cmp_lt_u32_e32 vcc, 6, v7
	v_mov_b32_e32 v199, 2
	s_and_saveexec_b64 s[4:5], vcc
	s_cbranch_execz .LBB62_839
; %bb.836:
	v_and_b32_e32 v7, -8, v6
	s_mov_b32 s12, 0
	s_mov_b64 s[10:11], 0
	v_mov_b32_e32 v198, 0
	s_mov_b32 s13, 0
.LBB62_837:                             ; =>This Inner Loop Header: Depth=1
	v_readfirstlane_b32 s14, v198
	s_add_i32 s14, s14, s12
	s_add_i32 s15, s14, 32
	v_mov_b32_e32 v199, s12
	ds_read_b128 v[200:203], v199 offset:1040
	ds_read_b128 v[204:207], v199 offset:1056
	;; [unrolled: 1-line block ×4, first 2 shown]
	scratch_load_dwordx4 v[216:219], off, s15
	s_add_i32 s15, s14, 48
	s_addk_i32 s12, 0x80
	s_waitcnt vmcnt(0) lgkmcnt(3)
	v_mul_f64 v[64:65], v[202:203], v[218:219]
	v_fma_f64 v[64:65], v[200:201], v[216:217], -v[64:65]
	v_mul_f64 v[200:201], v[200:201], v[218:219]
	v_fmac_f64_e32 v[200:201], v[202:203], v[216:217]
	v_add_f64 v[64:65], v[2:3], v[64:65]
	v_add_f64 v[200:201], v[4:5], v[200:201]
	scratch_load_dwordx4 v[2:5], off, s15
	s_add_i32 s15, s14, 64
	s_waitcnt vmcnt(0) lgkmcnt(2)
	v_mul_f64 v[202:203], v[206:207], v[4:5]
	v_mul_f64 v[4:5], v[204:205], v[4:5]
	v_fmac_f64_e32 v[4:5], v[206:207], v[2:3]
	v_fma_f64 v[202:203], v[204:205], v[2:3], -v[202:203]
	v_add_f64 v[200:201], v[200:201], v[4:5]
	scratch_load_dwordx4 v[2:5], off, s15
	v_add_f64 v[64:65], v[64:65], v[202:203]
	s_add_i32 s15, s14, 0x50
	s_waitcnt vmcnt(0) lgkmcnt(1)
	v_mul_f64 v[202:203], v[210:211], v[4:5]
	v_mul_f64 v[4:5], v[208:209], v[4:5]
	v_fmac_f64_e32 v[4:5], v[210:211], v[2:3]
	v_fma_f64 v[202:203], v[208:209], v[2:3], -v[202:203]
	v_add_f64 v[200:201], v[200:201], v[4:5]
	scratch_load_dwordx4 v[2:5], off, s15
	v_add_f64 v[64:65], v[64:65], v[202:203]
	s_add_i32 s15, s14, 0x60
	s_waitcnt vmcnt(0) lgkmcnt(0)
	v_mul_f64 v[202:203], v[214:215], v[4:5]
	v_mul_f64 v[4:5], v[212:213], v[4:5]
	v_fma_f64 v[202:203], v[212:213], v[2:3], -v[202:203]
	v_fmac_f64_e32 v[4:5], v[214:215], v[2:3]
	v_add_f64 v[64:65], v[64:65], v[202:203]
	v_add_f64 v[204:205], v[200:201], v[4:5]
	scratch_load_dwordx4 v[200:203], off, s15
	ds_read_b128 v[2:5], v199 offset:1104
	s_add_i32 s15, s14, 0x70
	s_waitcnt vmcnt(0) lgkmcnt(0)
	v_mul_f64 v[206:207], v[4:5], v[202:203]
	v_fma_f64 v[206:207], v[2:3], v[200:201], -v[206:207]
	v_mul_f64 v[2:3], v[2:3], v[202:203]
	v_fmac_f64_e32 v[2:3], v[4:5], v[200:201]
	scratch_load_dwordx4 v[200:203], off, s15
	v_add_f64 v[204:205], v[204:205], v[2:3]
	ds_read_b128 v[2:5], v199 offset:1120
	v_add_f64 v[64:65], v[64:65], v[206:207]
	s_add_i32 s15, s14, 0x80
	s_addk_i32 s14, 0x90
	s_waitcnt vmcnt(0) lgkmcnt(0)
	v_mul_f64 v[206:207], v[4:5], v[202:203]
	v_fma_f64 v[206:207], v[2:3], v[200:201], -v[206:207]
	v_mul_f64 v[2:3], v[2:3], v[202:203]
	v_fmac_f64_e32 v[2:3], v[4:5], v[200:201]
	scratch_load_dwordx4 v[200:203], off, s15
	v_add_f64 v[204:205], v[204:205], v[2:3]
	ds_read_b128 v[2:5], v199 offset:1136
	v_add_f64 v[64:65], v[64:65], v[206:207]
	s_waitcnt vmcnt(0) lgkmcnt(0)
	v_mul_f64 v[206:207], v[4:5], v[202:203]
	v_fma_f64 v[206:207], v[2:3], v[200:201], -v[206:207]
	v_mul_f64 v[2:3], v[2:3], v[202:203]
	v_fmac_f64_e32 v[2:3], v[4:5], v[200:201]
	scratch_load_dwordx4 v[200:203], off, s14
	v_add_f64 v[204:205], v[204:205], v[2:3]
	ds_read_b128 v[2:5], v199 offset:1152
	v_add_f64 v[64:65], v[64:65], v[206:207]
	s_add_i32 s14, s13, 8
	v_cmp_eq_u32_e32 vcc, s14, v7
	s_add_i32 s13, s13, 10
	s_or_b64 s[10:11], vcc, s[10:11]
	v_mov_b32_e32 v199, s13
	s_mov_b32 s13, s14
	s_waitcnt vmcnt(0) lgkmcnt(0)
	v_mul_f64 v[206:207], v[4:5], v[202:203]
	v_mul_f64 v[202:203], v[2:3], v[202:203]
	v_fma_f64 v[206:207], v[2:3], v[200:201], -v[206:207]
	v_fmac_f64_e32 v[202:203], v[4:5], v[200:201]
	v_add_f64 v[2:3], v[64:65], v[206:207]
	v_add_f64 v[4:5], v[204:205], v[202:203]
	s_andn2_b64 exec, exec, s[10:11]
	s_cbranch_execnz .LBB62_837
; %bb.838:
	s_or_b64 exec, exec, s[10:11]
.LBB62_839:
	s_or_b64 exec, exec, s[4:5]
	v_and_b32_e32 v6, 7, v6
	v_cmp_ne_u32_e32 vcc, 0, v6
	s_and_saveexec_b64 s[4:5], vcc
	s_cbranch_execz .LBB62_843
; %bb.840:
	v_lshlrev_b32_e32 v64, 4, v199
	v_add_u32_e32 v7, 0x3f0, v64
	v_add_u32_e32 v198, 0, v64
	s_mov_b64 s[10:11], 0
.LBB62_841:                             ; =>This Inner Loop Header: Depth=1
	scratch_load_dwordx4 v[200:203], v198, off
	ds_read_b128 v[204:207], v7
	v_add_u32_e32 v6, -1, v6
	v_cmp_eq_u32_e32 vcc, 0, v6
	v_add_u32_e32 v7, 16, v7
	v_add_u32_e32 v198, 16, v198
	s_or_b64 s[10:11], vcc, s[10:11]
	s_waitcnt vmcnt(0) lgkmcnt(0)
	v_mul_f64 v[64:65], v[206:207], v[202:203]
	v_mul_f64 v[202:203], v[204:205], v[202:203]
	v_fma_f64 v[64:65], v[204:205], v[200:201], -v[64:65]
	v_fmac_f64_e32 v[202:203], v[206:207], v[200:201]
	v_add_f64 v[2:3], v[2:3], v[64:65]
	v_add_f64 v[4:5], v[4:5], v[202:203]
	s_andn2_b64 exec, exec, s[10:11]
	s_cbranch_execnz .LBB62_841
; %bb.842:
	s_or_b64 exec, exec, s[10:11]
.LBB62_843:
	s_or_b64 exec, exec, s[4:5]
.LBB62_844:
	s_or_b64 exec, exec, s[8:9]
	v_mov_b32_e32 v6, 0
	ds_read_b128 v[198:201], v6 offset:16
	s_waitcnt lgkmcnt(0)
	v_mul_f64 v[6:7], v[4:5], v[200:201]
	v_mul_f64 v[202:203], v[2:3], v[200:201]
	v_fma_f64 v[200:201], v[2:3], v[198:199], -v[6:7]
	v_fmac_f64_e32 v[202:203], v[4:5], v[198:199]
	scratch_store_dwordx4 off, v[200:203], off offset:16
.LBB62_845:
	s_or_b64 exec, exec, s[2:3]
	scratch_load_dwordx4 v[2:5], off, off
	v_cmp_ne_u32_e32 vcc, 0, v0
	s_mov_b64 s[2:3], 0
	s_mov_b64 s[10:11], 0
                                        ; implicit-def: $vgpr6_vgpr7
                                        ; implicit-def: $vgpr198
	s_waitcnt vmcnt(0)
	ds_write_b128 v9, v[2:5]
	s_waitcnt lgkmcnt(0)
	; wave barrier
	s_waitcnt lgkmcnt(0)
	s_and_saveexec_b64 s[4:5], vcc
	s_cbranch_execz .LBB62_859
; %bb.846:
	ds_read_b128 v[2:5], v9
	s_andn2_b64 vcc, exec, s[6:7]
	s_cbranch_vccnz .LBB62_848
; %bb.847:
	scratch_load_dwordx4 v[198:201], v8, off
	s_waitcnt vmcnt(0) lgkmcnt(0)
	v_mul_f64 v[64:65], v[2:3], v[200:201]
	v_mul_f64 v[6:7], v[4:5], v[200:201]
	v_fmac_f64_e32 v[64:65], v[4:5], v[198:199]
	v_fma_f64 v[2:3], v[2:3], v[198:199], -v[6:7]
	v_mov_b64_e32 v[4:5], v[64:65]
.LBB62_848:
	s_and_saveexec_b64 s[8:9], s[0:1]
	s_cbranch_execz .LBB62_858
; %bb.849:
	v_add_u32_e32 v7, -2, v0
	v_add_u32_e32 v6, -1, v0
	v_cmp_lt_u32_e32 vcc, 6, v7
	v_mov_b32_e32 v199, 1
	s_and_saveexec_b64 s[0:1], vcc
	s_cbranch_execz .LBB62_853
; %bb.850:
	v_and_b32_e32 v7, -8, v6
	s_mov_b32 s12, 0
	v_mov_b32_e32 v198, 0
	s_mov_b32 s13, 0
.LBB62_851:                             ; =>This Inner Loop Header: Depth=1
	v_readfirstlane_b32 s14, v198
	s_add_i32 s14, s14, s12
	s_add_i32 s15, s14, 16
	v_mov_b32_e32 v199, s12
	ds_read_b128 v[200:203], v199 offset:1024
	ds_read_b128 v[204:207], v199 offset:1040
	;; [unrolled: 1-line block ×4, first 2 shown]
	scratch_load_dwordx4 v[216:219], off, s15
	s_add_i32 s15, s14, 32
	s_addk_i32 s12, 0x80
	s_waitcnt vmcnt(0) lgkmcnt(3)
	v_mul_f64 v[64:65], v[202:203], v[218:219]
	v_fma_f64 v[64:65], v[200:201], v[216:217], -v[64:65]
	v_mul_f64 v[200:201], v[200:201], v[218:219]
	v_fmac_f64_e32 v[200:201], v[202:203], v[216:217]
	v_add_f64 v[64:65], v[2:3], v[64:65]
	v_add_f64 v[200:201], v[4:5], v[200:201]
	scratch_load_dwordx4 v[2:5], off, s15
	s_add_i32 s15, s14, 48
	s_waitcnt vmcnt(0) lgkmcnt(2)
	v_mul_f64 v[202:203], v[206:207], v[4:5]
	v_mul_f64 v[4:5], v[204:205], v[4:5]
	v_fmac_f64_e32 v[4:5], v[206:207], v[2:3]
	v_fma_f64 v[202:203], v[204:205], v[2:3], -v[202:203]
	v_add_f64 v[200:201], v[200:201], v[4:5]
	scratch_load_dwordx4 v[2:5], off, s15
	v_add_f64 v[64:65], v[64:65], v[202:203]
	s_add_i32 s15, s14, 64
	s_waitcnt vmcnt(0) lgkmcnt(1)
	v_mul_f64 v[202:203], v[210:211], v[4:5]
	v_mul_f64 v[4:5], v[208:209], v[4:5]
	v_fmac_f64_e32 v[4:5], v[210:211], v[2:3]
	v_fma_f64 v[202:203], v[208:209], v[2:3], -v[202:203]
	v_add_f64 v[200:201], v[200:201], v[4:5]
	scratch_load_dwordx4 v[2:5], off, s15
	v_add_f64 v[64:65], v[64:65], v[202:203]
	s_add_i32 s15, s14, 0x50
	s_waitcnt vmcnt(0) lgkmcnt(0)
	v_mul_f64 v[202:203], v[214:215], v[4:5]
	v_mul_f64 v[4:5], v[212:213], v[4:5]
	v_fma_f64 v[202:203], v[212:213], v[2:3], -v[202:203]
	v_fmac_f64_e32 v[4:5], v[214:215], v[2:3]
	v_add_f64 v[64:65], v[64:65], v[202:203]
	v_add_f64 v[204:205], v[200:201], v[4:5]
	scratch_load_dwordx4 v[200:203], off, s15
	ds_read_b128 v[2:5], v199 offset:1088
	s_add_i32 s15, s14, 0x60
	s_waitcnt vmcnt(0) lgkmcnt(0)
	v_mul_f64 v[206:207], v[4:5], v[202:203]
	v_fma_f64 v[206:207], v[2:3], v[200:201], -v[206:207]
	v_mul_f64 v[2:3], v[2:3], v[202:203]
	v_fmac_f64_e32 v[2:3], v[4:5], v[200:201]
	scratch_load_dwordx4 v[200:203], off, s15
	v_add_f64 v[204:205], v[204:205], v[2:3]
	ds_read_b128 v[2:5], v199 offset:1104
	v_add_f64 v[64:65], v[64:65], v[206:207]
	s_add_i32 s15, s14, 0x70
	s_addk_i32 s14, 0x80
	s_waitcnt vmcnt(0) lgkmcnt(0)
	v_mul_f64 v[206:207], v[4:5], v[202:203]
	v_fma_f64 v[206:207], v[2:3], v[200:201], -v[206:207]
	v_mul_f64 v[2:3], v[2:3], v[202:203]
	v_fmac_f64_e32 v[2:3], v[4:5], v[200:201]
	scratch_load_dwordx4 v[200:203], off, s15
	v_add_f64 v[204:205], v[204:205], v[2:3]
	ds_read_b128 v[2:5], v199 offset:1120
	v_add_f64 v[64:65], v[64:65], v[206:207]
	s_waitcnt vmcnt(0) lgkmcnt(0)
	v_mul_f64 v[206:207], v[4:5], v[202:203]
	v_fma_f64 v[206:207], v[2:3], v[200:201], -v[206:207]
	v_mul_f64 v[2:3], v[2:3], v[202:203]
	v_fmac_f64_e32 v[2:3], v[4:5], v[200:201]
	scratch_load_dwordx4 v[200:203], off, s14
	v_add_f64 v[204:205], v[204:205], v[2:3]
	ds_read_b128 v[2:5], v199 offset:1136
	v_add_f64 v[64:65], v[64:65], v[206:207]
	s_add_i32 s14, s13, 8
	v_cmp_eq_u32_e32 vcc, s14, v7
	s_add_i32 s13, s13, 9
	s_or_b64 s[10:11], vcc, s[10:11]
	v_mov_b32_e32 v199, s13
	s_mov_b32 s13, s14
	s_waitcnt vmcnt(0) lgkmcnt(0)
	v_mul_f64 v[206:207], v[4:5], v[202:203]
	v_mul_f64 v[202:203], v[2:3], v[202:203]
	v_fma_f64 v[206:207], v[2:3], v[200:201], -v[206:207]
	v_fmac_f64_e32 v[202:203], v[4:5], v[200:201]
	v_add_f64 v[2:3], v[64:65], v[206:207]
	v_add_f64 v[4:5], v[204:205], v[202:203]
	s_andn2_b64 exec, exec, s[10:11]
	s_cbranch_execnz .LBB62_851
; %bb.852:
	s_or_b64 exec, exec, s[10:11]
.LBB62_853:
	s_or_b64 exec, exec, s[0:1]
	v_and_b32_e32 v6, 7, v6
	v_cmp_ne_u32_e32 vcc, 0, v6
	s_and_saveexec_b64 s[0:1], vcc
	s_cbranch_execz .LBB62_857
; %bb.854:
	v_lshlrev_b32_e32 v64, 4, v199
	v_add_u32_e32 v7, 0x3f0, v64
	v_add_u32_e32 v198, 0, v64
	s_mov_b64 s[10:11], 0
.LBB62_855:                             ; =>This Inner Loop Header: Depth=1
	scratch_load_dwordx4 v[200:203], v198, off
	ds_read_b128 v[204:207], v7
	v_add_u32_e32 v6, -1, v6
	v_cmp_eq_u32_e32 vcc, 0, v6
	v_add_u32_e32 v7, 16, v7
	v_add_u32_e32 v198, 16, v198
	s_or_b64 s[10:11], vcc, s[10:11]
	s_waitcnt vmcnt(0) lgkmcnt(0)
	v_mul_f64 v[64:65], v[206:207], v[202:203]
	v_mul_f64 v[202:203], v[204:205], v[202:203]
	v_fma_f64 v[64:65], v[204:205], v[200:201], -v[64:65]
	v_fmac_f64_e32 v[202:203], v[206:207], v[200:201]
	v_add_f64 v[2:3], v[2:3], v[64:65]
	v_add_f64 v[4:5], v[4:5], v[202:203]
	s_andn2_b64 exec, exec, s[10:11]
	s_cbranch_execnz .LBB62_855
; %bb.856:
	s_or_b64 exec, exec, s[10:11]
.LBB62_857:
	s_or_b64 exec, exec, s[0:1]
.LBB62_858:
	s_or_b64 exec, exec, s[8:9]
	v_mov_b32_e32 v6, 0
	ds_read_b128 v[200:203], v6
	v_mov_b32_e32 v6, 0
	v_or_b32_e32 v198, 8, v6
	s_mov_b64 s[10:11], exec
	s_waitcnt lgkmcnt(0)
	v_mul_f64 v[64:65], v[4:5], v[202:203]
	v_mul_f64 v[6:7], v[2:3], v[202:203]
	v_fma_f64 v[2:3], v[2:3], v[200:201], -v[64:65]
	v_fmac_f64_e32 v[6:7], v[4:5], v[200:201]
	scratch_store_dwordx2 off, v[2:3], off
.LBB62_859:
	s_or_b64 exec, exec, s[4:5]
	s_and_b64 vcc, exec, s[2:3]
	s_cbranch_vccnz .LBB62_861
	s_branch .LBB62_1364
.LBB62_860:
	s_mov_b64 s[10:11], 0
                                        ; implicit-def: $vgpr6_vgpr7
                                        ; implicit-def: $vgpr198
	s_cbranch_execz .LBB62_1364
.LBB62_861:
	scratch_load_dwordx4 v[2:5], v197, off
	v_cndmask_b32_e64 v6, 0, 1, s[6:7]
	v_cmp_eq_u32_e64 s[2:3], 0, v0
	v_cmp_ne_u32_e64 s[0:1], 1, v6
	s_waitcnt vmcnt(0)
	ds_write_b128 v9, v[2:5]
	s_waitcnt lgkmcnt(0)
	; wave barrier
	s_waitcnt lgkmcnt(0)
	s_and_saveexec_b64 s[4:5], s[2:3]
	s_cbranch_execz .LBB62_865
; %bb.862:
	ds_read_b128 v[2:5], v9
	s_and_b64 vcc, exec, s[0:1]
	s_cbranch_vccnz .LBB62_864
; %bb.863:
	scratch_load_dwordx4 v[198:201], v8, off
	s_waitcnt vmcnt(0) lgkmcnt(0)
	v_mul_f64 v[64:65], v[2:3], v[200:201]
	v_mul_f64 v[6:7], v[4:5], v[200:201]
	v_fmac_f64_e32 v[64:65], v[4:5], v[198:199]
	v_fma_f64 v[2:3], v[2:3], v[198:199], -v[6:7]
	v_mov_b64_e32 v[4:5], v[64:65]
.LBB62_864:
	v_mov_b32_e32 v6, 0
	ds_read_b128 v[198:201], v6 offset:16
	s_waitcnt lgkmcnt(0)
	v_mul_f64 v[6:7], v[4:5], v[200:201]
	v_mul_f64 v[202:203], v[2:3], v[200:201]
	v_fma_f64 v[200:201], v[2:3], v[198:199], -v[6:7]
	v_fmac_f64_e32 v[202:203], v[4:5], v[198:199]
	scratch_store_dwordx4 off, v[200:203], off offset:16
.LBB62_865:
	s_or_b64 exec, exec, s[4:5]
	scratch_load_dwordx4 v[2:5], v196, off
	v_cmp_gt_u32_e32 vcc, 2, v0
	s_waitcnt vmcnt(0)
	ds_write_b128 v9, v[2:5]
	s_waitcnt lgkmcnt(0)
	; wave barrier
	s_waitcnt lgkmcnt(0)
	s_and_saveexec_b64 s[4:5], vcc
	s_cbranch_execz .LBB62_871
; %bb.866:
	ds_read_b128 v[2:5], v9
	s_and_b64 vcc, exec, s[0:1]
	s_cbranch_vccnz .LBB62_868
; %bb.867:
	scratch_load_dwordx4 v[198:201], v8, off
	s_waitcnt vmcnt(0) lgkmcnt(0)
	v_mul_f64 v[64:65], v[2:3], v[200:201]
	v_mul_f64 v[6:7], v[4:5], v[200:201]
	v_fmac_f64_e32 v[64:65], v[4:5], v[198:199]
	v_fma_f64 v[2:3], v[2:3], v[198:199], -v[6:7]
	v_mov_b64_e32 v[4:5], v[64:65]
.LBB62_868:
	s_and_saveexec_b64 s[6:7], s[2:3]
	s_cbranch_execz .LBB62_870
; %bb.869:
	scratch_load_dwordx4 v[198:201], v8, off offset:16
	ds_read_b128 v[202:205], v9 offset:16
	s_waitcnt vmcnt(0) lgkmcnt(0)
	v_mul_f64 v[6:7], v[204:205], v[200:201]
	v_mul_f64 v[64:65], v[202:203], v[200:201]
	v_fma_f64 v[6:7], v[202:203], v[198:199], -v[6:7]
	v_fmac_f64_e32 v[64:65], v[204:205], v[198:199]
	v_add_f64 v[2:3], v[2:3], v[6:7]
	v_add_f64 v[4:5], v[4:5], v[64:65]
.LBB62_870:
	s_or_b64 exec, exec, s[6:7]
	v_mov_b32_e32 v6, 0
	ds_read_b128 v[198:201], v6 offset:32
	s_waitcnt lgkmcnt(0)
	v_mul_f64 v[6:7], v[4:5], v[200:201]
	v_mul_f64 v[202:203], v[2:3], v[200:201]
	v_fma_f64 v[200:201], v[2:3], v[198:199], -v[6:7]
	v_fmac_f64_e32 v[202:203], v[4:5], v[198:199]
	scratch_store_dwordx4 off, v[200:203], off offset:32
.LBB62_871:
	s_or_b64 exec, exec, s[4:5]
	scratch_load_dwordx4 v[2:5], v195, off
	v_cmp_gt_u32_e64 s[4:5], 3, v0
	s_waitcnt vmcnt(0)
	ds_write_b128 v9, v[2:5]
	s_waitcnt lgkmcnt(0)
	; wave barrier
	s_waitcnt lgkmcnt(0)
	s_and_saveexec_b64 s[6:7], s[4:5]
	s_cbranch_execz .LBB62_879
; %bb.872:
	ds_read_b128 v[2:5], v9
	s_and_b64 vcc, exec, s[0:1]
	s_cbranch_vccnz .LBB62_874
; %bb.873:
	scratch_load_dwordx4 v[198:201], v8, off
	s_waitcnt vmcnt(0) lgkmcnt(0)
	v_mul_f64 v[64:65], v[2:3], v[200:201]
	v_mul_f64 v[6:7], v[4:5], v[200:201]
	v_fmac_f64_e32 v[64:65], v[4:5], v[198:199]
	v_fma_f64 v[2:3], v[2:3], v[198:199], -v[6:7]
	v_mov_b64_e32 v[4:5], v[64:65]
.LBB62_874:
	v_cmp_ne_u32_e32 vcc, 2, v0
	s_and_saveexec_b64 s[8:9], vcc
	s_cbranch_execz .LBB62_878
; %bb.875:
	scratch_load_dwordx4 v[198:201], v8, off offset:16
	ds_read_b128 v[202:205], v9 offset:16
	s_waitcnt vmcnt(0) lgkmcnt(0)
	v_mul_f64 v[6:7], v[204:205], v[200:201]
	v_mul_f64 v[64:65], v[202:203], v[200:201]
	v_fma_f64 v[6:7], v[202:203], v[198:199], -v[6:7]
	v_fmac_f64_e32 v[64:65], v[204:205], v[198:199]
	v_add_f64 v[2:3], v[2:3], v[6:7]
	v_add_f64 v[4:5], v[4:5], v[64:65]
	s_and_saveexec_b64 s[12:13], s[2:3]
	s_cbranch_execz .LBB62_877
; %bb.876:
	scratch_load_dwordx4 v[198:201], off, off offset:32
	v_mov_b32_e32 v6, 0
	ds_read_b128 v[202:205], v6 offset:1040
	s_waitcnt vmcnt(0) lgkmcnt(0)
	v_mul_f64 v[6:7], v[202:203], v[200:201]
	v_mul_f64 v[64:65], v[204:205], v[200:201]
	v_fmac_f64_e32 v[6:7], v[204:205], v[198:199]
	v_fma_f64 v[64:65], v[202:203], v[198:199], -v[64:65]
	v_add_f64 v[4:5], v[4:5], v[6:7]
	v_add_f64 v[2:3], v[2:3], v[64:65]
.LBB62_877:
	s_or_b64 exec, exec, s[12:13]
.LBB62_878:
	s_or_b64 exec, exec, s[8:9]
	v_mov_b32_e32 v6, 0
	ds_read_b128 v[198:201], v6 offset:48
	s_waitcnt lgkmcnt(0)
	v_mul_f64 v[6:7], v[4:5], v[200:201]
	v_mul_f64 v[202:203], v[2:3], v[200:201]
	v_fma_f64 v[200:201], v[2:3], v[198:199], -v[6:7]
	v_fmac_f64_e32 v[202:203], v[4:5], v[198:199]
	scratch_store_dwordx4 off, v[200:203], off offset:48
.LBB62_879:
	s_or_b64 exec, exec, s[6:7]
	scratch_load_dwordx4 v[2:5], v194, off
	v_cmp_gt_u32_e32 vcc, 4, v0
	s_waitcnt vmcnt(0)
	ds_write_b128 v9, v[2:5]
	s_waitcnt lgkmcnt(0)
	; wave barrier
	s_waitcnt lgkmcnt(0)
	s_and_saveexec_b64 s[6:7], vcc
	s_cbranch_execz .LBB62_887
; %bb.880:
	ds_read_b128 v[2:5], v9
	s_and_b64 vcc, exec, s[0:1]
	s_cbranch_vccnz .LBB62_882
; %bb.881:
	scratch_load_dwordx4 v[198:201], v8, off
	s_waitcnt vmcnt(0) lgkmcnt(0)
	v_mul_f64 v[64:65], v[2:3], v[200:201]
	v_mul_f64 v[6:7], v[4:5], v[200:201]
	v_fmac_f64_e32 v[64:65], v[4:5], v[198:199]
	v_fma_f64 v[2:3], v[2:3], v[198:199], -v[6:7]
	v_mov_b64_e32 v[4:5], v[64:65]
.LBB62_882:
	v_cmp_ne_u32_e32 vcc, 3, v0
	s_and_saveexec_b64 s[8:9], vcc
	s_cbranch_execz .LBB62_886
; %bb.883:
	v_mov_b32_e32 v7, 0
	v_or_b32_e32 v6, 0x400, v86
	v_add3_u32 v7, v86, v7, 24
	s_mov_b64 s[12:13], 0
	v_mov_b32_e32 v198, v0
.LBB62_884:                             ; =>This Inner Loop Header: Depth=1
	v_add_u32_e32 v64, -8, v7
	scratch_load_dwordx4 v[200:203], v64, off
	ds_read_b128 v[204:207], v6
	v_add_u32_e32 v198, 1, v198
	v_cmp_lt_u32_e32 vcc, 2, v198
	v_add_u32_e32 v6, 16, v6
	v_add_u32_e32 v7, 16, v7
	s_or_b64 s[12:13], vcc, s[12:13]
	s_waitcnt vmcnt(0) lgkmcnt(0)
	v_mul_f64 v[64:65], v[206:207], v[202:203]
	v_mul_f64 v[202:203], v[204:205], v[202:203]
	v_fma_f64 v[64:65], v[204:205], v[200:201], -v[64:65]
	v_fmac_f64_e32 v[202:203], v[206:207], v[200:201]
	v_add_f64 v[2:3], v[2:3], v[64:65]
	v_add_f64 v[4:5], v[4:5], v[202:203]
	s_andn2_b64 exec, exec, s[12:13]
	s_cbranch_execnz .LBB62_884
; %bb.885:
	s_or_b64 exec, exec, s[12:13]
.LBB62_886:
	s_or_b64 exec, exec, s[8:9]
	v_mov_b32_e32 v6, 0
	ds_read_b128 v[198:201], v6 offset:64
	s_waitcnt lgkmcnt(0)
	v_mul_f64 v[6:7], v[4:5], v[200:201]
	v_mul_f64 v[202:203], v[2:3], v[200:201]
	v_fma_f64 v[200:201], v[2:3], v[198:199], -v[6:7]
	v_fmac_f64_e32 v[202:203], v[4:5], v[198:199]
	scratch_store_dwordx4 off, v[200:203], off offset:64
.LBB62_887:
	s_or_b64 exec, exec, s[6:7]
	scratch_load_dwordx4 v[2:5], v193, off
	v_cmp_gt_u32_e64 s[6:7], 5, v0
	s_waitcnt vmcnt(0)
	ds_write_b128 v9, v[2:5]
	s_waitcnt lgkmcnt(0)
	; wave barrier
	s_waitcnt lgkmcnt(0)
	s_and_saveexec_b64 s[8:9], s[6:7]
	s_cbranch_execz .LBB62_895
; %bb.888:
	ds_read_b128 v[2:5], v9
	s_and_b64 vcc, exec, s[0:1]
	s_cbranch_vccnz .LBB62_890
; %bb.889:
	scratch_load_dwordx4 v[198:201], v8, off
	s_waitcnt vmcnt(0) lgkmcnt(0)
	v_mul_f64 v[64:65], v[2:3], v[200:201]
	v_mul_f64 v[6:7], v[4:5], v[200:201]
	v_fmac_f64_e32 v[64:65], v[4:5], v[198:199]
	v_fma_f64 v[2:3], v[2:3], v[198:199], -v[6:7]
	v_mov_b64_e32 v[4:5], v[64:65]
.LBB62_890:
	v_cmp_ne_u32_e32 vcc, 4, v0
	s_and_saveexec_b64 s[12:13], vcc
	s_cbranch_execz .LBB62_894
; %bb.891:
	v_mov_b32_e32 v7, 0
	v_or_b32_e32 v6, 0x400, v86
	v_add3_u32 v7, v86, v7, 24
	s_mov_b64 s[14:15], 0
	v_mov_b32_e32 v198, v0
.LBB62_892:                             ; =>This Inner Loop Header: Depth=1
	v_add_u32_e32 v64, -8, v7
	scratch_load_dwordx4 v[200:203], v64, off
	ds_read_b128 v[204:207], v6
	v_add_u32_e32 v198, 1, v198
	v_cmp_lt_u32_e32 vcc, 3, v198
	v_add_u32_e32 v6, 16, v6
	v_add_u32_e32 v7, 16, v7
	s_or_b64 s[14:15], vcc, s[14:15]
	s_waitcnt vmcnt(0) lgkmcnt(0)
	v_mul_f64 v[64:65], v[206:207], v[202:203]
	v_mul_f64 v[202:203], v[204:205], v[202:203]
	v_fma_f64 v[64:65], v[204:205], v[200:201], -v[64:65]
	v_fmac_f64_e32 v[202:203], v[206:207], v[200:201]
	v_add_f64 v[2:3], v[2:3], v[64:65]
	v_add_f64 v[4:5], v[4:5], v[202:203]
	s_andn2_b64 exec, exec, s[14:15]
	s_cbranch_execnz .LBB62_892
; %bb.893:
	s_or_b64 exec, exec, s[14:15]
.LBB62_894:
	s_or_b64 exec, exec, s[12:13]
	v_mov_b32_e32 v6, 0
	ds_read_b128 v[198:201], v6 offset:80
	s_waitcnt lgkmcnt(0)
	v_mul_f64 v[6:7], v[4:5], v[200:201]
	v_mul_f64 v[202:203], v[2:3], v[200:201]
	v_fma_f64 v[200:201], v[2:3], v[198:199], -v[6:7]
	v_fmac_f64_e32 v[202:203], v[4:5], v[198:199]
	scratch_store_dwordx4 off, v[200:203], off offset:80
.LBB62_895:
	s_or_b64 exec, exec, s[8:9]
	scratch_load_dwordx4 v[2:5], v192, off
	v_cmp_gt_u32_e32 vcc, 6, v0
	s_waitcnt vmcnt(0)
	ds_write_b128 v9, v[2:5]
	s_waitcnt lgkmcnt(0)
	; wave barrier
	s_waitcnt lgkmcnt(0)
	s_and_saveexec_b64 s[8:9], vcc
	s_cbranch_execz .LBB62_903
; %bb.896:
	ds_read_b128 v[2:5], v9
	s_and_b64 vcc, exec, s[0:1]
	s_cbranch_vccnz .LBB62_898
; %bb.897:
	scratch_load_dwordx4 v[198:201], v8, off
	s_waitcnt vmcnt(0) lgkmcnt(0)
	v_mul_f64 v[64:65], v[2:3], v[200:201]
	v_mul_f64 v[6:7], v[4:5], v[200:201]
	v_fmac_f64_e32 v[64:65], v[4:5], v[198:199]
	v_fma_f64 v[2:3], v[2:3], v[198:199], -v[6:7]
	v_mov_b64_e32 v[4:5], v[64:65]
.LBB62_898:
	v_cmp_ne_u32_e32 vcc, 5, v0
	s_and_saveexec_b64 s[12:13], vcc
	s_cbranch_execz .LBB62_902
; %bb.899:
	v_mov_b32_e32 v7, 0
	v_or_b32_e32 v6, 0x400, v86
	v_add3_u32 v7, v86, v7, 24
	s_mov_b64 s[14:15], 0
	v_mov_b32_e32 v198, v0
.LBB62_900:                             ; =>This Inner Loop Header: Depth=1
	v_add_u32_e32 v64, -8, v7
	scratch_load_dwordx4 v[200:203], v64, off
	ds_read_b128 v[204:207], v6
	v_add_u32_e32 v198, 1, v198
	v_cmp_lt_u32_e32 vcc, 4, v198
	v_add_u32_e32 v6, 16, v6
	v_add_u32_e32 v7, 16, v7
	s_or_b64 s[14:15], vcc, s[14:15]
	s_waitcnt vmcnt(0) lgkmcnt(0)
	v_mul_f64 v[64:65], v[206:207], v[202:203]
	v_mul_f64 v[202:203], v[204:205], v[202:203]
	v_fma_f64 v[64:65], v[204:205], v[200:201], -v[64:65]
	v_fmac_f64_e32 v[202:203], v[206:207], v[200:201]
	v_add_f64 v[2:3], v[2:3], v[64:65]
	v_add_f64 v[4:5], v[4:5], v[202:203]
	s_andn2_b64 exec, exec, s[14:15]
	s_cbranch_execnz .LBB62_900
; %bb.901:
	s_or_b64 exec, exec, s[14:15]
.LBB62_902:
	s_or_b64 exec, exec, s[12:13]
	v_mov_b32_e32 v6, 0
	ds_read_b128 v[198:201], v6 offset:96
	s_waitcnt lgkmcnt(0)
	v_mul_f64 v[6:7], v[4:5], v[200:201]
	v_mul_f64 v[202:203], v[2:3], v[200:201]
	v_fma_f64 v[200:201], v[2:3], v[198:199], -v[6:7]
	v_fmac_f64_e32 v[202:203], v[4:5], v[198:199]
	scratch_store_dwordx4 off, v[200:203], off offset:96
.LBB62_903:
	s_or_b64 exec, exec, s[8:9]
	scratch_load_dwordx4 v[2:5], v191, off
	v_cmp_gt_u32_e64 s[8:9], 7, v0
	s_waitcnt vmcnt(0)
	ds_write_b128 v9, v[2:5]
	s_waitcnt lgkmcnt(0)
	; wave barrier
	s_waitcnt lgkmcnt(0)
	s_and_saveexec_b64 s[12:13], s[8:9]
	s_cbranch_execz .LBB62_911
; %bb.904:
	ds_read_b128 v[2:5], v9
	s_and_b64 vcc, exec, s[0:1]
	s_cbranch_vccnz .LBB62_906
; %bb.905:
	scratch_load_dwordx4 v[198:201], v8, off
	s_waitcnt vmcnt(0) lgkmcnt(0)
	v_mul_f64 v[64:65], v[2:3], v[200:201]
	v_mul_f64 v[6:7], v[4:5], v[200:201]
	v_fmac_f64_e32 v[64:65], v[4:5], v[198:199]
	v_fma_f64 v[2:3], v[2:3], v[198:199], -v[6:7]
	v_mov_b64_e32 v[4:5], v[64:65]
.LBB62_906:
	v_cmp_ne_u32_e32 vcc, 6, v0
	s_and_saveexec_b64 s[14:15], vcc
	s_cbranch_execz .LBB62_910
; %bb.907:
	v_mov_b32_e32 v7, 0
	v_or_b32_e32 v6, 0x400, v86
	v_add3_u32 v7, v86, v7, 24
	s_mov_b64 s[16:17], 0
	v_mov_b32_e32 v198, v0
.LBB62_908:                             ; =>This Inner Loop Header: Depth=1
	v_add_u32_e32 v64, -8, v7
	scratch_load_dwordx4 v[200:203], v64, off
	ds_read_b128 v[204:207], v6
	v_add_u32_e32 v198, 1, v198
	v_cmp_lt_u32_e32 vcc, 5, v198
	v_add_u32_e32 v6, 16, v6
	v_add_u32_e32 v7, 16, v7
	s_or_b64 s[16:17], vcc, s[16:17]
	s_waitcnt vmcnt(0) lgkmcnt(0)
	v_mul_f64 v[64:65], v[206:207], v[202:203]
	v_mul_f64 v[202:203], v[204:205], v[202:203]
	v_fma_f64 v[64:65], v[204:205], v[200:201], -v[64:65]
	v_fmac_f64_e32 v[202:203], v[206:207], v[200:201]
	v_add_f64 v[2:3], v[2:3], v[64:65]
	v_add_f64 v[4:5], v[4:5], v[202:203]
	s_andn2_b64 exec, exec, s[16:17]
	s_cbranch_execnz .LBB62_908
; %bb.909:
	s_or_b64 exec, exec, s[16:17]
.LBB62_910:
	s_or_b64 exec, exec, s[14:15]
	v_mov_b32_e32 v6, 0
	ds_read_b128 v[198:201], v6 offset:112
	s_waitcnt lgkmcnt(0)
	v_mul_f64 v[6:7], v[4:5], v[200:201]
	v_mul_f64 v[202:203], v[2:3], v[200:201]
	v_fma_f64 v[200:201], v[2:3], v[198:199], -v[6:7]
	v_fmac_f64_e32 v[202:203], v[4:5], v[198:199]
	scratch_store_dwordx4 off, v[200:203], off offset:112
.LBB62_911:
	s_or_b64 exec, exec, s[12:13]
	scratch_load_dwordx4 v[2:5], v190, off
	v_cmp_gt_u32_e32 vcc, 8, v0
	s_waitcnt vmcnt(0)
	ds_write_b128 v9, v[2:5]
	s_waitcnt lgkmcnt(0)
	; wave barrier
	s_waitcnt lgkmcnt(0)
	s_and_saveexec_b64 s[12:13], vcc
	s_cbranch_execz .LBB62_919
; %bb.912:
	ds_read_b128 v[2:5], v9
	s_and_b64 vcc, exec, s[0:1]
	s_cbranch_vccnz .LBB62_914
; %bb.913:
	scratch_load_dwordx4 v[198:201], v8, off
	s_waitcnt vmcnt(0) lgkmcnt(0)
	v_mul_f64 v[64:65], v[2:3], v[200:201]
	v_mul_f64 v[6:7], v[4:5], v[200:201]
	v_fmac_f64_e32 v[64:65], v[4:5], v[198:199]
	v_fma_f64 v[2:3], v[2:3], v[198:199], -v[6:7]
	v_mov_b64_e32 v[4:5], v[64:65]
.LBB62_914:
	v_cmp_ne_u32_e32 vcc, 7, v0
	s_and_saveexec_b64 s[14:15], vcc
	s_cbranch_execz .LBB62_918
; %bb.915:
	v_mov_b32_e32 v7, 0
	v_or_b32_e32 v6, 0x400, v86
	v_add3_u32 v7, v86, v7, 24
	s_mov_b64 s[16:17], 0
	v_mov_b32_e32 v198, v0
.LBB62_916:                             ; =>This Inner Loop Header: Depth=1
	v_add_u32_e32 v64, -8, v7
	scratch_load_dwordx4 v[200:203], v64, off
	ds_read_b128 v[204:207], v6
	v_add_u32_e32 v198, 1, v198
	v_cmp_lt_u32_e32 vcc, 6, v198
	v_add_u32_e32 v6, 16, v6
	v_add_u32_e32 v7, 16, v7
	s_or_b64 s[16:17], vcc, s[16:17]
	s_waitcnt vmcnt(0) lgkmcnt(0)
	v_mul_f64 v[64:65], v[206:207], v[202:203]
	v_mul_f64 v[202:203], v[204:205], v[202:203]
	v_fma_f64 v[64:65], v[204:205], v[200:201], -v[64:65]
	v_fmac_f64_e32 v[202:203], v[206:207], v[200:201]
	v_add_f64 v[2:3], v[2:3], v[64:65]
	v_add_f64 v[4:5], v[4:5], v[202:203]
	s_andn2_b64 exec, exec, s[16:17]
	s_cbranch_execnz .LBB62_916
; %bb.917:
	s_or_b64 exec, exec, s[16:17]
.LBB62_918:
	s_or_b64 exec, exec, s[14:15]
	v_mov_b32_e32 v6, 0
	ds_read_b128 v[198:201], v6 offset:128
	s_waitcnt lgkmcnt(0)
	v_mul_f64 v[6:7], v[4:5], v[200:201]
	v_mul_f64 v[202:203], v[2:3], v[200:201]
	v_fma_f64 v[200:201], v[2:3], v[198:199], -v[6:7]
	v_fmac_f64_e32 v[202:203], v[4:5], v[198:199]
	scratch_store_dwordx4 off, v[200:203], off offset:128
.LBB62_919:
	s_or_b64 exec, exec, s[12:13]
	scratch_load_dwordx4 v[2:5], v189, off
	v_cmp_gt_u32_e32 vcc, 9, v0
	s_waitcnt vmcnt(0)
	ds_write_b128 v9, v[2:5]
	s_waitcnt lgkmcnt(0)
	; wave barrier
	s_waitcnt lgkmcnt(0)
	s_and_saveexec_b64 s[12:13], vcc
	s_cbranch_execz .LBB62_939
; %bb.920:
	ds_read_b128 v[2:5], v9
	s_and_b64 vcc, exec, s[0:1]
	s_cbranch_vccnz .LBB62_922
; %bb.921:
	scratch_load_dwordx4 v[198:201], v8, off
	s_waitcnt vmcnt(0) lgkmcnt(0)
	v_mul_f64 v[64:65], v[2:3], v[200:201]
	v_mul_f64 v[6:7], v[4:5], v[200:201]
	v_fmac_f64_e32 v[64:65], v[4:5], v[198:199]
	v_fma_f64 v[2:3], v[2:3], v[198:199], -v[6:7]
	v_mov_b64_e32 v[4:5], v[64:65]
.LBB62_922:
	v_cmp_ne_u32_e32 vcc, 8, v0
	s_and_saveexec_b64 s[14:15], vcc
	s_cbranch_execz .LBB62_938
; %bb.923:
	scratch_load_dwordx4 v[198:201], v8, off offset:16
	ds_read_b128 v[202:205], v9 offset:16
	s_waitcnt vmcnt(0) lgkmcnt(0)
	v_mul_f64 v[6:7], v[204:205], v[200:201]
	v_mul_f64 v[64:65], v[202:203], v[200:201]
	v_fma_f64 v[6:7], v[202:203], v[198:199], -v[6:7]
	v_fmac_f64_e32 v[64:65], v[204:205], v[198:199]
	v_add_f64 v[2:3], v[2:3], v[6:7]
	v_add_f64 v[4:5], v[4:5], v[64:65]
	s_and_saveexec_b64 s[16:17], s[8:9]
	s_cbranch_execz .LBB62_937
; %bb.924:
	scratch_load_dwordx4 v[198:201], v8, off offset:32
	ds_read_b128 v[202:205], v9 offset:32
	v_cmp_ne_u32_e32 vcc, 6, v0
	s_waitcnt vmcnt(0) lgkmcnt(0)
	v_mul_f64 v[6:7], v[204:205], v[200:201]
	v_mul_f64 v[64:65], v[202:203], v[200:201]
	v_fma_f64 v[6:7], v[202:203], v[198:199], -v[6:7]
	v_fmac_f64_e32 v[64:65], v[204:205], v[198:199]
	v_add_f64 v[2:3], v[2:3], v[6:7]
	v_add_f64 v[4:5], v[4:5], v[64:65]
	s_and_saveexec_b64 s[8:9], vcc
	s_cbranch_execz .LBB62_936
; %bb.925:
	scratch_load_dwordx4 v[198:201], v8, off offset:48
	ds_read_b128 v[202:205], v9 offset:48
	s_waitcnt vmcnt(0) lgkmcnt(0)
	v_mul_f64 v[6:7], v[204:205], v[200:201]
	v_mul_f64 v[64:65], v[202:203], v[200:201]
	v_fma_f64 v[6:7], v[202:203], v[198:199], -v[6:7]
	v_fmac_f64_e32 v[64:65], v[204:205], v[198:199]
	v_add_f64 v[2:3], v[2:3], v[6:7]
	v_add_f64 v[4:5], v[4:5], v[64:65]
	s_and_saveexec_b64 s[18:19], s[6:7]
	s_cbranch_execz .LBB62_935
; %bb.926:
	scratch_load_dwordx4 v[198:201], v8, off offset:64
	ds_read_b128 v[202:205], v9 offset:64
	v_cmp_ne_u32_e32 vcc, 4, v0
	s_waitcnt vmcnt(0) lgkmcnt(0)
	v_mul_f64 v[6:7], v[204:205], v[200:201]
	v_mul_f64 v[64:65], v[202:203], v[200:201]
	v_fma_f64 v[6:7], v[202:203], v[198:199], -v[6:7]
	v_fmac_f64_e32 v[64:65], v[204:205], v[198:199]
	v_add_f64 v[2:3], v[2:3], v[6:7]
	v_add_f64 v[4:5], v[4:5], v[64:65]
	;; [unrolled: 25-line block ×3, first 2 shown]
	s_and_saveexec_b64 s[4:5], vcc
	s_cbranch_execz .LBB62_932
; %bb.929:
	scratch_load_dwordx4 v[198:201], v8, off offset:112
	ds_read_b128 v[202:205], v9 offset:112
	s_waitcnt vmcnt(0) lgkmcnt(0)
	v_mul_f64 v[6:7], v[204:205], v[200:201]
	v_mul_f64 v[64:65], v[202:203], v[200:201]
	v_fma_f64 v[6:7], v[202:203], v[198:199], -v[6:7]
	v_fmac_f64_e32 v[64:65], v[204:205], v[198:199]
	v_add_f64 v[2:3], v[2:3], v[6:7]
	v_add_f64 v[4:5], v[4:5], v[64:65]
	s_and_saveexec_b64 s[22:23], s[2:3]
	s_cbranch_execz .LBB62_931
; %bb.930:
	scratch_load_dwordx4 v[198:201], v8, off offset:128
	ds_read_b128 v[202:205], v9 offset:128
	s_waitcnt vmcnt(0) lgkmcnt(0)
	v_mul_f64 v[6:7], v[204:205], v[200:201]
	v_mul_f64 v[64:65], v[202:203], v[200:201]
	v_fma_f64 v[6:7], v[202:203], v[198:199], -v[6:7]
	v_fmac_f64_e32 v[64:65], v[204:205], v[198:199]
	v_add_f64 v[2:3], v[2:3], v[6:7]
	v_add_f64 v[4:5], v[4:5], v[64:65]
.LBB62_931:
	s_or_b64 exec, exec, s[22:23]
.LBB62_932:
	s_or_b64 exec, exec, s[4:5]
.LBB62_933:
	s_or_b64 exec, exec, s[20:21]
.LBB62_934:
	s_or_b64 exec, exec, s[6:7]
.LBB62_935:
	s_or_b64 exec, exec, s[18:19]
.LBB62_936:
	s_or_b64 exec, exec, s[8:9]
.LBB62_937:
	s_or_b64 exec, exec, s[16:17]
.LBB62_938:
	s_or_b64 exec, exec, s[14:15]
	v_mov_b32_e32 v6, 0
	ds_read_b128 v[198:201], v6 offset:144
	s_waitcnt lgkmcnt(0)
	v_mul_f64 v[6:7], v[4:5], v[200:201]
	v_mul_f64 v[202:203], v[2:3], v[200:201]
	v_fma_f64 v[200:201], v[2:3], v[198:199], -v[6:7]
	v_fmac_f64_e32 v[202:203], v[4:5], v[198:199]
	scratch_store_dwordx4 off, v[200:203], off offset:144
.LBB62_939:
	s_or_b64 exec, exec, s[12:13]
	scratch_load_dwordx4 v[2:5], v188, off
	v_cmp_gt_u32_e32 vcc, 10, v0
	s_waitcnt vmcnt(0)
	ds_write_b128 v9, v[2:5]
	s_waitcnt lgkmcnt(0)
	; wave barrier
	s_waitcnt lgkmcnt(0)
	s_and_saveexec_b64 s[2:3], vcc
	s_cbranch_execz .LBB62_947
; %bb.940:
	ds_read_b128 v[2:5], v9
	s_and_b64 vcc, exec, s[0:1]
	s_cbranch_vccnz .LBB62_942
; %bb.941:
	scratch_load_dwordx4 v[198:201], v8, off
	s_waitcnt vmcnt(0) lgkmcnt(0)
	v_mul_f64 v[64:65], v[2:3], v[200:201]
	v_mul_f64 v[6:7], v[4:5], v[200:201]
	v_fmac_f64_e32 v[64:65], v[4:5], v[198:199]
	v_fma_f64 v[2:3], v[2:3], v[198:199], -v[6:7]
	v_mov_b64_e32 v[4:5], v[64:65]
.LBB62_942:
	v_cmp_ne_u32_e32 vcc, 9, v0
	s_and_saveexec_b64 s[4:5], vcc
	s_cbranch_execz .LBB62_946
; %bb.943:
	v_mov_b32_e32 v7, 0
	v_or_b32_e32 v6, 0x400, v86
	v_add3_u32 v7, v86, v7, 24
	s_mov_b64 s[6:7], 0
	v_mov_b32_e32 v198, v0
.LBB62_944:                             ; =>This Inner Loop Header: Depth=1
	v_add_u32_e32 v64, -8, v7
	scratch_load_dwordx4 v[200:203], v64, off
	ds_read_b128 v[204:207], v6
	v_add_u32_e32 v198, 1, v198
	v_cmp_lt_u32_e32 vcc, 8, v198
	v_add_u32_e32 v6, 16, v6
	v_add_u32_e32 v7, 16, v7
	s_or_b64 s[6:7], vcc, s[6:7]
	s_waitcnt vmcnt(0) lgkmcnt(0)
	v_mul_f64 v[64:65], v[206:207], v[202:203]
	v_mul_f64 v[202:203], v[204:205], v[202:203]
	v_fma_f64 v[64:65], v[204:205], v[200:201], -v[64:65]
	v_fmac_f64_e32 v[202:203], v[206:207], v[200:201]
	v_add_f64 v[2:3], v[2:3], v[64:65]
	v_add_f64 v[4:5], v[4:5], v[202:203]
	s_andn2_b64 exec, exec, s[6:7]
	s_cbranch_execnz .LBB62_944
; %bb.945:
	s_or_b64 exec, exec, s[6:7]
.LBB62_946:
	s_or_b64 exec, exec, s[4:5]
	v_mov_b32_e32 v6, 0
	ds_read_b128 v[198:201], v6 offset:160
	s_waitcnt lgkmcnt(0)
	v_mul_f64 v[6:7], v[4:5], v[200:201]
	v_mul_f64 v[202:203], v[2:3], v[200:201]
	v_fma_f64 v[200:201], v[2:3], v[198:199], -v[6:7]
	v_fmac_f64_e32 v[202:203], v[4:5], v[198:199]
	scratch_store_dwordx4 off, v[200:203], off offset:160
.LBB62_947:
	s_or_b64 exec, exec, s[2:3]
	scratch_load_dwordx4 v[2:5], v187, off
	v_cmp_gt_u32_e32 vcc, 11, v0
	s_waitcnt vmcnt(0)
	ds_write_b128 v9, v[2:5]
	s_waitcnt lgkmcnt(0)
	; wave barrier
	s_waitcnt lgkmcnt(0)
	s_and_saveexec_b64 s[2:3], vcc
	s_cbranch_execz .LBB62_955
; %bb.948:
	ds_read_b128 v[2:5], v9
	s_and_b64 vcc, exec, s[0:1]
	s_cbranch_vccnz .LBB62_950
; %bb.949:
	scratch_load_dwordx4 v[198:201], v8, off
	s_waitcnt vmcnt(0) lgkmcnt(0)
	v_mul_f64 v[64:65], v[2:3], v[200:201]
	v_mul_f64 v[6:7], v[4:5], v[200:201]
	v_fmac_f64_e32 v[64:65], v[4:5], v[198:199]
	v_fma_f64 v[2:3], v[2:3], v[198:199], -v[6:7]
	v_mov_b64_e32 v[4:5], v[64:65]
.LBB62_950:
	v_cmp_ne_u32_e32 vcc, 10, v0
	s_and_saveexec_b64 s[4:5], vcc
	s_cbranch_execz .LBB62_954
; %bb.951:
	v_mov_b32_e32 v7, 0
	v_or_b32_e32 v6, 0x400, v86
	v_add3_u32 v7, v86, v7, 24
	s_mov_b64 s[6:7], 0
	v_mov_b32_e32 v198, v0
.LBB62_952:                             ; =>This Inner Loop Header: Depth=1
	v_add_u32_e32 v64, -8, v7
	scratch_load_dwordx4 v[200:203], v64, off
	ds_read_b128 v[204:207], v6
	v_add_u32_e32 v198, 1, v198
	v_cmp_lt_u32_e32 vcc, 9, v198
	v_add_u32_e32 v6, 16, v6
	v_add_u32_e32 v7, 16, v7
	s_or_b64 s[6:7], vcc, s[6:7]
	s_waitcnt vmcnt(0) lgkmcnt(0)
	v_mul_f64 v[64:65], v[206:207], v[202:203]
	v_mul_f64 v[202:203], v[204:205], v[202:203]
	v_fma_f64 v[64:65], v[204:205], v[200:201], -v[64:65]
	v_fmac_f64_e32 v[202:203], v[206:207], v[200:201]
	v_add_f64 v[2:3], v[2:3], v[64:65]
	v_add_f64 v[4:5], v[4:5], v[202:203]
	s_andn2_b64 exec, exec, s[6:7]
	s_cbranch_execnz .LBB62_952
; %bb.953:
	s_or_b64 exec, exec, s[6:7]
.LBB62_954:
	s_or_b64 exec, exec, s[4:5]
	v_mov_b32_e32 v6, 0
	ds_read_b128 v[198:201], v6 offset:176
	s_waitcnt lgkmcnt(0)
	v_mul_f64 v[6:7], v[4:5], v[200:201]
	v_mul_f64 v[202:203], v[2:3], v[200:201]
	v_fma_f64 v[200:201], v[2:3], v[198:199], -v[6:7]
	v_fmac_f64_e32 v[202:203], v[4:5], v[198:199]
	scratch_store_dwordx4 off, v[200:203], off offset:176
.LBB62_955:
	;; [unrolled: 63-line block ×7, first 2 shown]
	s_or_b64 exec, exec, s[2:3]
	scratch_load_dwordx4 v[2:5], v181, off
	v_cmp_gt_u32_e32 vcc, 17, v0
	s_waitcnt vmcnt(0)
	ds_write_b128 v9, v[2:5]
	s_waitcnt lgkmcnt(0)
	; wave barrier
	s_waitcnt lgkmcnt(0)
	s_and_saveexec_b64 s[2:3], vcc
	s_cbranch_execz .LBB62_1003
; %bb.996:
	ds_read_b128 v[2:5], v9
	s_and_b64 vcc, exec, s[0:1]
	s_cbranch_vccnz .LBB62_998
; %bb.997:
	scratch_load_dwordx4 v[198:201], v8, off
	s_waitcnt vmcnt(0) lgkmcnt(0)
	v_mul_f64 v[64:65], v[2:3], v[200:201]
	v_mul_f64 v[6:7], v[4:5], v[200:201]
	v_fmac_f64_e32 v[64:65], v[4:5], v[198:199]
	v_fma_f64 v[2:3], v[2:3], v[198:199], -v[6:7]
	v_mov_b64_e32 v[4:5], v[64:65]
.LBB62_998:
	v_cmp_ne_u32_e32 vcc, 16, v0
	s_and_saveexec_b64 s[4:5], vcc
	s_cbranch_execz .LBB62_1002
; %bb.999:
	v_mov_b32_e32 v7, 0
	v_or_b32_e32 v6, 0x400, v86
	v_add3_u32 v7, v86, v7, 24
	s_mov_b64 s[6:7], 0
	v_mov_b32_e32 v198, v0
.LBB62_1000:                            ; =>This Inner Loop Header: Depth=1
	v_add_u32_e32 v64, -8, v7
	scratch_load_dwordx4 v[200:203], v64, off
	ds_read_b128 v[204:207], v6
	v_add_u32_e32 v198, 1, v198
	v_cmp_lt_u32_e32 vcc, 15, v198
	v_add_u32_e32 v6, 16, v6
	v_add_u32_e32 v7, 16, v7
	s_or_b64 s[6:7], vcc, s[6:7]
	s_waitcnt vmcnt(0) lgkmcnt(0)
	v_mul_f64 v[64:65], v[206:207], v[202:203]
	v_mul_f64 v[202:203], v[204:205], v[202:203]
	v_fma_f64 v[64:65], v[204:205], v[200:201], -v[64:65]
	v_fmac_f64_e32 v[202:203], v[206:207], v[200:201]
	v_add_f64 v[2:3], v[2:3], v[64:65]
	v_add_f64 v[4:5], v[4:5], v[202:203]
	s_andn2_b64 exec, exec, s[6:7]
	s_cbranch_execnz .LBB62_1000
; %bb.1001:
	s_or_b64 exec, exec, s[6:7]
.LBB62_1002:
	s_or_b64 exec, exec, s[4:5]
	v_mov_b32_e32 v6, 0
	ds_read_b128 v[198:201], v6 offset:272
	s_waitcnt lgkmcnt(0)
	v_mul_f64 v[6:7], v[4:5], v[200:201]
	v_mul_f64 v[202:203], v[2:3], v[200:201]
	v_fma_f64 v[200:201], v[2:3], v[198:199], -v[6:7]
	v_fmac_f64_e32 v[202:203], v[4:5], v[198:199]
	scratch_store_dwordx4 off, v[200:203], off offset:272
.LBB62_1003:
	s_or_b64 exec, exec, s[2:3]
	scratch_load_dwordx4 v[2:5], v180, off
	v_cmp_gt_u32_e32 vcc, 18, v0
	s_waitcnt vmcnt(0)
	ds_write_b128 v9, v[2:5]
	s_waitcnt lgkmcnt(0)
	; wave barrier
	s_waitcnt lgkmcnt(0)
	s_and_saveexec_b64 s[2:3], vcc
	s_cbranch_execz .LBB62_1011
; %bb.1004:
	ds_read_b128 v[2:5], v9
	s_and_b64 vcc, exec, s[0:1]
	s_cbranch_vccnz .LBB62_1006
; %bb.1005:
	scratch_load_dwordx4 v[198:201], v8, off
	s_waitcnt vmcnt(0) lgkmcnt(0)
	v_mul_f64 v[64:65], v[2:3], v[200:201]
	v_mul_f64 v[6:7], v[4:5], v[200:201]
	v_fmac_f64_e32 v[64:65], v[4:5], v[198:199]
	v_fma_f64 v[2:3], v[2:3], v[198:199], -v[6:7]
	v_mov_b64_e32 v[4:5], v[64:65]
.LBB62_1006:
	v_cmp_ne_u32_e32 vcc, 17, v0
	s_and_saveexec_b64 s[4:5], vcc
	s_cbranch_execz .LBB62_1010
; %bb.1007:
	v_mov_b32_e32 v7, 0
	v_or_b32_e32 v6, 0x400, v86
	v_add3_u32 v7, v86, v7, 24
	s_mov_b64 s[6:7], 0
	v_mov_b32_e32 v198, v0
.LBB62_1008:                            ; =>This Inner Loop Header: Depth=1
	v_add_u32_e32 v64, -8, v7
	scratch_load_dwordx4 v[200:203], v64, off
	ds_read_b128 v[204:207], v6
	v_add_u32_e32 v198, 1, v198
	v_cmp_lt_u32_e32 vcc, 16, v198
	v_add_u32_e32 v6, 16, v6
	v_add_u32_e32 v7, 16, v7
	s_or_b64 s[6:7], vcc, s[6:7]
	s_waitcnt vmcnt(0) lgkmcnt(0)
	v_mul_f64 v[64:65], v[206:207], v[202:203]
	v_mul_f64 v[202:203], v[204:205], v[202:203]
	v_fma_f64 v[64:65], v[204:205], v[200:201], -v[64:65]
	v_fmac_f64_e32 v[202:203], v[206:207], v[200:201]
	v_add_f64 v[2:3], v[2:3], v[64:65]
	v_add_f64 v[4:5], v[4:5], v[202:203]
	s_andn2_b64 exec, exec, s[6:7]
	s_cbranch_execnz .LBB62_1008
; %bb.1009:
	s_or_b64 exec, exec, s[6:7]
.LBB62_1010:
	s_or_b64 exec, exec, s[4:5]
	v_mov_b32_e32 v6, 0
	ds_read_b128 v[198:201], v6 offset:288
	s_waitcnt lgkmcnt(0)
	v_mul_f64 v[6:7], v[4:5], v[200:201]
	v_mul_f64 v[202:203], v[2:3], v[200:201]
	v_fma_f64 v[200:201], v[2:3], v[198:199], -v[6:7]
	v_fmac_f64_e32 v[202:203], v[4:5], v[198:199]
	scratch_store_dwordx4 off, v[200:203], off offset:288
.LBB62_1011:
	;; [unrolled: 63-line block ×44, first 2 shown]
	s_or_b64 exec, exec, s[2:3]
	scratch_load_dwordx4 v[2:5], v10, off
	v_cmp_gt_u32_e64 s[2:3], 61, v0
	s_waitcnt vmcnt(0)
	ds_write_b128 v9, v[2:5]
	s_waitcnt lgkmcnt(0)
	; wave barrier
	s_waitcnt lgkmcnt(0)
	s_and_saveexec_b64 s[4:5], s[2:3]
	s_cbranch_execz .LBB62_1355
; %bb.1348:
	ds_read_b128 v[2:5], v9
	s_and_b64 vcc, exec, s[0:1]
	s_cbranch_vccnz .LBB62_1350
; %bb.1349:
	scratch_load_dwordx4 v[198:201], v8, off
	s_waitcnt vmcnt(0) lgkmcnt(0)
	v_mul_f64 v[64:65], v[2:3], v[200:201]
	v_mul_f64 v[6:7], v[4:5], v[200:201]
	v_fmac_f64_e32 v[64:65], v[4:5], v[198:199]
	v_fma_f64 v[2:3], v[2:3], v[198:199], -v[6:7]
	v_mov_b64_e32 v[4:5], v[64:65]
.LBB62_1350:
	v_cmp_ne_u32_e32 vcc, 60, v0
	s_and_saveexec_b64 s[6:7], vcc
	s_cbranch_execz .LBB62_1354
; %bb.1351:
	v_mov_b32_e32 v7, 0
	v_or_b32_e32 v6, 0x400, v86
	v_add3_u32 v7, v86, v7, 24
	s_mov_b64 s[8:9], 0
	v_mov_b32_e32 v198, v0
.LBB62_1352:                            ; =>This Inner Loop Header: Depth=1
	v_add_u32_e32 v64, -8, v7
	scratch_load_dwordx4 v[200:203], v64, off
	ds_read_b128 v[204:207], v6
	v_add_u32_e32 v198, 1, v198
	v_cmp_lt_u32_e32 vcc, 59, v198
	v_add_u32_e32 v6, 16, v6
	v_add_u32_e32 v7, 16, v7
	s_or_b64 s[8:9], vcc, s[8:9]
	s_waitcnt vmcnt(0) lgkmcnt(0)
	v_mul_f64 v[64:65], v[206:207], v[202:203]
	v_mul_f64 v[202:203], v[204:205], v[202:203]
	v_fma_f64 v[64:65], v[204:205], v[200:201], -v[64:65]
	v_fmac_f64_e32 v[202:203], v[206:207], v[200:201]
	v_add_f64 v[2:3], v[2:3], v[64:65]
	v_add_f64 v[4:5], v[4:5], v[202:203]
	s_andn2_b64 exec, exec, s[8:9]
	s_cbranch_execnz .LBB62_1352
; %bb.1353:
	s_or_b64 exec, exec, s[8:9]
.LBB62_1354:
	s_or_b64 exec, exec, s[6:7]
	v_mov_b32_e32 v6, 0
	ds_read_b128 v[198:201], v6 offset:976
	s_waitcnt lgkmcnt(0)
	v_mul_f64 v[6:7], v[4:5], v[200:201]
	v_mul_f64 v[202:203], v[2:3], v[200:201]
	v_fma_f64 v[200:201], v[2:3], v[198:199], -v[6:7]
	v_fmac_f64_e32 v[202:203], v[4:5], v[198:199]
	scratch_store_dwordx4 off, v[200:203], off offset:976
.LBB62_1355:
	s_or_b64 exec, exec, s[4:5]
	scratch_load_dwordx4 v[2:5], v1, off
	v_cmp_ne_u32_e32 vcc, 62, v0
                                        ; implicit-def: $vgpr6_vgpr7
                                        ; implicit-def: $vgpr198
	s_waitcnt vmcnt(0)
	ds_write_b128 v9, v[2:5]
	s_waitcnt lgkmcnt(0)
	; wave barrier
	s_waitcnt lgkmcnt(0)
	s_and_saveexec_b64 s[4:5], vcc
	s_cbranch_execz .LBB62_1363
; %bb.1356:
	ds_read_b128 v[2:5], v9
	s_and_b64 vcc, exec, s[0:1]
	s_cbranch_vccnz .LBB62_1358
; %bb.1357:
	scratch_load_dwordx4 v[6:9], v8, off
	s_waitcnt vmcnt(0) lgkmcnt(0)
	v_mul_f64 v[64:65], v[4:5], v[8:9]
	v_mul_f64 v[8:9], v[2:3], v[8:9]
	v_fmac_f64_e32 v[8:9], v[4:5], v[6:7]
	v_fma_f64 v[2:3], v[2:3], v[6:7], -v[64:65]
	v_mov_b64_e32 v[4:5], v[8:9]
.LBB62_1358:
	s_and_saveexec_b64 s[0:1], s[2:3]
	s_cbranch_execz .LBB62_1362
; %bb.1359:
	v_mov_b32_e32 v7, 0
	v_or_b32_e32 v6, 0x400, v86
	v_add3_u32 v7, v86, v7, 24
	s_mov_b64 s[2:3], 0
.LBB62_1360:                            ; =>This Inner Loop Header: Depth=1
	v_add_u32_e32 v8, -8, v7
	scratch_load_dwordx4 v[198:201], v8, off
	ds_read_b128 v[202:205], v6
	v_add_u32_e32 v0, 1, v0
	v_cmp_lt_u32_e32 vcc, 60, v0
	v_add_u32_e32 v6, 16, v6
	v_add_u32_e32 v7, 16, v7
	s_or_b64 s[2:3], vcc, s[2:3]
	s_waitcnt vmcnt(0) lgkmcnt(0)
	v_mul_f64 v[8:9], v[204:205], v[200:201]
	v_mul_f64 v[64:65], v[202:203], v[200:201]
	v_fma_f64 v[8:9], v[202:203], v[198:199], -v[8:9]
	v_fmac_f64_e32 v[64:65], v[204:205], v[198:199]
	v_add_f64 v[2:3], v[2:3], v[8:9]
	v_add_f64 v[4:5], v[4:5], v[64:65]
	s_andn2_b64 exec, exec, s[2:3]
	s_cbranch_execnz .LBB62_1360
; %bb.1361:
	s_or_b64 exec, exec, s[2:3]
.LBB62_1362:
	s_or_b64 exec, exec, s[0:1]
	v_mov_b32_e32 v0, 0
	ds_read_b128 v[200:203], v0 offset:992
	v_mov_b32_e32 v0, 0
	v_add_u32_e32 v198, 0x3e8, v0
	s_or_b64 s[10:11], s[10:11], exec
	s_waitcnt lgkmcnt(0)
	v_mul_f64 v[8:9], v[4:5], v[202:203]
	v_mul_f64 v[6:7], v[2:3], v[202:203]
	v_fma_f64 v[2:3], v[2:3], v[200:201], -v[8:9]
	v_fmac_f64_e32 v[6:7], v[4:5], v[200:201]
	scratch_store_dwordx2 off, v[2:3], off offset:992
.LBB62_1363:
	s_or_b64 exec, exec, s[4:5]
.LBB62_1364:
	s_and_saveexec_b64 s[0:1], s[10:11]
	s_cbranch_execz .LBB62_1366
; %bb.1365:
	scratch_store_dwordx2 v198, v[6:7], off
.LBB62_1366:
	s_or_b64 exec, exec, s[0:1]
	scratch_load_dwordx4 v[2:5], off, off
	scratch_load_dwordx4 v[6:9], v197, off
	s_nop 0
	scratch_load_dwordx4 v[196:199], v196, off
	s_nop 0
	scratch_load_dwordx4 v[200:203], v195, off
	scratch_load_dwordx4 v[204:207], v194, off
	scratch_load_dwordx4 v[208:211], v193, off
	s_nop 0
	scratch_load_dwordx4 v[192:195], v192, off
	s_nop 0
	scratch_load_dwordx4 v[212:215], v191, off
	scratch_load_dwordx4 v[216:219], v190, off
	;; [unrolled: 6-line block ×5, first 2 shown]
	s_waitcnt vmcnt(20)
	global_store_dwordx4 v[22:23], v[2:5], off
	scratch_load_dwordx4 v[2:5], v177, off
	s_nop 0
	scratch_load_dwordx4 v[176:179], v176, off
	s_waitcnt vmcnt(22)
	global_store_dwordx4 v[24:25], v[6:9], off
	scratch_load_dwordx4 v[6:9], v175, off
	s_nop 0
	scratch_load_dwordx4 v[22:25], v174, off
	;; [unrolled: 5-line block ×19, first 2 shown]
	s_waitcnt vmcnt(58)
	global_store_dwordx4 v[60:61], v[248:251], off
	s_waitcnt vmcnt(58)
	global_store_dwordx4 v[62:63], v[252:255], off
	scratch_load_dwordx4 v[58:61], v87, off
	scratch_load_dwordx4 v[248:251], v11, off
	s_nop 0
	scratch_load_dwordx4 v[252:255], v10, off
	scratch_load_dwordx4 v[62:65], v1, off
	v_accvgpr_read_b32 v0, a0
	v_accvgpr_read_b32 v1, a1
	s_waitcnt vmcnt(61)
	global_store_dwordx4 v[0:1], v[2:5], off
	s_waitcnt vmcnt(61)
	global_store_dwordx4 v[66:67], v[176:179], off
	;; [unrolled: 2-line block ×42, first 2 shown]
.LBB62_1367:
	s_endpgm
	.section	.rodata,"a",@progbits
	.p2align	6, 0x0
	.amdhsa_kernel _ZN9rocsolver6v33100L18trti2_kernel_smallILi63E19rocblas_complex_numIdEPS3_EEv13rocblas_fill_17rocblas_diagonal_T1_iil
		.amdhsa_group_segment_fixed_size 2016
		.amdhsa_private_segment_fixed_size 1024
		.amdhsa_kernarg_size 32
		.amdhsa_user_sgpr_count 2
		.amdhsa_user_sgpr_dispatch_ptr 0
		.amdhsa_user_sgpr_queue_ptr 0
		.amdhsa_user_sgpr_kernarg_segment_ptr 1
		.amdhsa_user_sgpr_dispatch_id 0
		.amdhsa_user_sgpr_kernarg_preload_length 0
		.amdhsa_user_sgpr_kernarg_preload_offset 0
		.amdhsa_user_sgpr_private_segment_size 0
		.amdhsa_uses_dynamic_stack 0
		.amdhsa_enable_private_segment 1
		.amdhsa_system_sgpr_workgroup_id_x 1
		.amdhsa_system_sgpr_workgroup_id_y 0
		.amdhsa_system_sgpr_workgroup_id_z 0
		.amdhsa_system_sgpr_workgroup_info 0
		.amdhsa_system_vgpr_workitem_id 0
		.amdhsa_next_free_vgpr 258
		.amdhsa_next_free_sgpr 24
		.amdhsa_accum_offset 256
		.amdhsa_reserve_vcc 1
		.amdhsa_float_round_mode_32 0
		.amdhsa_float_round_mode_16_64 0
		.amdhsa_float_denorm_mode_32 3
		.amdhsa_float_denorm_mode_16_64 3
		.amdhsa_dx10_clamp 1
		.amdhsa_ieee_mode 1
		.amdhsa_fp16_overflow 0
		.amdhsa_tg_split 0
		.amdhsa_exception_fp_ieee_invalid_op 0
		.amdhsa_exception_fp_denorm_src 0
		.amdhsa_exception_fp_ieee_div_zero 0
		.amdhsa_exception_fp_ieee_overflow 0
		.amdhsa_exception_fp_ieee_underflow 0
		.amdhsa_exception_fp_ieee_inexact 0
		.amdhsa_exception_int_div_zero 0
	.end_amdhsa_kernel
	.section	.text._ZN9rocsolver6v33100L18trti2_kernel_smallILi63E19rocblas_complex_numIdEPS3_EEv13rocblas_fill_17rocblas_diagonal_T1_iil,"axG",@progbits,_ZN9rocsolver6v33100L18trti2_kernel_smallILi63E19rocblas_complex_numIdEPS3_EEv13rocblas_fill_17rocblas_diagonal_T1_iil,comdat
.Lfunc_end62:
	.size	_ZN9rocsolver6v33100L18trti2_kernel_smallILi63E19rocblas_complex_numIdEPS3_EEv13rocblas_fill_17rocblas_diagonal_T1_iil, .Lfunc_end62-_ZN9rocsolver6v33100L18trti2_kernel_smallILi63E19rocblas_complex_numIdEPS3_EEv13rocblas_fill_17rocblas_diagonal_T1_iil
                                        ; -- End function
	.section	.AMDGPU.csdata,"",@progbits
; Kernel info:
; codeLenInByte = 82864
; NumSgprs: 30
; NumVgprs: 256
; NumAgprs: 2
; TotalNumVgprs: 258
; ScratchSize: 1024
; MemoryBound: 0
; FloatMode: 240
; IeeeMode: 1
; LDSByteSize: 2016 bytes/workgroup (compile time only)
; SGPRBlocks: 3
; VGPRBlocks: 32
; NumSGPRsForWavesPerEU: 30
; NumVGPRsForWavesPerEU: 258
; AccumOffset: 256
; Occupancy: 1
; WaveLimiterHint : 0
; COMPUTE_PGM_RSRC2:SCRATCH_EN: 1
; COMPUTE_PGM_RSRC2:USER_SGPR: 2
; COMPUTE_PGM_RSRC2:TRAP_HANDLER: 0
; COMPUTE_PGM_RSRC2:TGID_X_EN: 1
; COMPUTE_PGM_RSRC2:TGID_Y_EN: 0
; COMPUTE_PGM_RSRC2:TGID_Z_EN: 0
; COMPUTE_PGM_RSRC2:TIDIG_COMP_CNT: 0
; COMPUTE_PGM_RSRC3_GFX90A:ACCUM_OFFSET: 63
; COMPUTE_PGM_RSRC3_GFX90A:TG_SPLIT: 0
	.section	.text._ZN9rocsolver6v33100L18trti2_kernel_smallILi64E19rocblas_complex_numIdEPS3_EEv13rocblas_fill_17rocblas_diagonal_T1_iil,"axG",@progbits,_ZN9rocsolver6v33100L18trti2_kernel_smallILi64E19rocblas_complex_numIdEPS3_EEv13rocblas_fill_17rocblas_diagonal_T1_iil,comdat
	.globl	_ZN9rocsolver6v33100L18trti2_kernel_smallILi64E19rocblas_complex_numIdEPS3_EEv13rocblas_fill_17rocblas_diagonal_T1_iil ; -- Begin function _ZN9rocsolver6v33100L18trti2_kernel_smallILi64E19rocblas_complex_numIdEPS3_EEv13rocblas_fill_17rocblas_diagonal_T1_iil
	.p2align	8
	.type	_ZN9rocsolver6v33100L18trti2_kernel_smallILi64E19rocblas_complex_numIdEPS3_EEv13rocblas_fill_17rocblas_diagonal_T1_iil,@function
_ZN9rocsolver6v33100L18trti2_kernel_smallILi64E19rocblas_complex_numIdEPS3_EEv13rocblas_fill_17rocblas_diagonal_T1_iil: ; @_ZN9rocsolver6v33100L18trti2_kernel_smallILi64E19rocblas_complex_numIdEPS3_EEv13rocblas_fill_17rocblas_diagonal_T1_iil
; %bb.0:
	v_cmp_gt_u32_e32 vcc, 64, v0
	s_and_saveexec_b64 s[4:5], vcc
	s_cbranch_execz .LBB63_1389
; %bb.1:
	s_load_dwordx8 s[4:11], s[0:1], 0x0
	s_ashr_i32 s3, s2, 31
	v_lshlrev_b32_e32 v116, 4, v0
	v_mov_b32_e32 v117, 0
	v_mov_b32_e32 v1, 0
	s_waitcnt lgkmcnt(0)
	s_ashr_i32 s1, s8, 31
	s_mov_b32 s0, s8
	s_mul_i32 s8, s2, s11
	s_mul_hi_u32 s11, s2, s10
	s_add_i32 s8, s11, s8
	s_mul_i32 s3, s3, s10
	s_add_i32 s3, s8, s3
	s_mul_i32 s2, s2, s10
	s_lshl_b64 s[2:3], s[2:3], 4
	s_add_u32 s2, s6, s2
	s_addc_u32 s3, s7, s3
	s_lshl_b64 s[0:1], s[0:1], 4
	s_add_u32 s0, s2, s0
	s_addc_u32 s1, s3, s1
	s_add_i32 s2, s9, s9
	v_add_u32_e32 v2, s2, v0
	s_mov_b32 s2, s9
	s_ashr_i32 s3, s9, 31
	v_lshl_add_u64 v[20:21], s[0:1], 0, v[116:117]
	v_ashrrev_i32_e32 v3, 31, v2
	v_lshl_add_u64 v[18:19], s[2:3], 4, v[20:21]
	global_load_dwordx4 v[22:25], v116, s[0:1]
	v_lshl_add_u64 v[14:15], v[2:3], 4, s[0:1]
	global_load_dwordx4 v[26:29], v[18:19], off
	global_load_dwordx4 v[30:33], v[14:15], off
	v_add_u32_e32 v2, s9, v2
	v_add_u32_e32 v12, s9, v2
	;; [unrolled: 1-line block ×59, first 2 shown]
	v_ashrrev_i32_e32 v3, 31, v2
	v_add_u32_e32 v6, s9, v8
	v_lshl_add_u64 v[16:17], v[2:3], 4, s[0:1]
	v_add_u32_e32 v2, s9, v6
	v_ashrrev_i32_e32 v3, 31, v2
	v_lshl_add_u64 v[2:3], v[2:3], 4, s[0:1]
	global_load_dwordx4 v[34:37], v[16:17], off
	v_accvgpr_write_b32 a0, v2
	v_ashrrev_i32_e32 v13, 31, v12
	v_accvgpr_write_b32 a1, v3
	global_load_dwordx4 v[2:5], v[2:3], off
	s_waitcnt vmcnt(4)
	scratch_store_dwordx4 off, v[22:25], off
	s_waitcnt vmcnt(4)
	scratch_store_dwordx4 off, v[26:29], off offset:16
	s_waitcnt vmcnt(4)
	scratch_store_dwordx4 off, v[30:33], off offset:32
	v_lshl_add_u64 v[68:69], v[12:13], 4, s[0:1]
	global_load_dwordx4 v[80:83], v[68:69], off
	v_ashrrev_i32_e32 v159, 31, v158
	v_ashrrev_i32_e32 v39, 31, v38
	;; [unrolled: 1-line block ×11, first 2 shown]
	v_lshl_add_u64 v[12:13], v[158:159], 4, s[0:1]
	v_ashrrev_i32_e32 v167, 31, v166
	v_lshl_add_u64 v[70:71], v[38:39], 4, s[0:1]
	v_lshl_add_u64 v[60:61], v[40:41], 4, s[0:1]
	;; [unrolled: 1-line block ×5, first 2 shown]
	v_ashrrev_i32_e32 v49, 31, v48
	v_lshl_add_u64 v[54:55], v[52:53], 4, s[0:1]
	v_ashrrev_i32_e32 v65, 31, v64
	v_lshl_add_u64 v[44:45], v[66:67], 4, s[0:1]
	v_ashrrev_i32_e32 v73, 31, v72
	v_lshl_add_u64 v[40:41], v[74:75], 4, s[0:1]
	v_ashrrev_i32_e32 v77, 31, v76
	v_ashrrev_i32_e32 v141, 31, v140
	v_lshl_add_u64 v[26:27], v[148:149], 4, s[0:1]
	v_ashrrev_i32_e32 v151, 31, v150
	v_ashrrev_i32_e32 v157, 31, v156
	v_accvgpr_write_b32 a2, v12
	v_ashrrev_i32_e32 v165, 31, v164
	v_lshl_add_u64 v[22:23], v[166:167], 4, s[0:1]
	v_ashrrev_i32_e32 v173, 31, v172
	v_ashrrev_i32_e32 v181, 31, v180
	;; [unrolled: 1-line block ×4, first 2 shown]
	v_lshl_add_u64 v[50:51], v[48:49], 4, s[0:1]
	v_lshl_add_u64 v[42:43], v[64:65], 4, s[0:1]
	;; [unrolled: 1-line block ×7, first 2 shown]
	v_accvgpr_write_b32 a3, v13
	v_lshl_add_u64 v[48:49], v[172:173], 4, s[0:1]
	v_ashrrev_i32_e32 v175, 31, v174
	v_lshl_add_u64 v[64:65], v[180:181], 4, s[0:1]
	v_ashrrev_i32_e32 v183, 31, v182
	;; [unrolled: 2-line block ×4, first 2 shown]
	v_ashrrev_i32_e32 v205, 31, v204
	v_lshl_add_u64 v[52:53], v[174:175], 4, s[0:1]
	v_lshl_add_u64 v[66:67], v[182:183], 4, s[0:1]
	;; [unrolled: 1-line block ×3, first 2 shown]
	v_ashrrev_i32_e32 v209, 31, v208
	v_ashrrev_i32_e32 v211, 31, v210
	;; [unrolled: 1-line block ×7, first 2 shown]
	s_waitcnt vmcnt(5)
	scratch_store_dwordx4 off, v[34:37], off offset:48
	global_load_dwordx4 v[84:87], v[70:71], off
	global_load_dwordx4 v[88:91], v[60:61], off
	v_lshl_add_u64 v[36:37], v[78:79], 4, s[0:1]
	global_load_dwordx4 v[92:95], v[62:63], off
	global_load_dwordx4 v[96:99], v[56:57], off
	;; [unrolled: 1-line block ×16, first 2 shown]
	v_lshl_add_u64 v[12:13], v[164:165], 4, s[0:1]
	global_load_dwordx4 v[156:159], v[46:47], off
	global_load_dwordx4 v[164:167], v[12:13], off
	;; [unrolled: 1-line block ×8, first 2 shown]
	v_lshl_add_u64 v[78:79], v[198:199], 4, s[0:1]
	global_load_dwordx4 v[196:199], v[76:77], off
	global_load_dwordx4 v[200:203], v[78:79], off
	v_ashrrev_i32_e32 v235, 31, v234
	s_waitcnt vmcnt(29)
	scratch_store_dwordx4 off, v[80:83], off offset:64
	v_ashrrev_i32_e32 v239, 31, v238
	v_ashrrev_i32_e32 v243, 31, v242
	v_lshl_add_u64 v[80:81], v[204:205], 4, s[0:1]
	global_load_dwordx4 v[204:207], v[80:81], off
	v_ashrrev_i32_e32 v247, 31, v246
	v_ashrrev_i32_e32 v251, 31, v250
	v_ashrrev_i32_e32 v131, 31, v130
	v_ashrrev_i32_e32 v135, 31, v134
	v_ashrrev_i32_e32 v9, 31, v8
	s_waitcnt vmcnt(29)
	scratch_store_dwordx4 off, v[84:87], off offset:80
	s_waitcnt vmcnt(29)
	scratch_store_dwordx4 off, v[88:91], off offset:96
	;; [unrolled: 2-line block ×17, first 2 shown]
	scratch_store_dwordx4 off, v[160:163], off offset:352
	s_waitcnt vmcnt(28)
	scratch_store_dwordx4 off, v[164:167], off offset:368
	scratch_store_dwordx4 off, v[168:171], off offset:384
	s_waitcnt vmcnt(29)
	scratch_store_dwordx4 off, v[172:175], off offset:400
	s_waitcnt vmcnt(29)
	;; [unrolled: 2-line block ×8, first 2 shown]
	scratch_store_dwordx4 off, v[200:203], off offset:512
	v_lshl_add_u64 v[82:83], v[208:209], 4, s[0:1]
	v_lshl_add_u64 v[84:85], v[210:211], 4, s[0:1]
	v_ashrrev_i32_e32 v213, 31, v212
	v_lshl_add_u64 v[88:89], v[214:215], 4, s[0:1]
	v_ashrrev_i32_e32 v217, 31, v216
	s_waitcnt vmcnt(28)
	scratch_store_dwordx4 off, v[204:207], off offset:528
	v_lshl_add_u64 v[92:93], v[218:219], 4, s[0:1]
	v_ashrrev_i32_e32 v221, 31, v220
	v_lshl_add_u64 v[96:97], v[222:223], 4, s[0:1]
	v_ashrrev_i32_e32 v225, 31, v224
	;; [unrolled: 2-line block ×12, first 2 shown]
	global_load_dwordx4 v[142:145], v[82:83], off
	v_lshl_add_u64 v[86:87], v[212:213], 4, s[0:1]
	global_load_dwordx4 v[146:149], v[84:85], off
	global_load_dwordx4 v[150:153], v[86:87], off
	v_lshl_add_u64 v[90:91], v[216:217], 4, s[0:1]
	global_load_dwordx4 v[154:157], v[88:89], off
	;; [unrolled: 3-line block ×14, first 2 shown]
	global_load_dwordx4 v[250:253], v[140:141], off
	v_accvgpr_write_b32 a4, v12
	v_accvgpr_write_b32 a6, v22
	s_cmpk_lg_i32 s5, 0x84
	v_accvgpr_write_b32 a5, v13
	v_accvgpr_write_b32 a7, v23
	s_cselect_b64 s[6:7], -1, 0
	s_cmpk_eq_i32 s5, 0x84
	s_waitcnt vmcnt(28)
	scratch_store_dwordx4 off, v[142:145], off offset:544
	s_waitcnt vmcnt(28)
	scratch_store_dwordx4 off, v[146:149], off offset:560
	;; [unrolled: 2-line block ×29, first 2 shown]
	scratch_store_dwordx4 off, v[2:5], off offset:1008
	s_cbranch_scc1 .LBB63_7
; %bb.2:
	scratch_load_dwordx4 v[8:11], v116, off
                                        ; implicit-def: $vgpr6_vgpr7
	s_waitcnt vmcnt(0)
	v_xor_b32_e32 v3, 0x80000000, v9
	v_cmp_gt_f64_e32 vcc, 0, v[8:9]
	v_xor_b32_e32 v4, 0x80000000, v11
	v_mov_b32_e32 v2, v8
	v_cndmask_b32_e32 v3, v9, v3, vcc
	v_cmp_gt_f64_e32 vcc, 0, v[10:11]
	s_nop 1
	v_cndmask_b32_e32 v5, v11, v4, vcc
	v_mov_b32_e32 v4, v10
	v_cmp_ngt_f64_e32 vcc, v[2:3], v[4:5]
                                        ; implicit-def: $vgpr2_vgpr3
	s_and_saveexec_b64 s[0:1], vcc
	s_xor_b64 s[0:1], exec, s[0:1]
	s_cbranch_execz .LBB63_4
; %bb.3:
	v_div_scale_f64 v[2:3], s[2:3], v[10:11], v[10:11], v[8:9]
	v_rcp_f64_e32 v[4:5], v[2:3]
	v_div_scale_f64 v[6:7], vcc, v[8:9], v[10:11], v[8:9]
	v_fma_f64 v[12:13], -v[2:3], v[4:5], 1.0
	v_fmac_f64_e32 v[4:5], v[4:5], v[12:13]
	v_fma_f64 v[12:13], -v[2:3], v[4:5], 1.0
	v_fmac_f64_e32 v[4:5], v[4:5], v[12:13]
	v_mul_f64 v[12:13], v[6:7], v[4:5]
	v_fma_f64 v[2:3], -v[2:3], v[12:13], v[6:7]
	v_div_fmas_f64 v[2:3], v[2:3], v[4:5], v[12:13]
	v_div_fixup_f64 v[2:3], v[2:3], v[10:11], v[8:9]
	v_fmac_f64_e32 v[10:11], v[8:9], v[2:3]
	v_div_scale_f64 v[4:5], s[2:3], v[10:11], v[10:11], 1.0
	v_rcp_f64_e32 v[6:7], v[4:5]
	s_nop 0
	v_fma_f64 v[8:9], -v[4:5], v[6:7], 1.0
	v_fmac_f64_e32 v[6:7], v[6:7], v[8:9]
	v_fma_f64 v[8:9], -v[4:5], v[6:7], 1.0
	v_fmac_f64_e32 v[6:7], v[6:7], v[8:9]
	v_div_scale_f64 v[8:9], vcc, 1.0, v[10:11], 1.0
	v_mul_f64 v[12:13], v[8:9], v[6:7]
	v_fma_f64 v[4:5], -v[4:5], v[12:13], v[8:9]
                                        ; implicit-def: $vgpr8_vgpr9
	s_nop 1
	v_div_fmas_f64 v[4:5], v[4:5], v[6:7], v[12:13]
	v_div_fixup_f64 v[4:5], v[4:5], v[10:11], 1.0
	v_mul_f64 v[2:3], v[2:3], v[4:5]
	v_xor_b32_e32 v5, 0x80000000, v5
	v_xor_b32_e32 v7, 0x80000000, v3
	v_mov_b32_e32 v6, v2
.LBB63_4:
	s_or_saveexec_b64 s[0:1], s[0:1]
	v_add_u32_e32 v117, 0, v116
	s_xor_b64 exec, exec, s[0:1]
	s_cbranch_execz .LBB63_6
; %bb.5:
	v_div_scale_f64 v[2:3], s[2:3], v[8:9], v[8:9], v[10:11]
	v_rcp_f64_e32 v[4:5], v[2:3]
	v_div_scale_f64 v[6:7], vcc, v[10:11], v[8:9], v[10:11]
	v_fma_f64 v[12:13], -v[2:3], v[4:5], 1.0
	v_fmac_f64_e32 v[4:5], v[4:5], v[12:13]
	v_fma_f64 v[12:13], -v[2:3], v[4:5], 1.0
	v_fmac_f64_e32 v[4:5], v[4:5], v[12:13]
	v_mul_f64 v[12:13], v[6:7], v[4:5]
	v_fma_f64 v[2:3], -v[2:3], v[12:13], v[6:7]
	v_div_fmas_f64 v[2:3], v[2:3], v[4:5], v[12:13]
	v_div_fixup_f64 v[4:5], v[2:3], v[8:9], v[10:11]
	v_fmac_f64_e32 v[8:9], v[10:11], v[4:5]
	v_div_scale_f64 v[2:3], s[2:3], v[8:9], v[8:9], 1.0
	v_rcp_f64_e32 v[6:7], v[2:3]
	s_nop 0
	v_fma_f64 v[10:11], -v[2:3], v[6:7], 1.0
	v_fmac_f64_e32 v[6:7], v[6:7], v[10:11]
	v_fma_f64 v[10:11], -v[2:3], v[6:7], 1.0
	v_fmac_f64_e32 v[6:7], v[6:7], v[10:11]
	v_div_scale_f64 v[10:11], vcc, 1.0, v[8:9], 1.0
	v_mul_f64 v[12:13], v[10:11], v[6:7]
	v_fma_f64 v[2:3], -v[2:3], v[12:13], v[10:11]
	s_nop 1
	v_div_fmas_f64 v[2:3], v[2:3], v[6:7], v[12:13]
	v_div_fixup_f64 v[2:3], v[2:3], v[8:9], 1.0
	v_xor_b32_e32 v7, 0x80000000, v3
	v_mov_b32_e32 v6, v2
	v_mul_f64 v[4:5], v[4:5], -v[2:3]
.LBB63_6:
	s_or_b64 exec, exec, s[0:1]
	scratch_store_dwordx4 v117, v[2:5], off
	s_nop 1
	v_xor_b32_e32 v5, 0x80000000, v5
	s_branch .LBB63_8
.LBB63_7:
	s_nop 0
	v_mov_b64_e32 v[4:5], 0
	v_mov_b64_e32 v[6:7], -1.0
.LBB63_8:
	v_mov_b32_e32 v8, v4
	v_mov_b32_e32 v9, v5
	v_add_u32_e32 v200, 16, v1
	v_add_u32_e32 v199, 32, v1
	;; [unrolled: 1-line block ×63, first 2 shown]
	ds_write_b128 v116, v[6:9]
	s_cmpk_eq_i32 s4, 0x79
	v_or_b32_e32 v9, 0x400, v116
	v_add_u32_e32 v8, 0, v116
	s_cbranch_scc1 .LBB63_874
; %bb.9:
	scratch_load_dwordx4 v[2:5], v34, off
	v_cmp_eq_u32_e64 s[0:1], 63, v0
	s_waitcnt vmcnt(0)
	ds_write_b128 v9, v[2:5]
	s_waitcnt lgkmcnt(0)
	; wave barrier
	s_waitcnt lgkmcnt(0)
	s_and_saveexec_b64 s[2:3], s[0:1]
	s_cbranch_execz .LBB63_13
; %bb.10:
	ds_read_b128 v[2:5], v9
	s_andn2_b64 vcc, exec, s[6:7]
	s_cbranch_vccnz .LBB63_12
; %bb.11:
	scratch_load_dwordx4 v[202:205], v8, off
	s_waitcnt vmcnt(0) lgkmcnt(0)
	v_mul_f64 v[10:11], v[2:3], v[204:205]
	v_mul_f64 v[6:7], v[4:5], v[204:205]
	v_fmac_f64_e32 v[10:11], v[4:5], v[202:203]
	v_fma_f64 v[2:3], v[2:3], v[202:203], -v[6:7]
	v_mov_b64_e32 v[4:5], v[10:11]
.LBB63_12:
	v_mov_b32_e32 v6, 0
	ds_read_b128 v[202:205], v6 offset:992
	s_waitcnt lgkmcnt(0)
	v_mul_f64 v[6:7], v[4:5], v[204:205]
	v_mul_f64 v[206:207], v[2:3], v[204:205]
	v_fma_f64 v[204:205], v[2:3], v[202:203], -v[6:7]
	v_fmac_f64_e32 v[206:207], v[4:5], v[202:203]
	scratch_store_dwordx4 off, v[204:207], off offset:992
.LBB63_13:
	s_or_b64 exec, exec, s[2:3]
	scratch_load_dwordx4 v[2:5], v35, off
	v_cmp_lt_u32_e64 s[2:3], 61, v0
	s_waitcnt vmcnt(0)
	ds_write_b128 v9, v[2:5]
	s_waitcnt lgkmcnt(0)
	; wave barrier
	s_waitcnt lgkmcnt(0)
	s_and_saveexec_b64 s[4:5], s[2:3]
	s_cbranch_execz .LBB63_19
; %bb.14:
	ds_read_b128 v[2:5], v9
	s_andn2_b64 vcc, exec, s[6:7]
	s_cbranch_vccnz .LBB63_16
; %bb.15:
	scratch_load_dwordx4 v[202:205], v8, off
	s_waitcnt vmcnt(0) lgkmcnt(0)
	v_mul_f64 v[10:11], v[2:3], v[204:205]
	v_mul_f64 v[6:7], v[4:5], v[204:205]
	v_fmac_f64_e32 v[10:11], v[4:5], v[202:203]
	v_fma_f64 v[2:3], v[2:3], v[202:203], -v[6:7]
	v_mov_b64_e32 v[4:5], v[10:11]
.LBB63_16:
	s_and_saveexec_b64 s[8:9], s[0:1]
	s_cbranch_execz .LBB63_18
; %bb.17:
	scratch_load_dwordx4 v[202:205], off, off offset:992
	v_mov_b32_e32 v6, 0
	ds_read_b128 v[206:209], v6 offset:2016
	s_waitcnt vmcnt(0) lgkmcnt(0)
	v_mul_f64 v[6:7], v[206:207], v[204:205]
	v_mul_f64 v[10:11], v[208:209], v[204:205]
	v_fmac_f64_e32 v[6:7], v[208:209], v[202:203]
	v_fma_f64 v[10:11], v[206:207], v[202:203], -v[10:11]
	v_add_f64 v[4:5], v[4:5], v[6:7]
	v_add_f64 v[2:3], v[2:3], v[10:11]
.LBB63_18:
	s_or_b64 exec, exec, s[8:9]
	v_mov_b32_e32 v6, 0
	ds_read_b128 v[202:205], v6 offset:976
	s_waitcnt lgkmcnt(0)
	v_mul_f64 v[6:7], v[4:5], v[204:205]
	v_mul_f64 v[206:207], v[2:3], v[204:205]
	v_fma_f64 v[204:205], v[2:3], v[202:203], -v[6:7]
	v_fmac_f64_e32 v[206:207], v[4:5], v[202:203]
	scratch_store_dwordx4 off, v[204:207], off offset:976
.LBB63_19:
	s_or_b64 exec, exec, s[4:5]
	scratch_load_dwordx4 v[2:5], v142, off
	v_cmp_lt_u32_e64 s[0:1], 60, v0
	s_waitcnt vmcnt(0)
	ds_write_b128 v9, v[2:5]
	s_waitcnt lgkmcnt(0)
	; wave barrier
	s_waitcnt lgkmcnt(0)
	s_and_saveexec_b64 s[4:5], s[0:1]
	s_cbranch_execz .LBB63_33
; %bb.20:
	ds_read_b128 v[2:5], v9
	s_andn2_b64 vcc, exec, s[6:7]
	s_cbranch_vccnz .LBB63_22
; %bb.21:
	scratch_load_dwordx4 v[202:205], v8, off
	s_waitcnt vmcnt(0) lgkmcnt(0)
	v_mul_f64 v[10:11], v[2:3], v[204:205]
	v_mul_f64 v[6:7], v[4:5], v[204:205]
	v_fmac_f64_e32 v[10:11], v[4:5], v[202:203]
	v_fma_f64 v[2:3], v[2:3], v[202:203], -v[6:7]
	v_mov_b64_e32 v[4:5], v[10:11]
.LBB63_22:
	s_and_saveexec_b64 s[8:9], s[2:3]
	s_cbranch_execz .LBB63_32
; %bb.23:
	v_subrev_u32_e32 v7, 62, v0
	v_subrev_u32_e32 v6, 61, v0
	v_cmp_lt_u32_e32 vcc, 6, v7
	v_mov_b32_e32 v202, 61
	s_and_saveexec_b64 s[2:3], vcc
	s_cbranch_execz .LBB63_27
; %bb.24:
	v_and_b32_e32 v7, -8, v6
	s_mov_b32 s12, 0
	s_mov_b64 s[10:11], 0
	v_mov_b32_e32 v201, 0
	s_mov_b32 s13, 0
.LBB63_25:                              ; =>This Inner Loop Header: Depth=1
	v_readfirstlane_b32 s14, v201
	s_add_i32 s14, s14, s12
	s_add_i32 s15, s14, 0x3d0
	v_mov_b32_e32 v28, s12
	ds_read_b128 v[202:205], v28 offset:2000
	ds_read_b128 v[206:209], v28 offset:2016
	ds_read_b128 v[210:213], v28 offset:2032
	ds_read_b128 v[214:217], v28 offset:2048
	scratch_load_dwordx4 v[218:221], off, s15
	s_add_i32 s15, s14, 0x3e0
	s_addk_i32 s12, 0x80
	s_waitcnt vmcnt(0) lgkmcnt(3)
	v_mul_f64 v[10:11], v[204:205], v[220:221]
	v_mul_f64 v[12:13], v[202:203], v[220:221]
	v_fma_f64 v[10:11], v[202:203], v[218:219], -v[10:11]
	v_fmac_f64_e32 v[12:13], v[204:205], v[218:219]
	v_add_f64 v[10:11], v[2:3], v[10:11]
	v_add_f64 v[12:13], v[4:5], v[12:13]
	scratch_load_dwordx4 v[2:5], off, s15
	s_add_i32 s15, s14, 0x3f0
	s_waitcnt vmcnt(0) lgkmcnt(2)
	v_mul_f64 v[22:23], v[208:209], v[4:5]
	v_mul_f64 v[4:5], v[206:207], v[4:5]
	v_fmac_f64_e32 v[4:5], v[208:209], v[2:3]
	v_fma_f64 v[22:23], v[206:207], v[2:3], -v[22:23]
	v_add_f64 v[12:13], v[12:13], v[4:5]
	scratch_load_dwordx4 v[2:5], off, s15
	v_add_f64 v[10:11], v[10:11], v[22:23]
	s_add_i32 s15, s14, 0x400
	s_waitcnt vmcnt(0) lgkmcnt(1)
	v_mul_f64 v[22:23], v[212:213], v[4:5]
	v_mul_f64 v[4:5], v[210:211], v[4:5]
	v_fmac_f64_e32 v[4:5], v[212:213], v[2:3]
	v_fma_f64 v[22:23], v[210:211], v[2:3], -v[22:23]
	v_add_f64 v[12:13], v[12:13], v[4:5]
	scratch_load_dwordx4 v[2:5], off, s15
	s_add_i32 s15, s14, 0x410
	scratch_load_dwordx4 v[202:205], off, s15
	v_add_f64 v[10:11], v[10:11], v[22:23]
	s_add_i32 s15, s14, 0x420
	s_waitcnt vmcnt(1) lgkmcnt(0)
	v_mul_f64 v[22:23], v[216:217], v[4:5]
	v_mul_f64 v[4:5], v[214:215], v[4:5]
	v_fmac_f64_e32 v[4:5], v[216:217], v[2:3]
	v_fma_f64 v[22:23], v[214:215], v[2:3], -v[22:23]
	v_add_f64 v[12:13], v[12:13], v[4:5]
	ds_read_b128 v[2:5], v28 offset:2064
	v_add_f64 v[10:11], v[10:11], v[22:23]
	s_waitcnt vmcnt(0) lgkmcnt(0)
	v_mul_f64 v[22:23], v[4:5], v[204:205]
	v_fma_f64 v[22:23], v[2:3], v[202:203], -v[22:23]
	v_mul_f64 v[2:3], v[2:3], v[204:205]
	v_fmac_f64_e32 v[2:3], v[4:5], v[202:203]
	scratch_load_dwordx4 v[202:205], off, s15
	v_add_f64 v[12:13], v[12:13], v[2:3]
	ds_read_b128 v[2:5], v28 offset:2080
	v_add_f64 v[10:11], v[10:11], v[22:23]
	s_add_i32 s15, s14, 0x430
	s_addk_i32 s14, 0x440
	s_waitcnt vmcnt(0) lgkmcnt(0)
	v_mul_f64 v[22:23], v[4:5], v[204:205]
	v_fma_f64 v[22:23], v[2:3], v[202:203], -v[22:23]
	v_mul_f64 v[2:3], v[2:3], v[204:205]
	v_fmac_f64_e32 v[2:3], v[4:5], v[202:203]
	scratch_load_dwordx4 v[202:205], off, s15
	v_add_f64 v[12:13], v[12:13], v[2:3]
	ds_read_b128 v[2:5], v28 offset:2096
	v_add_f64 v[10:11], v[10:11], v[22:23]
	s_waitcnt vmcnt(0) lgkmcnt(0)
	v_mul_f64 v[22:23], v[4:5], v[204:205]
	v_fma_f64 v[22:23], v[2:3], v[202:203], -v[22:23]
	v_mul_f64 v[2:3], v[2:3], v[204:205]
	v_fmac_f64_e32 v[2:3], v[4:5], v[202:203]
	scratch_load_dwordx4 v[202:205], off, s14
	v_add_f64 v[12:13], v[12:13], v[2:3]
	ds_read_b128 v[2:5], v28 offset:2112
	v_add_f64 v[10:11], v[10:11], v[22:23]
	s_add_i32 s14, s13, 8
	v_cmp_eq_u32_e32 vcc, s14, v7
	s_addk_i32 s13, 0x45
	s_or_b64 s[10:11], vcc, s[10:11]
	s_waitcnt vmcnt(0) lgkmcnt(0)
	v_mul_f64 v[22:23], v[4:5], v[204:205]
	v_mul_f64 v[28:29], v[2:3], v[204:205]
	v_fma_f64 v[22:23], v[2:3], v[202:203], -v[22:23]
	v_fmac_f64_e32 v[28:29], v[4:5], v[202:203]
	v_add_f64 v[2:3], v[10:11], v[22:23]
	v_add_f64 v[4:5], v[12:13], v[28:29]
	v_mov_b32_e32 v202, s13
	s_mov_b32 s13, s14
	s_andn2_b64 exec, exec, s[10:11]
	s_cbranch_execnz .LBB63_25
; %bb.26:
	s_or_b64 exec, exec, s[10:11]
.LBB63_27:
	s_or_b64 exec, exec, s[2:3]
	v_and_b32_e32 v6, 7, v6
	v_cmp_ne_u32_e32 vcc, 0, v6
	s_and_saveexec_b64 s[2:3], vcc
	s_cbranch_execz .LBB63_31
; %bb.28:
	v_lshlrev_b32_e32 v10, 4, v202
	v_add_u32_e32 v7, 0x400, v10
	v_add_u32_e32 v201, 0, v10
	s_mov_b64 s[10:11], 0
.LBB63_29:                              ; =>This Inner Loop Header: Depth=1
	scratch_load_dwordx4 v[202:205], v201, off
	ds_read_b128 v[206:209], v7
	v_add_u32_e32 v6, -1, v6
	v_cmp_eq_u32_e32 vcc, 0, v6
	v_add_u32_e32 v7, 16, v7
	v_add_u32_e32 v201, 16, v201
	s_or_b64 s[10:11], vcc, s[10:11]
	s_waitcnt vmcnt(0) lgkmcnt(0)
	v_mul_f64 v[10:11], v[208:209], v[204:205]
	v_mul_f64 v[12:13], v[206:207], v[204:205]
	v_fma_f64 v[10:11], v[206:207], v[202:203], -v[10:11]
	v_fmac_f64_e32 v[12:13], v[208:209], v[202:203]
	v_add_f64 v[2:3], v[2:3], v[10:11]
	v_add_f64 v[4:5], v[4:5], v[12:13]
	s_andn2_b64 exec, exec, s[10:11]
	s_cbranch_execnz .LBB63_29
; %bb.30:
	s_or_b64 exec, exec, s[10:11]
.LBB63_31:
	s_or_b64 exec, exec, s[2:3]
.LBB63_32:
	s_or_b64 exec, exec, s[8:9]
	v_mov_b32_e32 v6, 0
	ds_read_b128 v[202:205], v6 offset:960
	s_waitcnt lgkmcnt(0)
	v_mul_f64 v[6:7], v[4:5], v[204:205]
	v_mul_f64 v[206:207], v[2:3], v[204:205]
	v_fma_f64 v[204:205], v[2:3], v[202:203], -v[6:7]
	v_fmac_f64_e32 v[206:207], v[4:5], v[202:203]
	scratch_store_dwordx4 off, v[204:207], off offset:960
.LBB63_33:
	s_or_b64 exec, exec, s[4:5]
	scratch_load_dwordx4 v[2:5], v143, off
	v_cmp_lt_u32_e64 s[2:3], 59, v0
	s_waitcnt vmcnt(0)
	ds_write_b128 v9, v[2:5]
	s_waitcnt lgkmcnt(0)
	; wave barrier
	s_waitcnt lgkmcnt(0)
	s_and_saveexec_b64 s[4:5], s[2:3]
	s_cbranch_execz .LBB63_47
; %bb.34:
	ds_read_b128 v[2:5], v9
	s_andn2_b64 vcc, exec, s[6:7]
	s_cbranch_vccnz .LBB63_36
; %bb.35:
	scratch_load_dwordx4 v[202:205], v8, off
	s_waitcnt vmcnt(0) lgkmcnt(0)
	v_mul_f64 v[10:11], v[2:3], v[204:205]
	v_mul_f64 v[6:7], v[4:5], v[204:205]
	v_fmac_f64_e32 v[10:11], v[4:5], v[202:203]
	v_fma_f64 v[2:3], v[2:3], v[202:203], -v[6:7]
	v_mov_b64_e32 v[4:5], v[10:11]
.LBB63_36:
	s_and_saveexec_b64 s[8:9], s[0:1]
	s_cbranch_execz .LBB63_46
; %bb.37:
	v_subrev_u32_e32 v7, 61, v0
	v_subrev_u32_e32 v6, 60, v0
	v_cmp_lt_u32_e32 vcc, 6, v7
	v_mov_b32_e32 v202, 60
	s_and_saveexec_b64 s[0:1], vcc
	s_cbranch_execz .LBB63_41
; %bb.38:
	v_and_b32_e32 v7, -8, v6
	s_mov_b32 s12, 0
	s_mov_b64 s[10:11], 0
	v_mov_b32_e32 v201, 0
	s_mov_b32 s13, 0
.LBB63_39:                              ; =>This Inner Loop Header: Depth=1
	v_readfirstlane_b32 s14, v201
	s_add_i32 s14, s14, s12
	s_add_i32 s15, s14, 0x3c0
	v_mov_b32_e32 v28, s12
	ds_read_b128 v[202:205], v28 offset:1984
	ds_read_b128 v[206:209], v28 offset:2000
	;; [unrolled: 1-line block ×4, first 2 shown]
	scratch_load_dwordx4 v[218:221], off, s15
	s_add_i32 s15, s14, 0x3d0
	s_addk_i32 s12, 0x80
	s_waitcnt vmcnt(0) lgkmcnt(3)
	v_mul_f64 v[10:11], v[204:205], v[220:221]
	v_mul_f64 v[12:13], v[202:203], v[220:221]
	v_fma_f64 v[10:11], v[202:203], v[218:219], -v[10:11]
	v_fmac_f64_e32 v[12:13], v[204:205], v[218:219]
	v_add_f64 v[10:11], v[2:3], v[10:11]
	v_add_f64 v[12:13], v[4:5], v[12:13]
	scratch_load_dwordx4 v[2:5], off, s15
	s_add_i32 s15, s14, 0x3e0
	s_waitcnt vmcnt(0) lgkmcnt(2)
	v_mul_f64 v[22:23], v[208:209], v[4:5]
	v_mul_f64 v[4:5], v[206:207], v[4:5]
	v_fmac_f64_e32 v[4:5], v[208:209], v[2:3]
	v_fma_f64 v[22:23], v[206:207], v[2:3], -v[22:23]
	v_add_f64 v[12:13], v[12:13], v[4:5]
	scratch_load_dwordx4 v[2:5], off, s15
	v_add_f64 v[10:11], v[10:11], v[22:23]
	s_add_i32 s15, s14, 0x3f0
	s_waitcnt vmcnt(0) lgkmcnt(1)
	v_mul_f64 v[22:23], v[212:213], v[4:5]
	v_mul_f64 v[4:5], v[210:211], v[4:5]
	v_fmac_f64_e32 v[4:5], v[212:213], v[2:3]
	v_fma_f64 v[22:23], v[210:211], v[2:3], -v[22:23]
	v_add_f64 v[12:13], v[12:13], v[4:5]
	scratch_load_dwordx4 v[2:5], off, s15
	s_add_i32 s15, s14, 0x400
	scratch_load_dwordx4 v[202:205], off, s15
	v_add_f64 v[10:11], v[10:11], v[22:23]
	s_add_i32 s15, s14, 0x410
	s_waitcnt vmcnt(1) lgkmcnt(0)
	v_mul_f64 v[22:23], v[216:217], v[4:5]
	v_mul_f64 v[4:5], v[214:215], v[4:5]
	v_fmac_f64_e32 v[4:5], v[216:217], v[2:3]
	v_fma_f64 v[22:23], v[214:215], v[2:3], -v[22:23]
	v_add_f64 v[12:13], v[12:13], v[4:5]
	ds_read_b128 v[2:5], v28 offset:2048
	v_add_f64 v[10:11], v[10:11], v[22:23]
	s_waitcnt vmcnt(0) lgkmcnt(0)
	v_mul_f64 v[22:23], v[4:5], v[204:205]
	v_fma_f64 v[22:23], v[2:3], v[202:203], -v[22:23]
	v_mul_f64 v[2:3], v[2:3], v[204:205]
	v_fmac_f64_e32 v[2:3], v[4:5], v[202:203]
	scratch_load_dwordx4 v[202:205], off, s15
	v_add_f64 v[12:13], v[12:13], v[2:3]
	ds_read_b128 v[2:5], v28 offset:2064
	v_add_f64 v[10:11], v[10:11], v[22:23]
	s_add_i32 s15, s14, 0x420
	s_addk_i32 s14, 0x430
	s_waitcnt vmcnt(0) lgkmcnt(0)
	v_mul_f64 v[22:23], v[4:5], v[204:205]
	v_fma_f64 v[22:23], v[2:3], v[202:203], -v[22:23]
	v_mul_f64 v[2:3], v[2:3], v[204:205]
	v_fmac_f64_e32 v[2:3], v[4:5], v[202:203]
	scratch_load_dwordx4 v[202:205], off, s15
	v_add_f64 v[12:13], v[12:13], v[2:3]
	ds_read_b128 v[2:5], v28 offset:2080
	v_add_f64 v[10:11], v[10:11], v[22:23]
	s_waitcnt vmcnt(0) lgkmcnt(0)
	v_mul_f64 v[22:23], v[4:5], v[204:205]
	v_fma_f64 v[22:23], v[2:3], v[202:203], -v[22:23]
	v_mul_f64 v[2:3], v[2:3], v[204:205]
	v_fmac_f64_e32 v[2:3], v[4:5], v[202:203]
	scratch_load_dwordx4 v[202:205], off, s14
	v_add_f64 v[12:13], v[12:13], v[2:3]
	ds_read_b128 v[2:5], v28 offset:2096
	v_add_f64 v[10:11], v[10:11], v[22:23]
	s_add_i32 s14, s13, 8
	v_cmp_eq_u32_e32 vcc, s14, v7
	s_addk_i32 s13, 0x44
	s_or_b64 s[10:11], vcc, s[10:11]
	s_waitcnt vmcnt(0) lgkmcnt(0)
	v_mul_f64 v[22:23], v[4:5], v[204:205]
	v_mul_f64 v[28:29], v[2:3], v[204:205]
	v_fma_f64 v[22:23], v[2:3], v[202:203], -v[22:23]
	v_fmac_f64_e32 v[28:29], v[4:5], v[202:203]
	v_add_f64 v[2:3], v[10:11], v[22:23]
	v_add_f64 v[4:5], v[12:13], v[28:29]
	v_mov_b32_e32 v202, s13
	s_mov_b32 s13, s14
	s_andn2_b64 exec, exec, s[10:11]
	s_cbranch_execnz .LBB63_39
; %bb.40:
	s_or_b64 exec, exec, s[10:11]
.LBB63_41:
	s_or_b64 exec, exec, s[0:1]
	v_and_b32_e32 v6, 7, v6
	v_cmp_ne_u32_e32 vcc, 0, v6
	s_and_saveexec_b64 s[0:1], vcc
	s_cbranch_execz .LBB63_45
; %bb.42:
	v_lshlrev_b32_e32 v10, 4, v202
	v_add_u32_e32 v7, 0x400, v10
	v_add_u32_e32 v201, 0, v10
	s_mov_b64 s[10:11], 0
.LBB63_43:                              ; =>This Inner Loop Header: Depth=1
	scratch_load_dwordx4 v[202:205], v201, off
	ds_read_b128 v[206:209], v7
	v_add_u32_e32 v6, -1, v6
	v_cmp_eq_u32_e32 vcc, 0, v6
	v_add_u32_e32 v7, 16, v7
	v_add_u32_e32 v201, 16, v201
	s_or_b64 s[10:11], vcc, s[10:11]
	s_waitcnt vmcnt(0) lgkmcnt(0)
	v_mul_f64 v[10:11], v[208:209], v[204:205]
	v_mul_f64 v[12:13], v[206:207], v[204:205]
	v_fma_f64 v[10:11], v[206:207], v[202:203], -v[10:11]
	v_fmac_f64_e32 v[12:13], v[208:209], v[202:203]
	v_add_f64 v[2:3], v[2:3], v[10:11]
	v_add_f64 v[4:5], v[4:5], v[12:13]
	s_andn2_b64 exec, exec, s[10:11]
	s_cbranch_execnz .LBB63_43
; %bb.44:
	s_or_b64 exec, exec, s[10:11]
.LBB63_45:
	s_or_b64 exec, exec, s[0:1]
.LBB63_46:
	s_or_b64 exec, exec, s[8:9]
	v_mov_b32_e32 v6, 0
	ds_read_b128 v[202:205], v6 offset:944
	s_waitcnt lgkmcnt(0)
	v_mul_f64 v[6:7], v[4:5], v[204:205]
	v_mul_f64 v[206:207], v[2:3], v[204:205]
	v_fma_f64 v[204:205], v[2:3], v[202:203], -v[6:7]
	v_fmac_f64_e32 v[206:207], v[4:5], v[202:203]
	scratch_store_dwordx4 off, v[204:207], off offset:944
.LBB63_47:
	s_or_b64 exec, exec, s[4:5]
	scratch_load_dwordx4 v[2:5], v144, off
	v_cmp_lt_u32_e64 s[0:1], 58, v0
	s_waitcnt vmcnt(0)
	ds_write_b128 v9, v[2:5]
	s_waitcnt lgkmcnt(0)
	; wave barrier
	s_waitcnt lgkmcnt(0)
	s_and_saveexec_b64 s[4:5], s[0:1]
	s_cbranch_execz .LBB63_61
; %bb.48:
	ds_read_b128 v[2:5], v9
	s_andn2_b64 vcc, exec, s[6:7]
	s_cbranch_vccnz .LBB63_50
; %bb.49:
	scratch_load_dwordx4 v[202:205], v8, off
	s_waitcnt vmcnt(0) lgkmcnt(0)
	v_mul_f64 v[10:11], v[2:3], v[204:205]
	v_mul_f64 v[6:7], v[4:5], v[204:205]
	v_fmac_f64_e32 v[10:11], v[4:5], v[202:203]
	v_fma_f64 v[2:3], v[2:3], v[202:203], -v[6:7]
	v_mov_b64_e32 v[4:5], v[10:11]
.LBB63_50:
	s_and_saveexec_b64 s[8:9], s[2:3]
	s_cbranch_execz .LBB63_60
; %bb.51:
	v_subrev_u32_e32 v7, 60, v0
	v_subrev_u32_e32 v6, 59, v0
	v_cmp_lt_u32_e32 vcc, 6, v7
	v_mov_b32_e32 v202, 59
	s_and_saveexec_b64 s[2:3], vcc
	s_cbranch_execz .LBB63_55
; %bb.52:
	v_and_b32_e32 v7, -8, v6
	s_mov_b32 s12, 0
	s_mov_b64 s[10:11], 0
	v_mov_b32_e32 v201, 0
	s_mov_b32 s13, 0
.LBB63_53:                              ; =>This Inner Loop Header: Depth=1
	v_readfirstlane_b32 s14, v201
	s_add_i32 s14, s14, s12
	s_add_i32 s15, s14, 0x3b0
	v_mov_b32_e32 v28, s12
	ds_read_b128 v[202:205], v28 offset:1968
	ds_read_b128 v[206:209], v28 offset:1984
	;; [unrolled: 1-line block ×4, first 2 shown]
	scratch_load_dwordx4 v[218:221], off, s15
	s_add_i32 s15, s14, 0x3c0
	s_addk_i32 s12, 0x80
	s_waitcnt vmcnt(0) lgkmcnt(3)
	v_mul_f64 v[10:11], v[204:205], v[220:221]
	v_mul_f64 v[12:13], v[202:203], v[220:221]
	v_fma_f64 v[10:11], v[202:203], v[218:219], -v[10:11]
	v_fmac_f64_e32 v[12:13], v[204:205], v[218:219]
	v_add_f64 v[10:11], v[2:3], v[10:11]
	v_add_f64 v[12:13], v[4:5], v[12:13]
	scratch_load_dwordx4 v[2:5], off, s15
	s_add_i32 s15, s14, 0x3d0
	s_waitcnt vmcnt(0) lgkmcnt(2)
	v_mul_f64 v[22:23], v[208:209], v[4:5]
	v_mul_f64 v[4:5], v[206:207], v[4:5]
	v_fmac_f64_e32 v[4:5], v[208:209], v[2:3]
	v_fma_f64 v[22:23], v[206:207], v[2:3], -v[22:23]
	v_add_f64 v[12:13], v[12:13], v[4:5]
	scratch_load_dwordx4 v[2:5], off, s15
	v_add_f64 v[10:11], v[10:11], v[22:23]
	s_add_i32 s15, s14, 0x3e0
	s_waitcnt vmcnt(0) lgkmcnt(1)
	v_mul_f64 v[22:23], v[212:213], v[4:5]
	v_mul_f64 v[4:5], v[210:211], v[4:5]
	v_fmac_f64_e32 v[4:5], v[212:213], v[2:3]
	v_fma_f64 v[22:23], v[210:211], v[2:3], -v[22:23]
	v_add_f64 v[12:13], v[12:13], v[4:5]
	scratch_load_dwordx4 v[2:5], off, s15
	s_add_i32 s15, s14, 0x3f0
	scratch_load_dwordx4 v[202:205], off, s15
	v_add_f64 v[10:11], v[10:11], v[22:23]
	s_add_i32 s15, s14, 0x400
	s_waitcnt vmcnt(1) lgkmcnt(0)
	v_mul_f64 v[22:23], v[216:217], v[4:5]
	v_mul_f64 v[4:5], v[214:215], v[4:5]
	v_fmac_f64_e32 v[4:5], v[216:217], v[2:3]
	v_fma_f64 v[22:23], v[214:215], v[2:3], -v[22:23]
	v_add_f64 v[12:13], v[12:13], v[4:5]
	ds_read_b128 v[2:5], v28 offset:2032
	v_add_f64 v[10:11], v[10:11], v[22:23]
	s_waitcnt vmcnt(0) lgkmcnt(0)
	v_mul_f64 v[22:23], v[4:5], v[204:205]
	v_fma_f64 v[22:23], v[2:3], v[202:203], -v[22:23]
	v_mul_f64 v[2:3], v[2:3], v[204:205]
	v_fmac_f64_e32 v[2:3], v[4:5], v[202:203]
	scratch_load_dwordx4 v[202:205], off, s15
	v_add_f64 v[12:13], v[12:13], v[2:3]
	ds_read_b128 v[2:5], v28 offset:2048
	v_add_f64 v[10:11], v[10:11], v[22:23]
	s_add_i32 s15, s14, 0x410
	s_addk_i32 s14, 0x420
	s_waitcnt vmcnt(0) lgkmcnt(0)
	v_mul_f64 v[22:23], v[4:5], v[204:205]
	v_fma_f64 v[22:23], v[2:3], v[202:203], -v[22:23]
	v_mul_f64 v[2:3], v[2:3], v[204:205]
	v_fmac_f64_e32 v[2:3], v[4:5], v[202:203]
	scratch_load_dwordx4 v[202:205], off, s15
	v_add_f64 v[12:13], v[12:13], v[2:3]
	ds_read_b128 v[2:5], v28 offset:2064
	v_add_f64 v[10:11], v[10:11], v[22:23]
	s_waitcnt vmcnt(0) lgkmcnt(0)
	v_mul_f64 v[22:23], v[4:5], v[204:205]
	v_fma_f64 v[22:23], v[2:3], v[202:203], -v[22:23]
	v_mul_f64 v[2:3], v[2:3], v[204:205]
	v_fmac_f64_e32 v[2:3], v[4:5], v[202:203]
	scratch_load_dwordx4 v[202:205], off, s14
	v_add_f64 v[12:13], v[12:13], v[2:3]
	ds_read_b128 v[2:5], v28 offset:2080
	v_add_f64 v[10:11], v[10:11], v[22:23]
	s_add_i32 s14, s13, 8
	v_cmp_eq_u32_e32 vcc, s14, v7
	s_addk_i32 s13, 0x43
	s_or_b64 s[10:11], vcc, s[10:11]
	s_waitcnt vmcnt(0) lgkmcnt(0)
	v_mul_f64 v[22:23], v[4:5], v[204:205]
	v_mul_f64 v[28:29], v[2:3], v[204:205]
	v_fma_f64 v[22:23], v[2:3], v[202:203], -v[22:23]
	v_fmac_f64_e32 v[28:29], v[4:5], v[202:203]
	v_add_f64 v[2:3], v[10:11], v[22:23]
	v_add_f64 v[4:5], v[12:13], v[28:29]
	v_mov_b32_e32 v202, s13
	s_mov_b32 s13, s14
	s_andn2_b64 exec, exec, s[10:11]
	s_cbranch_execnz .LBB63_53
; %bb.54:
	s_or_b64 exec, exec, s[10:11]
.LBB63_55:
	s_or_b64 exec, exec, s[2:3]
	v_and_b32_e32 v6, 7, v6
	v_cmp_ne_u32_e32 vcc, 0, v6
	s_and_saveexec_b64 s[2:3], vcc
	s_cbranch_execz .LBB63_59
; %bb.56:
	v_lshlrev_b32_e32 v10, 4, v202
	v_add_u32_e32 v7, 0x400, v10
	v_add_u32_e32 v201, 0, v10
	s_mov_b64 s[10:11], 0
.LBB63_57:                              ; =>This Inner Loop Header: Depth=1
	scratch_load_dwordx4 v[202:205], v201, off
	ds_read_b128 v[206:209], v7
	v_add_u32_e32 v6, -1, v6
	v_cmp_eq_u32_e32 vcc, 0, v6
	v_add_u32_e32 v7, 16, v7
	v_add_u32_e32 v201, 16, v201
	s_or_b64 s[10:11], vcc, s[10:11]
	s_waitcnt vmcnt(0) lgkmcnt(0)
	v_mul_f64 v[10:11], v[208:209], v[204:205]
	v_mul_f64 v[12:13], v[206:207], v[204:205]
	v_fma_f64 v[10:11], v[206:207], v[202:203], -v[10:11]
	v_fmac_f64_e32 v[12:13], v[208:209], v[202:203]
	v_add_f64 v[2:3], v[2:3], v[10:11]
	v_add_f64 v[4:5], v[4:5], v[12:13]
	s_andn2_b64 exec, exec, s[10:11]
	s_cbranch_execnz .LBB63_57
; %bb.58:
	s_or_b64 exec, exec, s[10:11]
.LBB63_59:
	s_or_b64 exec, exec, s[2:3]
.LBB63_60:
	s_or_b64 exec, exec, s[8:9]
	v_mov_b32_e32 v6, 0
	ds_read_b128 v[202:205], v6 offset:928
	s_waitcnt lgkmcnt(0)
	v_mul_f64 v[6:7], v[4:5], v[204:205]
	v_mul_f64 v[206:207], v[2:3], v[204:205]
	v_fma_f64 v[204:205], v[2:3], v[202:203], -v[6:7]
	v_fmac_f64_e32 v[206:207], v[4:5], v[202:203]
	scratch_store_dwordx4 off, v[204:207], off offset:928
.LBB63_61:
	s_or_b64 exec, exec, s[4:5]
	scratch_load_dwordx4 v[2:5], v117, off
	v_cmp_lt_u32_e64 s[2:3], 57, v0
	s_waitcnt vmcnt(0)
	ds_write_b128 v9, v[2:5]
	s_waitcnt lgkmcnt(0)
	; wave barrier
	s_waitcnt lgkmcnt(0)
	s_and_saveexec_b64 s[4:5], s[2:3]
	s_cbranch_execz .LBB63_75
; %bb.62:
	ds_read_b128 v[2:5], v9
	s_andn2_b64 vcc, exec, s[6:7]
	s_cbranch_vccnz .LBB63_64
; %bb.63:
	scratch_load_dwordx4 v[202:205], v8, off
	s_waitcnt vmcnt(0) lgkmcnt(0)
	v_mul_f64 v[10:11], v[2:3], v[204:205]
	v_mul_f64 v[6:7], v[4:5], v[204:205]
	v_fmac_f64_e32 v[10:11], v[4:5], v[202:203]
	v_fma_f64 v[2:3], v[2:3], v[202:203], -v[6:7]
	v_mov_b64_e32 v[4:5], v[10:11]
.LBB63_64:
	s_and_saveexec_b64 s[8:9], s[0:1]
	s_cbranch_execz .LBB63_74
; %bb.65:
	v_subrev_u32_e32 v7, 59, v0
	v_subrev_u32_e32 v6, 58, v0
	v_cmp_lt_u32_e32 vcc, 6, v7
	v_mov_b32_e32 v202, 58
	s_and_saveexec_b64 s[0:1], vcc
	s_cbranch_execz .LBB63_69
; %bb.66:
	v_and_b32_e32 v7, -8, v6
	s_mov_b32 s12, 0
	s_mov_b64 s[10:11], 0
	v_mov_b32_e32 v201, 0
	s_mov_b32 s13, 0
.LBB63_67:                              ; =>This Inner Loop Header: Depth=1
	v_readfirstlane_b32 s14, v201
	s_add_i32 s14, s14, s12
	s_add_i32 s15, s14, 0x3a0
	v_mov_b32_e32 v28, s12
	ds_read_b128 v[202:205], v28 offset:1952
	ds_read_b128 v[206:209], v28 offset:1968
	;; [unrolled: 1-line block ×4, first 2 shown]
	scratch_load_dwordx4 v[218:221], off, s15
	s_add_i32 s15, s14, 0x3b0
	s_addk_i32 s12, 0x80
	s_waitcnt vmcnt(0) lgkmcnt(3)
	v_mul_f64 v[10:11], v[204:205], v[220:221]
	v_mul_f64 v[12:13], v[202:203], v[220:221]
	v_fma_f64 v[10:11], v[202:203], v[218:219], -v[10:11]
	v_fmac_f64_e32 v[12:13], v[204:205], v[218:219]
	v_add_f64 v[10:11], v[2:3], v[10:11]
	v_add_f64 v[12:13], v[4:5], v[12:13]
	scratch_load_dwordx4 v[2:5], off, s15
	s_add_i32 s15, s14, 0x3c0
	s_waitcnt vmcnt(0) lgkmcnt(2)
	v_mul_f64 v[22:23], v[208:209], v[4:5]
	v_mul_f64 v[4:5], v[206:207], v[4:5]
	v_fmac_f64_e32 v[4:5], v[208:209], v[2:3]
	v_fma_f64 v[22:23], v[206:207], v[2:3], -v[22:23]
	v_add_f64 v[12:13], v[12:13], v[4:5]
	scratch_load_dwordx4 v[2:5], off, s15
	v_add_f64 v[10:11], v[10:11], v[22:23]
	s_add_i32 s15, s14, 0x3d0
	s_waitcnt vmcnt(0) lgkmcnt(1)
	v_mul_f64 v[22:23], v[212:213], v[4:5]
	v_mul_f64 v[4:5], v[210:211], v[4:5]
	v_fmac_f64_e32 v[4:5], v[212:213], v[2:3]
	v_fma_f64 v[22:23], v[210:211], v[2:3], -v[22:23]
	v_add_f64 v[12:13], v[12:13], v[4:5]
	scratch_load_dwordx4 v[2:5], off, s15
	s_add_i32 s15, s14, 0x3e0
	scratch_load_dwordx4 v[202:205], off, s15
	v_add_f64 v[10:11], v[10:11], v[22:23]
	s_add_i32 s15, s14, 0x3f0
	s_waitcnt vmcnt(1) lgkmcnt(0)
	v_mul_f64 v[22:23], v[216:217], v[4:5]
	v_mul_f64 v[4:5], v[214:215], v[4:5]
	v_fmac_f64_e32 v[4:5], v[216:217], v[2:3]
	v_fma_f64 v[22:23], v[214:215], v[2:3], -v[22:23]
	v_add_f64 v[12:13], v[12:13], v[4:5]
	ds_read_b128 v[2:5], v28 offset:2016
	v_add_f64 v[10:11], v[10:11], v[22:23]
	s_waitcnt vmcnt(0) lgkmcnt(0)
	v_mul_f64 v[22:23], v[4:5], v[204:205]
	v_fma_f64 v[22:23], v[2:3], v[202:203], -v[22:23]
	v_mul_f64 v[2:3], v[2:3], v[204:205]
	v_fmac_f64_e32 v[2:3], v[4:5], v[202:203]
	scratch_load_dwordx4 v[202:205], off, s15
	v_add_f64 v[12:13], v[12:13], v[2:3]
	ds_read_b128 v[2:5], v28 offset:2032
	v_add_f64 v[10:11], v[10:11], v[22:23]
	s_add_i32 s15, s14, 0x400
	s_addk_i32 s14, 0x410
	s_waitcnt vmcnt(0) lgkmcnt(0)
	v_mul_f64 v[22:23], v[4:5], v[204:205]
	v_fma_f64 v[22:23], v[2:3], v[202:203], -v[22:23]
	v_mul_f64 v[2:3], v[2:3], v[204:205]
	v_fmac_f64_e32 v[2:3], v[4:5], v[202:203]
	scratch_load_dwordx4 v[202:205], off, s15
	v_add_f64 v[12:13], v[12:13], v[2:3]
	ds_read_b128 v[2:5], v28 offset:2048
	v_add_f64 v[10:11], v[10:11], v[22:23]
	s_waitcnt vmcnt(0) lgkmcnt(0)
	v_mul_f64 v[22:23], v[4:5], v[204:205]
	v_fma_f64 v[22:23], v[2:3], v[202:203], -v[22:23]
	v_mul_f64 v[2:3], v[2:3], v[204:205]
	v_fmac_f64_e32 v[2:3], v[4:5], v[202:203]
	scratch_load_dwordx4 v[202:205], off, s14
	v_add_f64 v[12:13], v[12:13], v[2:3]
	ds_read_b128 v[2:5], v28 offset:2064
	v_add_f64 v[10:11], v[10:11], v[22:23]
	s_add_i32 s14, s13, 8
	v_cmp_eq_u32_e32 vcc, s14, v7
	s_addk_i32 s13, 0x42
	s_or_b64 s[10:11], vcc, s[10:11]
	s_waitcnt vmcnt(0) lgkmcnt(0)
	v_mul_f64 v[22:23], v[4:5], v[204:205]
	v_mul_f64 v[28:29], v[2:3], v[204:205]
	v_fma_f64 v[22:23], v[2:3], v[202:203], -v[22:23]
	v_fmac_f64_e32 v[28:29], v[4:5], v[202:203]
	v_add_f64 v[2:3], v[10:11], v[22:23]
	v_add_f64 v[4:5], v[12:13], v[28:29]
	v_mov_b32_e32 v202, s13
	s_mov_b32 s13, s14
	s_andn2_b64 exec, exec, s[10:11]
	s_cbranch_execnz .LBB63_67
; %bb.68:
	s_or_b64 exec, exec, s[10:11]
.LBB63_69:
	s_or_b64 exec, exec, s[0:1]
	v_and_b32_e32 v6, 7, v6
	v_cmp_ne_u32_e32 vcc, 0, v6
	s_and_saveexec_b64 s[0:1], vcc
	s_cbranch_execz .LBB63_73
; %bb.70:
	v_lshlrev_b32_e32 v10, 4, v202
	v_add_u32_e32 v7, 0x400, v10
	v_add_u32_e32 v201, 0, v10
	s_mov_b64 s[10:11], 0
.LBB63_71:                              ; =>This Inner Loop Header: Depth=1
	scratch_load_dwordx4 v[202:205], v201, off
	ds_read_b128 v[206:209], v7
	v_add_u32_e32 v6, -1, v6
	v_cmp_eq_u32_e32 vcc, 0, v6
	v_add_u32_e32 v7, 16, v7
	v_add_u32_e32 v201, 16, v201
	s_or_b64 s[10:11], vcc, s[10:11]
	s_waitcnt vmcnt(0) lgkmcnt(0)
	v_mul_f64 v[10:11], v[208:209], v[204:205]
	v_mul_f64 v[12:13], v[206:207], v[204:205]
	v_fma_f64 v[10:11], v[206:207], v[202:203], -v[10:11]
	v_fmac_f64_e32 v[12:13], v[208:209], v[202:203]
	v_add_f64 v[2:3], v[2:3], v[10:11]
	v_add_f64 v[4:5], v[4:5], v[12:13]
	s_andn2_b64 exec, exec, s[10:11]
	s_cbranch_execnz .LBB63_71
; %bb.72:
	s_or_b64 exec, exec, s[10:11]
.LBB63_73:
	s_or_b64 exec, exec, s[0:1]
.LBB63_74:
	s_or_b64 exec, exec, s[8:9]
	v_mov_b32_e32 v6, 0
	ds_read_b128 v[202:205], v6 offset:912
	s_waitcnt lgkmcnt(0)
	v_mul_f64 v[6:7], v[4:5], v[204:205]
	v_mul_f64 v[206:207], v[2:3], v[204:205]
	v_fma_f64 v[204:205], v[2:3], v[202:203], -v[6:7]
	v_fmac_f64_e32 v[206:207], v[4:5], v[202:203]
	scratch_store_dwordx4 off, v[204:207], off offset:912
.LBB63_75:
	s_or_b64 exec, exec, s[4:5]
	scratch_load_dwordx4 v[2:5], v145, off
	v_cmp_lt_u32_e64 s[0:1], 56, v0
	s_waitcnt vmcnt(0)
	ds_write_b128 v9, v[2:5]
	s_waitcnt lgkmcnt(0)
	; wave barrier
	s_waitcnt lgkmcnt(0)
	s_and_saveexec_b64 s[4:5], s[0:1]
	s_cbranch_execz .LBB63_89
; %bb.76:
	ds_read_b128 v[2:5], v9
	s_andn2_b64 vcc, exec, s[6:7]
	s_cbranch_vccnz .LBB63_78
; %bb.77:
	scratch_load_dwordx4 v[202:205], v8, off
	s_waitcnt vmcnt(0) lgkmcnt(0)
	v_mul_f64 v[10:11], v[2:3], v[204:205]
	v_mul_f64 v[6:7], v[4:5], v[204:205]
	v_fmac_f64_e32 v[10:11], v[4:5], v[202:203]
	v_fma_f64 v[2:3], v[2:3], v[202:203], -v[6:7]
	v_mov_b64_e32 v[4:5], v[10:11]
.LBB63_78:
	s_and_saveexec_b64 s[8:9], s[2:3]
	s_cbranch_execz .LBB63_88
; %bb.79:
	v_subrev_u32_e32 v7, 58, v0
	v_subrev_u32_e32 v6, 57, v0
	v_cmp_lt_u32_e32 vcc, 6, v7
	v_mov_b32_e32 v202, 57
	s_and_saveexec_b64 s[2:3], vcc
	s_cbranch_execz .LBB63_83
; %bb.80:
	v_and_b32_e32 v7, -8, v6
	s_mov_b32 s12, 0
	s_mov_b64 s[10:11], 0
	v_mov_b32_e32 v201, 0
	s_mov_b32 s13, 0
.LBB63_81:                              ; =>This Inner Loop Header: Depth=1
	v_readfirstlane_b32 s14, v201
	s_add_i32 s14, s14, s12
	s_add_i32 s15, s14, 0x390
	v_mov_b32_e32 v28, s12
	ds_read_b128 v[202:205], v28 offset:1936
	ds_read_b128 v[206:209], v28 offset:1952
	;; [unrolled: 1-line block ×4, first 2 shown]
	scratch_load_dwordx4 v[218:221], off, s15
	s_add_i32 s15, s14, 0x3a0
	s_addk_i32 s12, 0x80
	s_waitcnt vmcnt(0) lgkmcnt(3)
	v_mul_f64 v[10:11], v[204:205], v[220:221]
	v_mul_f64 v[12:13], v[202:203], v[220:221]
	v_fma_f64 v[10:11], v[202:203], v[218:219], -v[10:11]
	v_fmac_f64_e32 v[12:13], v[204:205], v[218:219]
	v_add_f64 v[10:11], v[2:3], v[10:11]
	v_add_f64 v[12:13], v[4:5], v[12:13]
	scratch_load_dwordx4 v[2:5], off, s15
	s_add_i32 s15, s14, 0x3b0
	s_waitcnt vmcnt(0) lgkmcnt(2)
	v_mul_f64 v[22:23], v[208:209], v[4:5]
	v_mul_f64 v[4:5], v[206:207], v[4:5]
	v_fmac_f64_e32 v[4:5], v[208:209], v[2:3]
	v_fma_f64 v[22:23], v[206:207], v[2:3], -v[22:23]
	v_add_f64 v[12:13], v[12:13], v[4:5]
	scratch_load_dwordx4 v[2:5], off, s15
	v_add_f64 v[10:11], v[10:11], v[22:23]
	s_add_i32 s15, s14, 0x3c0
	s_waitcnt vmcnt(0) lgkmcnt(1)
	v_mul_f64 v[22:23], v[212:213], v[4:5]
	v_mul_f64 v[4:5], v[210:211], v[4:5]
	v_fmac_f64_e32 v[4:5], v[212:213], v[2:3]
	v_fma_f64 v[22:23], v[210:211], v[2:3], -v[22:23]
	v_add_f64 v[12:13], v[12:13], v[4:5]
	scratch_load_dwordx4 v[2:5], off, s15
	s_add_i32 s15, s14, 0x3d0
	scratch_load_dwordx4 v[202:205], off, s15
	v_add_f64 v[10:11], v[10:11], v[22:23]
	s_add_i32 s15, s14, 0x3e0
	s_waitcnt vmcnt(1) lgkmcnt(0)
	v_mul_f64 v[22:23], v[216:217], v[4:5]
	v_mul_f64 v[4:5], v[214:215], v[4:5]
	v_fmac_f64_e32 v[4:5], v[216:217], v[2:3]
	v_fma_f64 v[22:23], v[214:215], v[2:3], -v[22:23]
	v_add_f64 v[12:13], v[12:13], v[4:5]
	ds_read_b128 v[2:5], v28 offset:2000
	v_add_f64 v[10:11], v[10:11], v[22:23]
	s_waitcnt vmcnt(0) lgkmcnt(0)
	v_mul_f64 v[22:23], v[4:5], v[204:205]
	v_fma_f64 v[22:23], v[2:3], v[202:203], -v[22:23]
	v_mul_f64 v[2:3], v[2:3], v[204:205]
	v_fmac_f64_e32 v[2:3], v[4:5], v[202:203]
	scratch_load_dwordx4 v[202:205], off, s15
	v_add_f64 v[12:13], v[12:13], v[2:3]
	ds_read_b128 v[2:5], v28 offset:2016
	v_add_f64 v[10:11], v[10:11], v[22:23]
	s_add_i32 s15, s14, 0x3f0
	s_addk_i32 s14, 0x400
	s_waitcnt vmcnt(0) lgkmcnt(0)
	v_mul_f64 v[22:23], v[4:5], v[204:205]
	v_fma_f64 v[22:23], v[2:3], v[202:203], -v[22:23]
	v_mul_f64 v[2:3], v[2:3], v[204:205]
	v_fmac_f64_e32 v[2:3], v[4:5], v[202:203]
	scratch_load_dwordx4 v[202:205], off, s15
	v_add_f64 v[12:13], v[12:13], v[2:3]
	ds_read_b128 v[2:5], v28 offset:2032
	v_add_f64 v[10:11], v[10:11], v[22:23]
	s_waitcnt vmcnt(0) lgkmcnt(0)
	v_mul_f64 v[22:23], v[4:5], v[204:205]
	v_fma_f64 v[22:23], v[2:3], v[202:203], -v[22:23]
	v_mul_f64 v[2:3], v[2:3], v[204:205]
	v_fmac_f64_e32 v[2:3], v[4:5], v[202:203]
	scratch_load_dwordx4 v[202:205], off, s14
	v_add_f64 v[12:13], v[12:13], v[2:3]
	ds_read_b128 v[2:5], v28 offset:2048
	v_add_f64 v[10:11], v[10:11], v[22:23]
	s_add_i32 s14, s13, 8
	v_cmp_eq_u32_e32 vcc, s14, v7
	s_addk_i32 s13, 0x41
	s_or_b64 s[10:11], vcc, s[10:11]
	s_waitcnt vmcnt(0) lgkmcnt(0)
	v_mul_f64 v[22:23], v[4:5], v[204:205]
	v_mul_f64 v[28:29], v[2:3], v[204:205]
	v_fma_f64 v[22:23], v[2:3], v[202:203], -v[22:23]
	v_fmac_f64_e32 v[28:29], v[4:5], v[202:203]
	v_add_f64 v[2:3], v[10:11], v[22:23]
	v_add_f64 v[4:5], v[12:13], v[28:29]
	v_mov_b32_e32 v202, s13
	s_mov_b32 s13, s14
	s_andn2_b64 exec, exec, s[10:11]
	s_cbranch_execnz .LBB63_81
; %bb.82:
	s_or_b64 exec, exec, s[10:11]
.LBB63_83:
	s_or_b64 exec, exec, s[2:3]
	v_and_b32_e32 v6, 7, v6
	v_cmp_ne_u32_e32 vcc, 0, v6
	s_and_saveexec_b64 s[2:3], vcc
	s_cbranch_execz .LBB63_87
; %bb.84:
	v_lshlrev_b32_e32 v10, 4, v202
	v_add_u32_e32 v7, 0x400, v10
	v_add_u32_e32 v201, 0, v10
	s_mov_b64 s[10:11], 0
.LBB63_85:                              ; =>This Inner Loop Header: Depth=1
	scratch_load_dwordx4 v[202:205], v201, off
	ds_read_b128 v[206:209], v7
	v_add_u32_e32 v6, -1, v6
	v_cmp_eq_u32_e32 vcc, 0, v6
	v_add_u32_e32 v7, 16, v7
	v_add_u32_e32 v201, 16, v201
	s_or_b64 s[10:11], vcc, s[10:11]
	s_waitcnt vmcnt(0) lgkmcnt(0)
	v_mul_f64 v[10:11], v[208:209], v[204:205]
	v_mul_f64 v[12:13], v[206:207], v[204:205]
	v_fma_f64 v[10:11], v[206:207], v[202:203], -v[10:11]
	v_fmac_f64_e32 v[12:13], v[208:209], v[202:203]
	v_add_f64 v[2:3], v[2:3], v[10:11]
	v_add_f64 v[4:5], v[4:5], v[12:13]
	s_andn2_b64 exec, exec, s[10:11]
	s_cbranch_execnz .LBB63_85
; %bb.86:
	s_or_b64 exec, exec, s[10:11]
.LBB63_87:
	s_or_b64 exec, exec, s[2:3]
.LBB63_88:
	s_or_b64 exec, exec, s[8:9]
	v_mov_b32_e32 v6, 0
	ds_read_b128 v[202:205], v6 offset:896
	s_waitcnt lgkmcnt(0)
	v_mul_f64 v[6:7], v[4:5], v[204:205]
	v_mul_f64 v[206:207], v[2:3], v[204:205]
	v_fma_f64 v[204:205], v[2:3], v[202:203], -v[6:7]
	v_fmac_f64_e32 v[206:207], v[4:5], v[202:203]
	scratch_store_dwordx4 off, v[204:207], off offset:896
.LBB63_89:
	s_or_b64 exec, exec, s[4:5]
	scratch_load_dwordx4 v[2:5], v146, off
	v_cmp_lt_u32_e64 s[2:3], 55, v0
	s_waitcnt vmcnt(0)
	ds_write_b128 v9, v[2:5]
	s_waitcnt lgkmcnt(0)
	; wave barrier
	s_waitcnt lgkmcnt(0)
	s_and_saveexec_b64 s[4:5], s[2:3]
	s_cbranch_execz .LBB63_103
; %bb.90:
	ds_read_b128 v[2:5], v9
	s_andn2_b64 vcc, exec, s[6:7]
	s_cbranch_vccnz .LBB63_92
; %bb.91:
	scratch_load_dwordx4 v[202:205], v8, off
	s_waitcnt vmcnt(0) lgkmcnt(0)
	v_mul_f64 v[10:11], v[2:3], v[204:205]
	v_mul_f64 v[6:7], v[4:5], v[204:205]
	v_fmac_f64_e32 v[10:11], v[4:5], v[202:203]
	v_fma_f64 v[2:3], v[2:3], v[202:203], -v[6:7]
	v_mov_b64_e32 v[4:5], v[10:11]
.LBB63_92:
	s_and_saveexec_b64 s[8:9], s[0:1]
	s_cbranch_execz .LBB63_102
; %bb.93:
	v_subrev_u32_e32 v6, 57, v0
	v_cmp_lt_u32_e32 vcc, 6, v6
	v_mov_b32_e32 v6, 56
	s_and_saveexec_b64 s[0:1], vcc
	s_cbranch_execz .LBB63_97
; %bb.94:
	s_mov_b32 s12, 56
	v_and_b32_e32 v6, 56, v0
	s_mov_b32 s13, 0
	s_mov_b64 s[10:11], 0
	v_mov_b32_e32 v7, 0
.LBB63_95:                              ; =>This Inner Loop Header: Depth=1
	s_nop 0
	v_readfirstlane_b32 s14, v7
	s_add_i32 s14, s14, s13
	s_add_i32 s15, s14, 0x380
	v_mov_b32_e32 v28, s13
	ds_read_b128 v[202:205], v28 offset:1920
	ds_read_b128 v[206:209], v28 offset:1936
	;; [unrolled: 1-line block ×4, first 2 shown]
	scratch_load_dwordx4 v[218:221], off, s15
	s_add_i32 s15, s14, 0x390
	s_add_i32 s12, s12, 8
	s_addk_i32 s13, 0x80
	v_cmp_eq_u32_e32 vcc, s12, v6
	s_waitcnt vmcnt(0) lgkmcnt(3)
	v_mul_f64 v[10:11], v[204:205], v[220:221]
	v_mul_f64 v[12:13], v[202:203], v[220:221]
	v_fma_f64 v[10:11], v[202:203], v[218:219], -v[10:11]
	v_fmac_f64_e32 v[12:13], v[204:205], v[218:219]
	v_add_f64 v[10:11], v[2:3], v[10:11]
	v_add_f64 v[12:13], v[4:5], v[12:13]
	scratch_load_dwordx4 v[2:5], off, s15
	s_add_i32 s15, s14, 0x3a0
	s_waitcnt vmcnt(0) lgkmcnt(2)
	v_mul_f64 v[22:23], v[208:209], v[4:5]
	v_mul_f64 v[4:5], v[206:207], v[4:5]
	v_fmac_f64_e32 v[4:5], v[208:209], v[2:3]
	v_fma_f64 v[22:23], v[206:207], v[2:3], -v[22:23]
	v_add_f64 v[12:13], v[12:13], v[4:5]
	scratch_load_dwordx4 v[2:5], off, s15
	v_add_f64 v[10:11], v[10:11], v[22:23]
	s_add_i32 s15, s14, 0x3b0
	s_waitcnt vmcnt(0) lgkmcnt(1)
	v_mul_f64 v[22:23], v[212:213], v[4:5]
	v_mul_f64 v[4:5], v[210:211], v[4:5]
	v_fmac_f64_e32 v[4:5], v[212:213], v[2:3]
	v_fma_f64 v[22:23], v[210:211], v[2:3], -v[22:23]
	v_add_f64 v[12:13], v[12:13], v[4:5]
	scratch_load_dwordx4 v[2:5], off, s15
	s_add_i32 s15, s14, 0x3c0
	scratch_load_dwordx4 v[202:205], off, s15
	v_add_f64 v[10:11], v[10:11], v[22:23]
	s_add_i32 s15, s14, 0x3d0
	s_waitcnt vmcnt(1) lgkmcnt(0)
	v_mul_f64 v[22:23], v[216:217], v[4:5]
	v_mul_f64 v[4:5], v[214:215], v[4:5]
	v_fmac_f64_e32 v[4:5], v[216:217], v[2:3]
	v_fma_f64 v[22:23], v[214:215], v[2:3], -v[22:23]
	v_add_f64 v[12:13], v[12:13], v[4:5]
	ds_read_b128 v[2:5], v28 offset:1984
	v_add_f64 v[10:11], v[10:11], v[22:23]
	s_waitcnt vmcnt(0) lgkmcnt(0)
	v_mul_f64 v[22:23], v[4:5], v[204:205]
	v_fma_f64 v[22:23], v[2:3], v[202:203], -v[22:23]
	v_mul_f64 v[2:3], v[2:3], v[204:205]
	v_fmac_f64_e32 v[2:3], v[4:5], v[202:203]
	scratch_load_dwordx4 v[202:205], off, s15
	v_add_f64 v[12:13], v[12:13], v[2:3]
	ds_read_b128 v[2:5], v28 offset:2000
	v_add_f64 v[10:11], v[10:11], v[22:23]
	s_add_i32 s15, s14, 0x3e0
	s_addk_i32 s14, 0x3f0
	s_or_b64 s[10:11], vcc, s[10:11]
	s_waitcnt vmcnt(0) lgkmcnt(0)
	v_mul_f64 v[22:23], v[4:5], v[204:205]
	v_fma_f64 v[22:23], v[2:3], v[202:203], -v[22:23]
	v_mul_f64 v[2:3], v[2:3], v[204:205]
	v_fmac_f64_e32 v[2:3], v[4:5], v[202:203]
	scratch_load_dwordx4 v[202:205], off, s15
	v_add_f64 v[12:13], v[12:13], v[2:3]
	ds_read_b128 v[2:5], v28 offset:2016
	v_add_f64 v[10:11], v[10:11], v[22:23]
	s_waitcnt vmcnt(0) lgkmcnt(0)
	v_mul_f64 v[22:23], v[4:5], v[204:205]
	v_fma_f64 v[22:23], v[2:3], v[202:203], -v[22:23]
	v_mul_f64 v[2:3], v[2:3], v[204:205]
	v_fmac_f64_e32 v[2:3], v[4:5], v[202:203]
	scratch_load_dwordx4 v[202:205], off, s14
	v_add_f64 v[12:13], v[12:13], v[2:3]
	ds_read_b128 v[2:5], v28 offset:2032
	v_add_f64 v[10:11], v[10:11], v[22:23]
	s_waitcnt vmcnt(0) lgkmcnt(0)
	v_mul_f64 v[22:23], v[4:5], v[204:205]
	v_mul_f64 v[28:29], v[2:3], v[204:205]
	v_fma_f64 v[22:23], v[2:3], v[202:203], -v[22:23]
	v_fmac_f64_e32 v[28:29], v[4:5], v[202:203]
	v_add_f64 v[2:3], v[10:11], v[22:23]
	v_add_f64 v[4:5], v[12:13], v[28:29]
	s_andn2_b64 exec, exec, s[10:11]
	s_cbranch_execnz .LBB63_95
; %bb.96:
	s_or_b64 exec, exec, s[10:11]
.LBB63_97:
	s_or_b64 exec, exec, s[0:1]
	v_and_b32_e32 v7, 7, v0
	v_cmp_ne_u32_e32 vcc, 0, v7
	s_and_saveexec_b64 s[0:1], vcc
	s_cbranch_execz .LBB63_101
; %bb.98:
	v_lshlrev_b32_e32 v10, 4, v6
	v_or_b32_e32 v6, 0x400, v10
	v_add_u32_e32 v201, 0, v10
	s_mov_b64 s[10:11], 0
.LBB63_99:                              ; =>This Inner Loop Header: Depth=1
	scratch_load_dwordx4 v[202:205], v201, off
	ds_read_b128 v[206:209], v6
	v_add_u32_e32 v7, -1, v7
	v_cmp_eq_u32_e32 vcc, 0, v7
	v_add_u32_e32 v6, 16, v6
	v_add_u32_e32 v201, 16, v201
	s_or_b64 s[10:11], vcc, s[10:11]
	s_waitcnt vmcnt(0) lgkmcnt(0)
	v_mul_f64 v[10:11], v[208:209], v[204:205]
	v_mul_f64 v[12:13], v[206:207], v[204:205]
	v_fma_f64 v[10:11], v[206:207], v[202:203], -v[10:11]
	v_fmac_f64_e32 v[12:13], v[208:209], v[202:203]
	v_add_f64 v[2:3], v[2:3], v[10:11]
	v_add_f64 v[4:5], v[4:5], v[12:13]
	s_andn2_b64 exec, exec, s[10:11]
	s_cbranch_execnz .LBB63_99
; %bb.100:
	s_or_b64 exec, exec, s[10:11]
.LBB63_101:
	s_or_b64 exec, exec, s[0:1]
.LBB63_102:
	s_or_b64 exec, exec, s[8:9]
	v_mov_b32_e32 v6, 0
	ds_read_b128 v[202:205], v6 offset:880
	s_waitcnt lgkmcnt(0)
	v_mul_f64 v[6:7], v[4:5], v[204:205]
	v_mul_f64 v[206:207], v[2:3], v[204:205]
	v_fma_f64 v[204:205], v[2:3], v[202:203], -v[6:7]
	v_fmac_f64_e32 v[206:207], v[4:5], v[202:203]
	scratch_store_dwordx4 off, v[204:207], off offset:880
.LBB63_103:
	s_or_b64 exec, exec, s[4:5]
	scratch_load_dwordx4 v[2:5], v147, off
	v_cmp_lt_u32_e64 s[0:1], 54, v0
	s_waitcnt vmcnt(0)
	ds_write_b128 v9, v[2:5]
	s_waitcnt lgkmcnt(0)
	; wave barrier
	s_waitcnt lgkmcnt(0)
	s_and_saveexec_b64 s[4:5], s[0:1]
	s_cbranch_execz .LBB63_117
; %bb.104:
	ds_read_b128 v[2:5], v9
	s_andn2_b64 vcc, exec, s[6:7]
	s_cbranch_vccnz .LBB63_106
; %bb.105:
	scratch_load_dwordx4 v[202:205], v8, off
	s_waitcnt vmcnt(0) lgkmcnt(0)
	v_mul_f64 v[10:11], v[2:3], v[204:205]
	v_mul_f64 v[6:7], v[4:5], v[204:205]
	v_fmac_f64_e32 v[10:11], v[4:5], v[202:203]
	v_fma_f64 v[2:3], v[2:3], v[202:203], -v[6:7]
	v_mov_b64_e32 v[4:5], v[10:11]
.LBB63_106:
	s_and_saveexec_b64 s[8:9], s[2:3]
	s_cbranch_execz .LBB63_116
; %bb.107:
	v_subrev_u32_e32 v7, 56, v0
	v_subrev_u32_e32 v6, 55, v0
	v_cmp_lt_u32_e32 vcc, 6, v7
	v_mov_b32_e32 v202, 55
	s_and_saveexec_b64 s[2:3], vcc
	s_cbranch_execz .LBB63_111
; %bb.108:
	v_and_b32_e32 v7, -8, v6
	s_mov_b32 s12, 0
	s_mov_b64 s[10:11], 0
	v_mov_b32_e32 v201, 0
	s_mov_b32 s13, 0
.LBB63_109:                             ; =>This Inner Loop Header: Depth=1
	v_readfirstlane_b32 s14, v201
	s_add_i32 s14, s14, s12
	s_add_i32 s15, s14, 0x370
	v_mov_b32_e32 v28, s12
	ds_read_b128 v[202:205], v28 offset:1904
	ds_read_b128 v[206:209], v28 offset:1920
	;; [unrolled: 1-line block ×4, first 2 shown]
	scratch_load_dwordx4 v[218:221], off, s15
	s_add_i32 s15, s14, 0x380
	s_addk_i32 s12, 0x80
	s_waitcnt vmcnt(0) lgkmcnt(3)
	v_mul_f64 v[10:11], v[204:205], v[220:221]
	v_mul_f64 v[12:13], v[202:203], v[220:221]
	v_fma_f64 v[10:11], v[202:203], v[218:219], -v[10:11]
	v_fmac_f64_e32 v[12:13], v[204:205], v[218:219]
	v_add_f64 v[10:11], v[2:3], v[10:11]
	v_add_f64 v[12:13], v[4:5], v[12:13]
	scratch_load_dwordx4 v[2:5], off, s15
	s_add_i32 s15, s14, 0x390
	s_waitcnt vmcnt(0) lgkmcnt(2)
	v_mul_f64 v[22:23], v[208:209], v[4:5]
	v_mul_f64 v[4:5], v[206:207], v[4:5]
	v_fmac_f64_e32 v[4:5], v[208:209], v[2:3]
	v_fma_f64 v[22:23], v[206:207], v[2:3], -v[22:23]
	v_add_f64 v[12:13], v[12:13], v[4:5]
	scratch_load_dwordx4 v[2:5], off, s15
	v_add_f64 v[10:11], v[10:11], v[22:23]
	s_add_i32 s15, s14, 0x3a0
	s_waitcnt vmcnt(0) lgkmcnt(1)
	v_mul_f64 v[22:23], v[212:213], v[4:5]
	v_mul_f64 v[4:5], v[210:211], v[4:5]
	v_fmac_f64_e32 v[4:5], v[212:213], v[2:3]
	v_fma_f64 v[22:23], v[210:211], v[2:3], -v[22:23]
	v_add_f64 v[12:13], v[12:13], v[4:5]
	scratch_load_dwordx4 v[2:5], off, s15
	s_add_i32 s15, s14, 0x3b0
	scratch_load_dwordx4 v[202:205], off, s15
	v_add_f64 v[10:11], v[10:11], v[22:23]
	s_add_i32 s15, s14, 0x3c0
	s_waitcnt vmcnt(1) lgkmcnt(0)
	v_mul_f64 v[22:23], v[216:217], v[4:5]
	v_mul_f64 v[4:5], v[214:215], v[4:5]
	v_fmac_f64_e32 v[4:5], v[216:217], v[2:3]
	v_fma_f64 v[22:23], v[214:215], v[2:3], -v[22:23]
	v_add_f64 v[12:13], v[12:13], v[4:5]
	ds_read_b128 v[2:5], v28 offset:1968
	v_add_f64 v[10:11], v[10:11], v[22:23]
	s_waitcnt vmcnt(0) lgkmcnt(0)
	v_mul_f64 v[22:23], v[4:5], v[204:205]
	v_fma_f64 v[22:23], v[2:3], v[202:203], -v[22:23]
	v_mul_f64 v[2:3], v[2:3], v[204:205]
	v_fmac_f64_e32 v[2:3], v[4:5], v[202:203]
	scratch_load_dwordx4 v[202:205], off, s15
	v_add_f64 v[12:13], v[12:13], v[2:3]
	ds_read_b128 v[2:5], v28 offset:1984
	v_add_f64 v[10:11], v[10:11], v[22:23]
	s_add_i32 s15, s14, 0x3d0
	s_addk_i32 s14, 0x3e0
	s_waitcnt vmcnt(0) lgkmcnt(0)
	v_mul_f64 v[22:23], v[4:5], v[204:205]
	v_fma_f64 v[22:23], v[2:3], v[202:203], -v[22:23]
	v_mul_f64 v[2:3], v[2:3], v[204:205]
	v_fmac_f64_e32 v[2:3], v[4:5], v[202:203]
	scratch_load_dwordx4 v[202:205], off, s15
	v_add_f64 v[12:13], v[12:13], v[2:3]
	ds_read_b128 v[2:5], v28 offset:2000
	v_add_f64 v[10:11], v[10:11], v[22:23]
	s_waitcnt vmcnt(0) lgkmcnt(0)
	v_mul_f64 v[22:23], v[4:5], v[204:205]
	v_fma_f64 v[22:23], v[2:3], v[202:203], -v[22:23]
	v_mul_f64 v[2:3], v[2:3], v[204:205]
	v_fmac_f64_e32 v[2:3], v[4:5], v[202:203]
	scratch_load_dwordx4 v[202:205], off, s14
	v_add_f64 v[12:13], v[12:13], v[2:3]
	ds_read_b128 v[2:5], v28 offset:2016
	v_add_f64 v[10:11], v[10:11], v[22:23]
	s_add_i32 s14, s13, 8
	v_cmp_eq_u32_e32 vcc, s14, v7
	s_add_i32 s13, s13, 63
	s_or_b64 s[10:11], vcc, s[10:11]
	s_waitcnt vmcnt(0) lgkmcnt(0)
	v_mul_f64 v[22:23], v[4:5], v[204:205]
	v_mul_f64 v[28:29], v[2:3], v[204:205]
	v_fma_f64 v[22:23], v[2:3], v[202:203], -v[22:23]
	v_fmac_f64_e32 v[28:29], v[4:5], v[202:203]
	v_add_f64 v[2:3], v[10:11], v[22:23]
	v_add_f64 v[4:5], v[12:13], v[28:29]
	v_mov_b32_e32 v202, s13
	s_mov_b32 s13, s14
	s_andn2_b64 exec, exec, s[10:11]
	s_cbranch_execnz .LBB63_109
; %bb.110:
	s_or_b64 exec, exec, s[10:11]
.LBB63_111:
	s_or_b64 exec, exec, s[2:3]
	v_and_b32_e32 v6, 7, v6
	v_cmp_ne_u32_e32 vcc, 0, v6
	s_and_saveexec_b64 s[2:3], vcc
	s_cbranch_execz .LBB63_115
; %bb.112:
	v_lshlrev_b32_e32 v10, 4, v202
	v_add_u32_e32 v7, 0x400, v10
	v_add_u32_e32 v201, 0, v10
	s_mov_b64 s[10:11], 0
.LBB63_113:                             ; =>This Inner Loop Header: Depth=1
	scratch_load_dwordx4 v[202:205], v201, off
	ds_read_b128 v[206:209], v7
	v_add_u32_e32 v6, -1, v6
	v_cmp_eq_u32_e32 vcc, 0, v6
	v_add_u32_e32 v7, 16, v7
	v_add_u32_e32 v201, 16, v201
	s_or_b64 s[10:11], vcc, s[10:11]
	s_waitcnt vmcnt(0) lgkmcnt(0)
	v_mul_f64 v[10:11], v[208:209], v[204:205]
	v_mul_f64 v[12:13], v[206:207], v[204:205]
	v_fma_f64 v[10:11], v[206:207], v[202:203], -v[10:11]
	v_fmac_f64_e32 v[12:13], v[208:209], v[202:203]
	v_add_f64 v[2:3], v[2:3], v[10:11]
	v_add_f64 v[4:5], v[4:5], v[12:13]
	s_andn2_b64 exec, exec, s[10:11]
	s_cbranch_execnz .LBB63_113
; %bb.114:
	s_or_b64 exec, exec, s[10:11]
.LBB63_115:
	s_or_b64 exec, exec, s[2:3]
.LBB63_116:
	s_or_b64 exec, exec, s[8:9]
	v_mov_b32_e32 v6, 0
	ds_read_b128 v[202:205], v6 offset:864
	s_waitcnt lgkmcnt(0)
	v_mul_f64 v[6:7], v[4:5], v[204:205]
	v_mul_f64 v[206:207], v[2:3], v[204:205]
	v_fma_f64 v[204:205], v[2:3], v[202:203], -v[6:7]
	v_fmac_f64_e32 v[206:207], v[4:5], v[202:203]
	scratch_store_dwordx4 off, v[204:207], off offset:864
.LBB63_117:
	s_or_b64 exec, exec, s[4:5]
	scratch_load_dwordx4 v[2:5], v148, off
	v_cmp_lt_u32_e64 s[2:3], 53, v0
	s_waitcnt vmcnt(0)
	ds_write_b128 v9, v[2:5]
	s_waitcnt lgkmcnt(0)
	; wave barrier
	s_waitcnt lgkmcnt(0)
	s_and_saveexec_b64 s[4:5], s[2:3]
	s_cbranch_execz .LBB63_131
; %bb.118:
	ds_read_b128 v[2:5], v9
	s_andn2_b64 vcc, exec, s[6:7]
	s_cbranch_vccnz .LBB63_120
; %bb.119:
	scratch_load_dwordx4 v[202:205], v8, off
	s_waitcnt vmcnt(0) lgkmcnt(0)
	v_mul_f64 v[10:11], v[2:3], v[204:205]
	v_mul_f64 v[6:7], v[4:5], v[204:205]
	v_fmac_f64_e32 v[10:11], v[4:5], v[202:203]
	v_fma_f64 v[2:3], v[2:3], v[202:203], -v[6:7]
	v_mov_b64_e32 v[4:5], v[10:11]
.LBB63_120:
	s_and_saveexec_b64 s[8:9], s[0:1]
	s_cbranch_execz .LBB63_130
; %bb.121:
	v_subrev_u32_e32 v7, 55, v0
	v_subrev_u32_e32 v6, 54, v0
	v_cmp_lt_u32_e32 vcc, 6, v7
	v_mov_b32_e32 v202, 54
	s_and_saveexec_b64 s[0:1], vcc
	s_cbranch_execz .LBB63_125
; %bb.122:
	v_and_b32_e32 v7, -8, v6
	s_mov_b32 s12, 0
	s_mov_b64 s[10:11], 0
	v_mov_b32_e32 v201, 0
	s_mov_b32 s13, 0
.LBB63_123:                             ; =>This Inner Loop Header: Depth=1
	v_readfirstlane_b32 s14, v201
	s_add_i32 s14, s14, s12
	s_add_i32 s15, s14, 0x360
	v_mov_b32_e32 v28, s12
	ds_read_b128 v[202:205], v28 offset:1888
	ds_read_b128 v[206:209], v28 offset:1904
	;; [unrolled: 1-line block ×4, first 2 shown]
	scratch_load_dwordx4 v[218:221], off, s15
	s_add_i32 s15, s14, 0x370
	s_addk_i32 s12, 0x80
	s_waitcnt vmcnt(0) lgkmcnt(3)
	v_mul_f64 v[10:11], v[204:205], v[220:221]
	v_mul_f64 v[12:13], v[202:203], v[220:221]
	v_fma_f64 v[10:11], v[202:203], v[218:219], -v[10:11]
	v_fmac_f64_e32 v[12:13], v[204:205], v[218:219]
	v_add_f64 v[10:11], v[2:3], v[10:11]
	v_add_f64 v[12:13], v[4:5], v[12:13]
	scratch_load_dwordx4 v[2:5], off, s15
	s_add_i32 s15, s14, 0x380
	s_waitcnt vmcnt(0) lgkmcnt(2)
	v_mul_f64 v[22:23], v[208:209], v[4:5]
	v_mul_f64 v[4:5], v[206:207], v[4:5]
	v_fmac_f64_e32 v[4:5], v[208:209], v[2:3]
	v_fma_f64 v[22:23], v[206:207], v[2:3], -v[22:23]
	v_add_f64 v[12:13], v[12:13], v[4:5]
	scratch_load_dwordx4 v[2:5], off, s15
	v_add_f64 v[10:11], v[10:11], v[22:23]
	s_add_i32 s15, s14, 0x390
	s_waitcnt vmcnt(0) lgkmcnt(1)
	v_mul_f64 v[22:23], v[212:213], v[4:5]
	v_mul_f64 v[4:5], v[210:211], v[4:5]
	v_fmac_f64_e32 v[4:5], v[212:213], v[2:3]
	v_fma_f64 v[22:23], v[210:211], v[2:3], -v[22:23]
	v_add_f64 v[12:13], v[12:13], v[4:5]
	scratch_load_dwordx4 v[2:5], off, s15
	s_add_i32 s15, s14, 0x3a0
	scratch_load_dwordx4 v[202:205], off, s15
	v_add_f64 v[10:11], v[10:11], v[22:23]
	s_add_i32 s15, s14, 0x3b0
	s_waitcnt vmcnt(1) lgkmcnt(0)
	v_mul_f64 v[22:23], v[216:217], v[4:5]
	v_mul_f64 v[4:5], v[214:215], v[4:5]
	v_fmac_f64_e32 v[4:5], v[216:217], v[2:3]
	v_fma_f64 v[22:23], v[214:215], v[2:3], -v[22:23]
	v_add_f64 v[12:13], v[12:13], v[4:5]
	ds_read_b128 v[2:5], v28 offset:1952
	v_add_f64 v[10:11], v[10:11], v[22:23]
	s_waitcnt vmcnt(0) lgkmcnt(0)
	v_mul_f64 v[22:23], v[4:5], v[204:205]
	v_fma_f64 v[22:23], v[2:3], v[202:203], -v[22:23]
	v_mul_f64 v[2:3], v[2:3], v[204:205]
	v_fmac_f64_e32 v[2:3], v[4:5], v[202:203]
	scratch_load_dwordx4 v[202:205], off, s15
	v_add_f64 v[12:13], v[12:13], v[2:3]
	ds_read_b128 v[2:5], v28 offset:1968
	v_add_f64 v[10:11], v[10:11], v[22:23]
	s_add_i32 s15, s14, 0x3c0
	s_addk_i32 s14, 0x3d0
	s_waitcnt vmcnt(0) lgkmcnt(0)
	v_mul_f64 v[22:23], v[4:5], v[204:205]
	v_fma_f64 v[22:23], v[2:3], v[202:203], -v[22:23]
	v_mul_f64 v[2:3], v[2:3], v[204:205]
	v_fmac_f64_e32 v[2:3], v[4:5], v[202:203]
	scratch_load_dwordx4 v[202:205], off, s15
	v_add_f64 v[12:13], v[12:13], v[2:3]
	ds_read_b128 v[2:5], v28 offset:1984
	v_add_f64 v[10:11], v[10:11], v[22:23]
	s_waitcnt vmcnt(0) lgkmcnt(0)
	v_mul_f64 v[22:23], v[4:5], v[204:205]
	v_fma_f64 v[22:23], v[2:3], v[202:203], -v[22:23]
	v_mul_f64 v[2:3], v[2:3], v[204:205]
	v_fmac_f64_e32 v[2:3], v[4:5], v[202:203]
	scratch_load_dwordx4 v[202:205], off, s14
	v_add_f64 v[12:13], v[12:13], v[2:3]
	ds_read_b128 v[2:5], v28 offset:2000
	v_add_f64 v[10:11], v[10:11], v[22:23]
	s_add_i32 s14, s13, 8
	v_cmp_eq_u32_e32 vcc, s14, v7
	s_add_i32 s13, s13, 62
	s_or_b64 s[10:11], vcc, s[10:11]
	s_waitcnt vmcnt(0) lgkmcnt(0)
	v_mul_f64 v[22:23], v[4:5], v[204:205]
	v_mul_f64 v[28:29], v[2:3], v[204:205]
	v_fma_f64 v[22:23], v[2:3], v[202:203], -v[22:23]
	v_fmac_f64_e32 v[28:29], v[4:5], v[202:203]
	v_add_f64 v[2:3], v[10:11], v[22:23]
	v_add_f64 v[4:5], v[12:13], v[28:29]
	v_mov_b32_e32 v202, s13
	s_mov_b32 s13, s14
	s_andn2_b64 exec, exec, s[10:11]
	s_cbranch_execnz .LBB63_123
; %bb.124:
	s_or_b64 exec, exec, s[10:11]
.LBB63_125:
	s_or_b64 exec, exec, s[0:1]
	v_and_b32_e32 v6, 7, v6
	v_cmp_ne_u32_e32 vcc, 0, v6
	s_and_saveexec_b64 s[0:1], vcc
	s_cbranch_execz .LBB63_129
; %bb.126:
	v_lshlrev_b32_e32 v10, 4, v202
	v_add_u32_e32 v7, 0x400, v10
	v_add_u32_e32 v201, 0, v10
	s_mov_b64 s[10:11], 0
.LBB63_127:                             ; =>This Inner Loop Header: Depth=1
	scratch_load_dwordx4 v[202:205], v201, off
	ds_read_b128 v[206:209], v7
	v_add_u32_e32 v6, -1, v6
	v_cmp_eq_u32_e32 vcc, 0, v6
	v_add_u32_e32 v7, 16, v7
	v_add_u32_e32 v201, 16, v201
	s_or_b64 s[10:11], vcc, s[10:11]
	s_waitcnt vmcnt(0) lgkmcnt(0)
	v_mul_f64 v[10:11], v[208:209], v[204:205]
	v_mul_f64 v[12:13], v[206:207], v[204:205]
	v_fma_f64 v[10:11], v[206:207], v[202:203], -v[10:11]
	v_fmac_f64_e32 v[12:13], v[208:209], v[202:203]
	v_add_f64 v[2:3], v[2:3], v[10:11]
	v_add_f64 v[4:5], v[4:5], v[12:13]
	s_andn2_b64 exec, exec, s[10:11]
	s_cbranch_execnz .LBB63_127
; %bb.128:
	s_or_b64 exec, exec, s[10:11]
.LBB63_129:
	s_or_b64 exec, exec, s[0:1]
.LBB63_130:
	s_or_b64 exec, exec, s[8:9]
	v_mov_b32_e32 v6, 0
	ds_read_b128 v[202:205], v6 offset:848
	s_waitcnt lgkmcnt(0)
	v_mul_f64 v[6:7], v[4:5], v[204:205]
	v_mul_f64 v[206:207], v[2:3], v[204:205]
	v_fma_f64 v[204:205], v[2:3], v[202:203], -v[6:7]
	v_fmac_f64_e32 v[206:207], v[4:5], v[202:203]
	scratch_store_dwordx4 off, v[204:207], off offset:848
.LBB63_131:
	s_or_b64 exec, exec, s[4:5]
	scratch_load_dwordx4 v[2:5], v149, off
	v_cmp_lt_u32_e64 s[0:1], 52, v0
	s_waitcnt vmcnt(0)
	ds_write_b128 v9, v[2:5]
	s_waitcnt lgkmcnt(0)
	; wave barrier
	s_waitcnt lgkmcnt(0)
	s_and_saveexec_b64 s[4:5], s[0:1]
	s_cbranch_execz .LBB63_145
; %bb.132:
	ds_read_b128 v[2:5], v9
	s_andn2_b64 vcc, exec, s[6:7]
	s_cbranch_vccnz .LBB63_134
; %bb.133:
	scratch_load_dwordx4 v[202:205], v8, off
	s_waitcnt vmcnt(0) lgkmcnt(0)
	v_mul_f64 v[10:11], v[2:3], v[204:205]
	v_mul_f64 v[6:7], v[4:5], v[204:205]
	v_fmac_f64_e32 v[10:11], v[4:5], v[202:203]
	v_fma_f64 v[2:3], v[2:3], v[202:203], -v[6:7]
	v_mov_b64_e32 v[4:5], v[10:11]
.LBB63_134:
	s_and_saveexec_b64 s[8:9], s[2:3]
	s_cbranch_execz .LBB63_144
; %bb.135:
	v_subrev_u32_e32 v7, 54, v0
	v_subrev_u32_e32 v6, 53, v0
	v_cmp_lt_u32_e32 vcc, 6, v7
	v_mov_b32_e32 v202, 53
	s_and_saveexec_b64 s[2:3], vcc
	s_cbranch_execz .LBB63_139
; %bb.136:
	v_and_b32_e32 v7, -8, v6
	s_mov_b32 s12, 0
	s_mov_b64 s[10:11], 0
	v_mov_b32_e32 v201, 0
	s_mov_b32 s13, 0
.LBB63_137:                             ; =>This Inner Loop Header: Depth=1
	v_readfirstlane_b32 s14, v201
	s_add_i32 s14, s14, s12
	s_add_i32 s15, s14, 0x350
	v_mov_b32_e32 v28, s12
	ds_read_b128 v[202:205], v28 offset:1872
	ds_read_b128 v[206:209], v28 offset:1888
	;; [unrolled: 1-line block ×4, first 2 shown]
	scratch_load_dwordx4 v[218:221], off, s15
	s_add_i32 s15, s14, 0x360
	s_addk_i32 s12, 0x80
	s_waitcnt vmcnt(0) lgkmcnt(3)
	v_mul_f64 v[10:11], v[204:205], v[220:221]
	v_mul_f64 v[12:13], v[202:203], v[220:221]
	v_fma_f64 v[10:11], v[202:203], v[218:219], -v[10:11]
	v_fmac_f64_e32 v[12:13], v[204:205], v[218:219]
	v_add_f64 v[10:11], v[2:3], v[10:11]
	v_add_f64 v[12:13], v[4:5], v[12:13]
	scratch_load_dwordx4 v[2:5], off, s15
	s_add_i32 s15, s14, 0x370
	s_waitcnt vmcnt(0) lgkmcnt(2)
	v_mul_f64 v[22:23], v[208:209], v[4:5]
	v_mul_f64 v[4:5], v[206:207], v[4:5]
	v_fmac_f64_e32 v[4:5], v[208:209], v[2:3]
	v_fma_f64 v[22:23], v[206:207], v[2:3], -v[22:23]
	v_add_f64 v[12:13], v[12:13], v[4:5]
	scratch_load_dwordx4 v[2:5], off, s15
	v_add_f64 v[10:11], v[10:11], v[22:23]
	s_add_i32 s15, s14, 0x380
	s_waitcnt vmcnt(0) lgkmcnt(1)
	v_mul_f64 v[22:23], v[212:213], v[4:5]
	v_mul_f64 v[4:5], v[210:211], v[4:5]
	v_fmac_f64_e32 v[4:5], v[212:213], v[2:3]
	v_fma_f64 v[22:23], v[210:211], v[2:3], -v[22:23]
	v_add_f64 v[12:13], v[12:13], v[4:5]
	scratch_load_dwordx4 v[2:5], off, s15
	s_add_i32 s15, s14, 0x390
	scratch_load_dwordx4 v[202:205], off, s15
	v_add_f64 v[10:11], v[10:11], v[22:23]
	s_add_i32 s15, s14, 0x3a0
	s_waitcnt vmcnt(1) lgkmcnt(0)
	v_mul_f64 v[22:23], v[216:217], v[4:5]
	v_mul_f64 v[4:5], v[214:215], v[4:5]
	v_fmac_f64_e32 v[4:5], v[216:217], v[2:3]
	v_fma_f64 v[22:23], v[214:215], v[2:3], -v[22:23]
	v_add_f64 v[12:13], v[12:13], v[4:5]
	ds_read_b128 v[2:5], v28 offset:1936
	v_add_f64 v[10:11], v[10:11], v[22:23]
	s_waitcnt vmcnt(0) lgkmcnt(0)
	v_mul_f64 v[22:23], v[4:5], v[204:205]
	v_fma_f64 v[22:23], v[2:3], v[202:203], -v[22:23]
	v_mul_f64 v[2:3], v[2:3], v[204:205]
	v_fmac_f64_e32 v[2:3], v[4:5], v[202:203]
	scratch_load_dwordx4 v[202:205], off, s15
	v_add_f64 v[12:13], v[12:13], v[2:3]
	ds_read_b128 v[2:5], v28 offset:1952
	v_add_f64 v[10:11], v[10:11], v[22:23]
	s_add_i32 s15, s14, 0x3b0
	s_addk_i32 s14, 0x3c0
	s_waitcnt vmcnt(0) lgkmcnt(0)
	v_mul_f64 v[22:23], v[4:5], v[204:205]
	v_fma_f64 v[22:23], v[2:3], v[202:203], -v[22:23]
	v_mul_f64 v[2:3], v[2:3], v[204:205]
	v_fmac_f64_e32 v[2:3], v[4:5], v[202:203]
	scratch_load_dwordx4 v[202:205], off, s15
	v_add_f64 v[12:13], v[12:13], v[2:3]
	ds_read_b128 v[2:5], v28 offset:1968
	v_add_f64 v[10:11], v[10:11], v[22:23]
	s_waitcnt vmcnt(0) lgkmcnt(0)
	v_mul_f64 v[22:23], v[4:5], v[204:205]
	v_fma_f64 v[22:23], v[2:3], v[202:203], -v[22:23]
	v_mul_f64 v[2:3], v[2:3], v[204:205]
	v_fmac_f64_e32 v[2:3], v[4:5], v[202:203]
	scratch_load_dwordx4 v[202:205], off, s14
	v_add_f64 v[12:13], v[12:13], v[2:3]
	ds_read_b128 v[2:5], v28 offset:1984
	v_add_f64 v[10:11], v[10:11], v[22:23]
	s_add_i32 s14, s13, 8
	v_cmp_eq_u32_e32 vcc, s14, v7
	s_add_i32 s13, s13, 61
	s_or_b64 s[10:11], vcc, s[10:11]
	s_waitcnt vmcnt(0) lgkmcnt(0)
	v_mul_f64 v[22:23], v[4:5], v[204:205]
	v_mul_f64 v[28:29], v[2:3], v[204:205]
	v_fma_f64 v[22:23], v[2:3], v[202:203], -v[22:23]
	v_fmac_f64_e32 v[28:29], v[4:5], v[202:203]
	v_add_f64 v[2:3], v[10:11], v[22:23]
	v_add_f64 v[4:5], v[12:13], v[28:29]
	v_mov_b32_e32 v202, s13
	s_mov_b32 s13, s14
	s_andn2_b64 exec, exec, s[10:11]
	s_cbranch_execnz .LBB63_137
; %bb.138:
	s_or_b64 exec, exec, s[10:11]
.LBB63_139:
	s_or_b64 exec, exec, s[2:3]
	v_and_b32_e32 v6, 7, v6
	v_cmp_ne_u32_e32 vcc, 0, v6
	s_and_saveexec_b64 s[2:3], vcc
	s_cbranch_execz .LBB63_143
; %bb.140:
	v_lshlrev_b32_e32 v10, 4, v202
	v_add_u32_e32 v7, 0x400, v10
	v_add_u32_e32 v201, 0, v10
	s_mov_b64 s[10:11], 0
.LBB63_141:                             ; =>This Inner Loop Header: Depth=1
	scratch_load_dwordx4 v[202:205], v201, off
	ds_read_b128 v[206:209], v7
	v_add_u32_e32 v6, -1, v6
	v_cmp_eq_u32_e32 vcc, 0, v6
	v_add_u32_e32 v7, 16, v7
	v_add_u32_e32 v201, 16, v201
	s_or_b64 s[10:11], vcc, s[10:11]
	s_waitcnt vmcnt(0) lgkmcnt(0)
	v_mul_f64 v[10:11], v[208:209], v[204:205]
	v_mul_f64 v[12:13], v[206:207], v[204:205]
	v_fma_f64 v[10:11], v[206:207], v[202:203], -v[10:11]
	v_fmac_f64_e32 v[12:13], v[208:209], v[202:203]
	v_add_f64 v[2:3], v[2:3], v[10:11]
	v_add_f64 v[4:5], v[4:5], v[12:13]
	s_andn2_b64 exec, exec, s[10:11]
	s_cbranch_execnz .LBB63_141
; %bb.142:
	s_or_b64 exec, exec, s[10:11]
.LBB63_143:
	s_or_b64 exec, exec, s[2:3]
.LBB63_144:
	s_or_b64 exec, exec, s[8:9]
	v_mov_b32_e32 v6, 0
	ds_read_b128 v[202:205], v6 offset:832
	s_waitcnt lgkmcnt(0)
	v_mul_f64 v[6:7], v[4:5], v[204:205]
	v_mul_f64 v[206:207], v[2:3], v[204:205]
	v_fma_f64 v[204:205], v[2:3], v[202:203], -v[6:7]
	v_fmac_f64_e32 v[206:207], v[4:5], v[202:203]
	scratch_store_dwordx4 off, v[204:207], off offset:832
.LBB63_145:
	s_or_b64 exec, exec, s[4:5]
	scratch_load_dwordx4 v[2:5], v150, off
	v_cmp_lt_u32_e64 s[2:3], 51, v0
	s_waitcnt vmcnt(0)
	ds_write_b128 v9, v[2:5]
	s_waitcnt lgkmcnt(0)
	; wave barrier
	s_waitcnt lgkmcnt(0)
	s_and_saveexec_b64 s[4:5], s[2:3]
	s_cbranch_execz .LBB63_159
; %bb.146:
	ds_read_b128 v[2:5], v9
	s_andn2_b64 vcc, exec, s[6:7]
	s_cbranch_vccnz .LBB63_148
; %bb.147:
	scratch_load_dwordx4 v[202:205], v8, off
	s_waitcnt vmcnt(0) lgkmcnt(0)
	v_mul_f64 v[10:11], v[2:3], v[204:205]
	v_mul_f64 v[6:7], v[4:5], v[204:205]
	v_fmac_f64_e32 v[10:11], v[4:5], v[202:203]
	v_fma_f64 v[2:3], v[2:3], v[202:203], -v[6:7]
	v_mov_b64_e32 v[4:5], v[10:11]
.LBB63_148:
	s_and_saveexec_b64 s[8:9], s[0:1]
	s_cbranch_execz .LBB63_158
; %bb.149:
	v_subrev_u32_e32 v7, 53, v0
	v_subrev_u32_e32 v6, 52, v0
	v_cmp_lt_u32_e32 vcc, 6, v7
	v_mov_b32_e32 v202, 52
	s_and_saveexec_b64 s[0:1], vcc
	s_cbranch_execz .LBB63_153
; %bb.150:
	v_and_b32_e32 v7, -8, v6
	s_mov_b32 s12, 0
	s_mov_b64 s[10:11], 0
	v_mov_b32_e32 v201, 0
	s_mov_b32 s13, 0
.LBB63_151:                             ; =>This Inner Loop Header: Depth=1
	v_readfirstlane_b32 s14, v201
	s_add_i32 s14, s14, s12
	s_add_i32 s15, s14, 0x340
	v_mov_b32_e32 v28, s12
	ds_read_b128 v[202:205], v28 offset:1856
	ds_read_b128 v[206:209], v28 offset:1872
	;; [unrolled: 1-line block ×4, first 2 shown]
	scratch_load_dwordx4 v[218:221], off, s15
	s_add_i32 s15, s14, 0x350
	s_addk_i32 s12, 0x80
	s_waitcnt vmcnt(0) lgkmcnt(3)
	v_mul_f64 v[10:11], v[204:205], v[220:221]
	v_mul_f64 v[12:13], v[202:203], v[220:221]
	v_fma_f64 v[10:11], v[202:203], v[218:219], -v[10:11]
	v_fmac_f64_e32 v[12:13], v[204:205], v[218:219]
	v_add_f64 v[10:11], v[2:3], v[10:11]
	v_add_f64 v[12:13], v[4:5], v[12:13]
	scratch_load_dwordx4 v[2:5], off, s15
	s_add_i32 s15, s14, 0x360
	s_waitcnt vmcnt(0) lgkmcnt(2)
	v_mul_f64 v[22:23], v[208:209], v[4:5]
	v_mul_f64 v[4:5], v[206:207], v[4:5]
	v_fmac_f64_e32 v[4:5], v[208:209], v[2:3]
	v_fma_f64 v[22:23], v[206:207], v[2:3], -v[22:23]
	v_add_f64 v[12:13], v[12:13], v[4:5]
	scratch_load_dwordx4 v[2:5], off, s15
	v_add_f64 v[10:11], v[10:11], v[22:23]
	s_add_i32 s15, s14, 0x370
	s_waitcnt vmcnt(0) lgkmcnt(1)
	v_mul_f64 v[22:23], v[212:213], v[4:5]
	v_mul_f64 v[4:5], v[210:211], v[4:5]
	v_fmac_f64_e32 v[4:5], v[212:213], v[2:3]
	v_fma_f64 v[22:23], v[210:211], v[2:3], -v[22:23]
	v_add_f64 v[12:13], v[12:13], v[4:5]
	scratch_load_dwordx4 v[2:5], off, s15
	s_add_i32 s15, s14, 0x380
	scratch_load_dwordx4 v[202:205], off, s15
	v_add_f64 v[10:11], v[10:11], v[22:23]
	s_add_i32 s15, s14, 0x390
	s_waitcnt vmcnt(1) lgkmcnt(0)
	v_mul_f64 v[22:23], v[216:217], v[4:5]
	v_mul_f64 v[4:5], v[214:215], v[4:5]
	v_fmac_f64_e32 v[4:5], v[216:217], v[2:3]
	v_fma_f64 v[22:23], v[214:215], v[2:3], -v[22:23]
	v_add_f64 v[12:13], v[12:13], v[4:5]
	ds_read_b128 v[2:5], v28 offset:1920
	v_add_f64 v[10:11], v[10:11], v[22:23]
	s_waitcnt vmcnt(0) lgkmcnt(0)
	v_mul_f64 v[22:23], v[4:5], v[204:205]
	v_fma_f64 v[22:23], v[2:3], v[202:203], -v[22:23]
	v_mul_f64 v[2:3], v[2:3], v[204:205]
	v_fmac_f64_e32 v[2:3], v[4:5], v[202:203]
	scratch_load_dwordx4 v[202:205], off, s15
	v_add_f64 v[12:13], v[12:13], v[2:3]
	ds_read_b128 v[2:5], v28 offset:1936
	v_add_f64 v[10:11], v[10:11], v[22:23]
	s_add_i32 s15, s14, 0x3a0
	s_addk_i32 s14, 0x3b0
	s_waitcnt vmcnt(0) lgkmcnt(0)
	v_mul_f64 v[22:23], v[4:5], v[204:205]
	v_fma_f64 v[22:23], v[2:3], v[202:203], -v[22:23]
	v_mul_f64 v[2:3], v[2:3], v[204:205]
	v_fmac_f64_e32 v[2:3], v[4:5], v[202:203]
	scratch_load_dwordx4 v[202:205], off, s15
	v_add_f64 v[12:13], v[12:13], v[2:3]
	ds_read_b128 v[2:5], v28 offset:1952
	v_add_f64 v[10:11], v[10:11], v[22:23]
	s_waitcnt vmcnt(0) lgkmcnt(0)
	v_mul_f64 v[22:23], v[4:5], v[204:205]
	v_fma_f64 v[22:23], v[2:3], v[202:203], -v[22:23]
	v_mul_f64 v[2:3], v[2:3], v[204:205]
	v_fmac_f64_e32 v[2:3], v[4:5], v[202:203]
	scratch_load_dwordx4 v[202:205], off, s14
	v_add_f64 v[12:13], v[12:13], v[2:3]
	ds_read_b128 v[2:5], v28 offset:1968
	v_add_f64 v[10:11], v[10:11], v[22:23]
	s_add_i32 s14, s13, 8
	v_cmp_eq_u32_e32 vcc, s14, v7
	s_add_i32 s13, s13, 60
	s_or_b64 s[10:11], vcc, s[10:11]
	s_waitcnt vmcnt(0) lgkmcnt(0)
	v_mul_f64 v[22:23], v[4:5], v[204:205]
	v_mul_f64 v[28:29], v[2:3], v[204:205]
	v_fma_f64 v[22:23], v[2:3], v[202:203], -v[22:23]
	v_fmac_f64_e32 v[28:29], v[4:5], v[202:203]
	v_add_f64 v[2:3], v[10:11], v[22:23]
	v_add_f64 v[4:5], v[12:13], v[28:29]
	v_mov_b32_e32 v202, s13
	s_mov_b32 s13, s14
	s_andn2_b64 exec, exec, s[10:11]
	s_cbranch_execnz .LBB63_151
; %bb.152:
	s_or_b64 exec, exec, s[10:11]
.LBB63_153:
	s_or_b64 exec, exec, s[0:1]
	v_and_b32_e32 v6, 7, v6
	v_cmp_ne_u32_e32 vcc, 0, v6
	s_and_saveexec_b64 s[0:1], vcc
	s_cbranch_execz .LBB63_157
; %bb.154:
	v_lshlrev_b32_e32 v10, 4, v202
	v_add_u32_e32 v7, 0x400, v10
	v_add_u32_e32 v201, 0, v10
	s_mov_b64 s[10:11], 0
.LBB63_155:                             ; =>This Inner Loop Header: Depth=1
	scratch_load_dwordx4 v[202:205], v201, off
	ds_read_b128 v[206:209], v7
	v_add_u32_e32 v6, -1, v6
	v_cmp_eq_u32_e32 vcc, 0, v6
	v_add_u32_e32 v7, 16, v7
	v_add_u32_e32 v201, 16, v201
	s_or_b64 s[10:11], vcc, s[10:11]
	s_waitcnt vmcnt(0) lgkmcnt(0)
	v_mul_f64 v[10:11], v[208:209], v[204:205]
	v_mul_f64 v[12:13], v[206:207], v[204:205]
	v_fma_f64 v[10:11], v[206:207], v[202:203], -v[10:11]
	v_fmac_f64_e32 v[12:13], v[208:209], v[202:203]
	v_add_f64 v[2:3], v[2:3], v[10:11]
	v_add_f64 v[4:5], v[4:5], v[12:13]
	s_andn2_b64 exec, exec, s[10:11]
	s_cbranch_execnz .LBB63_155
; %bb.156:
	s_or_b64 exec, exec, s[10:11]
.LBB63_157:
	s_or_b64 exec, exec, s[0:1]
.LBB63_158:
	s_or_b64 exec, exec, s[8:9]
	v_mov_b32_e32 v6, 0
	ds_read_b128 v[202:205], v6 offset:816
	s_waitcnt lgkmcnt(0)
	v_mul_f64 v[6:7], v[4:5], v[204:205]
	v_mul_f64 v[206:207], v[2:3], v[204:205]
	v_fma_f64 v[204:205], v[2:3], v[202:203], -v[6:7]
	v_fmac_f64_e32 v[206:207], v[4:5], v[202:203]
	scratch_store_dwordx4 off, v[204:207], off offset:816
.LBB63_159:
	s_or_b64 exec, exec, s[4:5]
	scratch_load_dwordx4 v[2:5], v151, off
	v_cmp_lt_u32_e64 s[0:1], 50, v0
	s_waitcnt vmcnt(0)
	ds_write_b128 v9, v[2:5]
	s_waitcnt lgkmcnt(0)
	; wave barrier
	s_waitcnt lgkmcnt(0)
	s_and_saveexec_b64 s[4:5], s[0:1]
	s_cbranch_execz .LBB63_173
; %bb.160:
	ds_read_b128 v[2:5], v9
	s_andn2_b64 vcc, exec, s[6:7]
	s_cbranch_vccnz .LBB63_162
; %bb.161:
	scratch_load_dwordx4 v[202:205], v8, off
	s_waitcnt vmcnt(0) lgkmcnt(0)
	v_mul_f64 v[10:11], v[2:3], v[204:205]
	v_mul_f64 v[6:7], v[4:5], v[204:205]
	v_fmac_f64_e32 v[10:11], v[4:5], v[202:203]
	v_fma_f64 v[2:3], v[2:3], v[202:203], -v[6:7]
	v_mov_b64_e32 v[4:5], v[10:11]
.LBB63_162:
	s_and_saveexec_b64 s[8:9], s[2:3]
	s_cbranch_execz .LBB63_172
; %bb.163:
	v_subrev_u32_e32 v7, 52, v0
	v_subrev_u32_e32 v6, 51, v0
	v_cmp_lt_u32_e32 vcc, 6, v7
	v_mov_b32_e32 v202, 51
	s_and_saveexec_b64 s[2:3], vcc
	s_cbranch_execz .LBB63_167
; %bb.164:
	v_and_b32_e32 v7, -8, v6
	s_mov_b32 s12, 0
	s_mov_b64 s[10:11], 0
	v_mov_b32_e32 v201, 0
	s_mov_b32 s13, 0
.LBB63_165:                             ; =>This Inner Loop Header: Depth=1
	v_readfirstlane_b32 s14, v201
	s_add_i32 s14, s14, s12
	s_add_i32 s15, s14, 0x330
	v_mov_b32_e32 v28, s12
	ds_read_b128 v[202:205], v28 offset:1840
	ds_read_b128 v[206:209], v28 offset:1856
	;; [unrolled: 1-line block ×4, first 2 shown]
	scratch_load_dwordx4 v[218:221], off, s15
	s_add_i32 s15, s14, 0x340
	s_addk_i32 s12, 0x80
	s_waitcnt vmcnt(0) lgkmcnt(3)
	v_mul_f64 v[10:11], v[204:205], v[220:221]
	v_mul_f64 v[12:13], v[202:203], v[220:221]
	v_fma_f64 v[10:11], v[202:203], v[218:219], -v[10:11]
	v_fmac_f64_e32 v[12:13], v[204:205], v[218:219]
	v_add_f64 v[10:11], v[2:3], v[10:11]
	v_add_f64 v[12:13], v[4:5], v[12:13]
	scratch_load_dwordx4 v[2:5], off, s15
	s_add_i32 s15, s14, 0x350
	s_waitcnt vmcnt(0) lgkmcnt(2)
	v_mul_f64 v[22:23], v[208:209], v[4:5]
	v_mul_f64 v[4:5], v[206:207], v[4:5]
	v_fmac_f64_e32 v[4:5], v[208:209], v[2:3]
	v_fma_f64 v[22:23], v[206:207], v[2:3], -v[22:23]
	v_add_f64 v[12:13], v[12:13], v[4:5]
	scratch_load_dwordx4 v[2:5], off, s15
	v_add_f64 v[10:11], v[10:11], v[22:23]
	s_add_i32 s15, s14, 0x360
	s_waitcnt vmcnt(0) lgkmcnt(1)
	v_mul_f64 v[22:23], v[212:213], v[4:5]
	v_mul_f64 v[4:5], v[210:211], v[4:5]
	v_fmac_f64_e32 v[4:5], v[212:213], v[2:3]
	v_fma_f64 v[22:23], v[210:211], v[2:3], -v[22:23]
	v_add_f64 v[12:13], v[12:13], v[4:5]
	scratch_load_dwordx4 v[2:5], off, s15
	s_add_i32 s15, s14, 0x370
	scratch_load_dwordx4 v[202:205], off, s15
	v_add_f64 v[10:11], v[10:11], v[22:23]
	s_add_i32 s15, s14, 0x380
	s_waitcnt vmcnt(1) lgkmcnt(0)
	v_mul_f64 v[22:23], v[216:217], v[4:5]
	v_mul_f64 v[4:5], v[214:215], v[4:5]
	v_fmac_f64_e32 v[4:5], v[216:217], v[2:3]
	v_fma_f64 v[22:23], v[214:215], v[2:3], -v[22:23]
	v_add_f64 v[12:13], v[12:13], v[4:5]
	ds_read_b128 v[2:5], v28 offset:1904
	v_add_f64 v[10:11], v[10:11], v[22:23]
	s_waitcnt vmcnt(0) lgkmcnt(0)
	v_mul_f64 v[22:23], v[4:5], v[204:205]
	v_fma_f64 v[22:23], v[2:3], v[202:203], -v[22:23]
	v_mul_f64 v[2:3], v[2:3], v[204:205]
	v_fmac_f64_e32 v[2:3], v[4:5], v[202:203]
	scratch_load_dwordx4 v[202:205], off, s15
	v_add_f64 v[12:13], v[12:13], v[2:3]
	ds_read_b128 v[2:5], v28 offset:1920
	v_add_f64 v[10:11], v[10:11], v[22:23]
	s_add_i32 s15, s14, 0x390
	s_addk_i32 s14, 0x3a0
	s_waitcnt vmcnt(0) lgkmcnt(0)
	v_mul_f64 v[22:23], v[4:5], v[204:205]
	v_fma_f64 v[22:23], v[2:3], v[202:203], -v[22:23]
	v_mul_f64 v[2:3], v[2:3], v[204:205]
	v_fmac_f64_e32 v[2:3], v[4:5], v[202:203]
	scratch_load_dwordx4 v[202:205], off, s15
	v_add_f64 v[12:13], v[12:13], v[2:3]
	ds_read_b128 v[2:5], v28 offset:1936
	v_add_f64 v[10:11], v[10:11], v[22:23]
	s_waitcnt vmcnt(0) lgkmcnt(0)
	v_mul_f64 v[22:23], v[4:5], v[204:205]
	v_fma_f64 v[22:23], v[2:3], v[202:203], -v[22:23]
	v_mul_f64 v[2:3], v[2:3], v[204:205]
	v_fmac_f64_e32 v[2:3], v[4:5], v[202:203]
	scratch_load_dwordx4 v[202:205], off, s14
	v_add_f64 v[12:13], v[12:13], v[2:3]
	ds_read_b128 v[2:5], v28 offset:1952
	v_add_f64 v[10:11], v[10:11], v[22:23]
	s_add_i32 s14, s13, 8
	v_cmp_eq_u32_e32 vcc, s14, v7
	s_add_i32 s13, s13, 59
	s_or_b64 s[10:11], vcc, s[10:11]
	s_waitcnt vmcnt(0) lgkmcnt(0)
	v_mul_f64 v[22:23], v[4:5], v[204:205]
	v_mul_f64 v[28:29], v[2:3], v[204:205]
	v_fma_f64 v[22:23], v[2:3], v[202:203], -v[22:23]
	v_fmac_f64_e32 v[28:29], v[4:5], v[202:203]
	v_add_f64 v[2:3], v[10:11], v[22:23]
	v_add_f64 v[4:5], v[12:13], v[28:29]
	v_mov_b32_e32 v202, s13
	s_mov_b32 s13, s14
	s_andn2_b64 exec, exec, s[10:11]
	s_cbranch_execnz .LBB63_165
; %bb.166:
	s_or_b64 exec, exec, s[10:11]
.LBB63_167:
	s_or_b64 exec, exec, s[2:3]
	v_and_b32_e32 v6, 7, v6
	v_cmp_ne_u32_e32 vcc, 0, v6
	s_and_saveexec_b64 s[2:3], vcc
	s_cbranch_execz .LBB63_171
; %bb.168:
	v_lshlrev_b32_e32 v10, 4, v202
	v_add_u32_e32 v7, 0x400, v10
	v_add_u32_e32 v201, 0, v10
	s_mov_b64 s[10:11], 0
.LBB63_169:                             ; =>This Inner Loop Header: Depth=1
	scratch_load_dwordx4 v[202:205], v201, off
	ds_read_b128 v[206:209], v7
	v_add_u32_e32 v6, -1, v6
	v_cmp_eq_u32_e32 vcc, 0, v6
	v_add_u32_e32 v7, 16, v7
	v_add_u32_e32 v201, 16, v201
	s_or_b64 s[10:11], vcc, s[10:11]
	s_waitcnt vmcnt(0) lgkmcnt(0)
	v_mul_f64 v[10:11], v[208:209], v[204:205]
	v_mul_f64 v[12:13], v[206:207], v[204:205]
	v_fma_f64 v[10:11], v[206:207], v[202:203], -v[10:11]
	v_fmac_f64_e32 v[12:13], v[208:209], v[202:203]
	v_add_f64 v[2:3], v[2:3], v[10:11]
	v_add_f64 v[4:5], v[4:5], v[12:13]
	s_andn2_b64 exec, exec, s[10:11]
	s_cbranch_execnz .LBB63_169
; %bb.170:
	s_or_b64 exec, exec, s[10:11]
.LBB63_171:
	s_or_b64 exec, exec, s[2:3]
.LBB63_172:
	s_or_b64 exec, exec, s[8:9]
	v_mov_b32_e32 v6, 0
	ds_read_b128 v[202:205], v6 offset:800
	s_waitcnt lgkmcnt(0)
	v_mul_f64 v[6:7], v[4:5], v[204:205]
	v_mul_f64 v[206:207], v[2:3], v[204:205]
	v_fma_f64 v[204:205], v[2:3], v[202:203], -v[6:7]
	v_fmac_f64_e32 v[206:207], v[4:5], v[202:203]
	scratch_store_dwordx4 off, v[204:207], off offset:800
.LBB63_173:
	s_or_b64 exec, exec, s[4:5]
	scratch_load_dwordx4 v[2:5], v152, off
	v_cmp_lt_u32_e64 s[2:3], 49, v0
	s_waitcnt vmcnt(0)
	ds_write_b128 v9, v[2:5]
	s_waitcnt lgkmcnt(0)
	; wave barrier
	s_waitcnt lgkmcnt(0)
	s_and_saveexec_b64 s[4:5], s[2:3]
	s_cbranch_execz .LBB63_187
; %bb.174:
	ds_read_b128 v[2:5], v9
	s_andn2_b64 vcc, exec, s[6:7]
	s_cbranch_vccnz .LBB63_176
; %bb.175:
	scratch_load_dwordx4 v[202:205], v8, off
	s_waitcnt vmcnt(0) lgkmcnt(0)
	v_mul_f64 v[10:11], v[2:3], v[204:205]
	v_mul_f64 v[6:7], v[4:5], v[204:205]
	v_fmac_f64_e32 v[10:11], v[4:5], v[202:203]
	v_fma_f64 v[2:3], v[2:3], v[202:203], -v[6:7]
	v_mov_b64_e32 v[4:5], v[10:11]
.LBB63_176:
	s_and_saveexec_b64 s[8:9], s[0:1]
	s_cbranch_execz .LBB63_186
; %bb.177:
	v_subrev_u32_e32 v7, 51, v0
	v_subrev_u32_e32 v6, 50, v0
	v_cmp_lt_u32_e32 vcc, 6, v7
	v_mov_b32_e32 v202, 50
	s_and_saveexec_b64 s[0:1], vcc
	s_cbranch_execz .LBB63_181
; %bb.178:
	v_and_b32_e32 v7, -8, v6
	s_mov_b32 s12, 0
	s_mov_b64 s[10:11], 0
	v_mov_b32_e32 v201, 0
	s_mov_b32 s13, 0
.LBB63_179:                             ; =>This Inner Loop Header: Depth=1
	v_readfirstlane_b32 s14, v201
	s_add_i32 s14, s14, s12
	s_add_i32 s15, s14, 0x320
	v_mov_b32_e32 v28, s12
	ds_read_b128 v[202:205], v28 offset:1824
	ds_read_b128 v[206:209], v28 offset:1840
	;; [unrolled: 1-line block ×4, first 2 shown]
	scratch_load_dwordx4 v[218:221], off, s15
	s_add_i32 s15, s14, 0x330
	s_addk_i32 s12, 0x80
	s_waitcnt vmcnt(0) lgkmcnt(3)
	v_mul_f64 v[10:11], v[204:205], v[220:221]
	v_mul_f64 v[12:13], v[202:203], v[220:221]
	v_fma_f64 v[10:11], v[202:203], v[218:219], -v[10:11]
	v_fmac_f64_e32 v[12:13], v[204:205], v[218:219]
	v_add_f64 v[10:11], v[2:3], v[10:11]
	v_add_f64 v[12:13], v[4:5], v[12:13]
	scratch_load_dwordx4 v[2:5], off, s15
	s_add_i32 s15, s14, 0x340
	s_waitcnt vmcnt(0) lgkmcnt(2)
	v_mul_f64 v[22:23], v[208:209], v[4:5]
	v_mul_f64 v[4:5], v[206:207], v[4:5]
	v_fmac_f64_e32 v[4:5], v[208:209], v[2:3]
	v_fma_f64 v[22:23], v[206:207], v[2:3], -v[22:23]
	v_add_f64 v[12:13], v[12:13], v[4:5]
	scratch_load_dwordx4 v[2:5], off, s15
	v_add_f64 v[10:11], v[10:11], v[22:23]
	s_add_i32 s15, s14, 0x350
	s_waitcnt vmcnt(0) lgkmcnt(1)
	v_mul_f64 v[22:23], v[212:213], v[4:5]
	v_mul_f64 v[4:5], v[210:211], v[4:5]
	v_fmac_f64_e32 v[4:5], v[212:213], v[2:3]
	v_fma_f64 v[22:23], v[210:211], v[2:3], -v[22:23]
	v_add_f64 v[12:13], v[12:13], v[4:5]
	scratch_load_dwordx4 v[2:5], off, s15
	s_add_i32 s15, s14, 0x360
	scratch_load_dwordx4 v[202:205], off, s15
	v_add_f64 v[10:11], v[10:11], v[22:23]
	s_add_i32 s15, s14, 0x370
	s_waitcnt vmcnt(1) lgkmcnt(0)
	v_mul_f64 v[22:23], v[216:217], v[4:5]
	v_mul_f64 v[4:5], v[214:215], v[4:5]
	v_fmac_f64_e32 v[4:5], v[216:217], v[2:3]
	v_fma_f64 v[22:23], v[214:215], v[2:3], -v[22:23]
	v_add_f64 v[12:13], v[12:13], v[4:5]
	ds_read_b128 v[2:5], v28 offset:1888
	v_add_f64 v[10:11], v[10:11], v[22:23]
	s_waitcnt vmcnt(0) lgkmcnt(0)
	v_mul_f64 v[22:23], v[4:5], v[204:205]
	v_fma_f64 v[22:23], v[2:3], v[202:203], -v[22:23]
	v_mul_f64 v[2:3], v[2:3], v[204:205]
	v_fmac_f64_e32 v[2:3], v[4:5], v[202:203]
	scratch_load_dwordx4 v[202:205], off, s15
	v_add_f64 v[12:13], v[12:13], v[2:3]
	ds_read_b128 v[2:5], v28 offset:1904
	v_add_f64 v[10:11], v[10:11], v[22:23]
	s_add_i32 s15, s14, 0x380
	s_addk_i32 s14, 0x390
	s_waitcnt vmcnt(0) lgkmcnt(0)
	v_mul_f64 v[22:23], v[4:5], v[204:205]
	v_fma_f64 v[22:23], v[2:3], v[202:203], -v[22:23]
	v_mul_f64 v[2:3], v[2:3], v[204:205]
	v_fmac_f64_e32 v[2:3], v[4:5], v[202:203]
	scratch_load_dwordx4 v[202:205], off, s15
	v_add_f64 v[12:13], v[12:13], v[2:3]
	ds_read_b128 v[2:5], v28 offset:1920
	v_add_f64 v[10:11], v[10:11], v[22:23]
	s_waitcnt vmcnt(0) lgkmcnt(0)
	v_mul_f64 v[22:23], v[4:5], v[204:205]
	v_fma_f64 v[22:23], v[2:3], v[202:203], -v[22:23]
	v_mul_f64 v[2:3], v[2:3], v[204:205]
	v_fmac_f64_e32 v[2:3], v[4:5], v[202:203]
	scratch_load_dwordx4 v[202:205], off, s14
	v_add_f64 v[12:13], v[12:13], v[2:3]
	ds_read_b128 v[2:5], v28 offset:1936
	v_add_f64 v[10:11], v[10:11], v[22:23]
	s_add_i32 s14, s13, 8
	v_cmp_eq_u32_e32 vcc, s14, v7
	s_add_i32 s13, s13, 58
	s_or_b64 s[10:11], vcc, s[10:11]
	s_waitcnt vmcnt(0) lgkmcnt(0)
	v_mul_f64 v[22:23], v[4:5], v[204:205]
	v_mul_f64 v[28:29], v[2:3], v[204:205]
	v_fma_f64 v[22:23], v[2:3], v[202:203], -v[22:23]
	v_fmac_f64_e32 v[28:29], v[4:5], v[202:203]
	v_add_f64 v[2:3], v[10:11], v[22:23]
	v_add_f64 v[4:5], v[12:13], v[28:29]
	v_mov_b32_e32 v202, s13
	s_mov_b32 s13, s14
	s_andn2_b64 exec, exec, s[10:11]
	s_cbranch_execnz .LBB63_179
; %bb.180:
	s_or_b64 exec, exec, s[10:11]
.LBB63_181:
	s_or_b64 exec, exec, s[0:1]
	v_and_b32_e32 v6, 7, v6
	v_cmp_ne_u32_e32 vcc, 0, v6
	s_and_saveexec_b64 s[0:1], vcc
	s_cbranch_execz .LBB63_185
; %bb.182:
	v_lshlrev_b32_e32 v10, 4, v202
	v_add_u32_e32 v7, 0x400, v10
	v_add_u32_e32 v201, 0, v10
	s_mov_b64 s[10:11], 0
.LBB63_183:                             ; =>This Inner Loop Header: Depth=1
	scratch_load_dwordx4 v[202:205], v201, off
	ds_read_b128 v[206:209], v7
	v_add_u32_e32 v6, -1, v6
	v_cmp_eq_u32_e32 vcc, 0, v6
	v_add_u32_e32 v7, 16, v7
	v_add_u32_e32 v201, 16, v201
	s_or_b64 s[10:11], vcc, s[10:11]
	s_waitcnt vmcnt(0) lgkmcnt(0)
	v_mul_f64 v[10:11], v[208:209], v[204:205]
	v_mul_f64 v[12:13], v[206:207], v[204:205]
	v_fma_f64 v[10:11], v[206:207], v[202:203], -v[10:11]
	v_fmac_f64_e32 v[12:13], v[208:209], v[202:203]
	v_add_f64 v[2:3], v[2:3], v[10:11]
	v_add_f64 v[4:5], v[4:5], v[12:13]
	s_andn2_b64 exec, exec, s[10:11]
	s_cbranch_execnz .LBB63_183
; %bb.184:
	s_or_b64 exec, exec, s[10:11]
.LBB63_185:
	s_or_b64 exec, exec, s[0:1]
.LBB63_186:
	s_or_b64 exec, exec, s[8:9]
	v_mov_b32_e32 v6, 0
	ds_read_b128 v[202:205], v6 offset:784
	s_waitcnt lgkmcnt(0)
	v_mul_f64 v[6:7], v[4:5], v[204:205]
	v_mul_f64 v[206:207], v[2:3], v[204:205]
	v_fma_f64 v[204:205], v[2:3], v[202:203], -v[6:7]
	v_fmac_f64_e32 v[206:207], v[4:5], v[202:203]
	scratch_store_dwordx4 off, v[204:207], off offset:784
.LBB63_187:
	s_or_b64 exec, exec, s[4:5]
	scratch_load_dwordx4 v[2:5], v153, off
	v_cmp_lt_u32_e64 s[0:1], 48, v0
	s_waitcnt vmcnt(0)
	ds_write_b128 v9, v[2:5]
	s_waitcnt lgkmcnt(0)
	; wave barrier
	s_waitcnt lgkmcnt(0)
	s_and_saveexec_b64 s[4:5], s[0:1]
	s_cbranch_execz .LBB63_201
; %bb.188:
	ds_read_b128 v[2:5], v9
	s_andn2_b64 vcc, exec, s[6:7]
	s_cbranch_vccnz .LBB63_190
; %bb.189:
	scratch_load_dwordx4 v[202:205], v8, off
	s_waitcnt vmcnt(0) lgkmcnt(0)
	v_mul_f64 v[10:11], v[2:3], v[204:205]
	v_mul_f64 v[6:7], v[4:5], v[204:205]
	v_fmac_f64_e32 v[10:11], v[4:5], v[202:203]
	v_fma_f64 v[2:3], v[2:3], v[202:203], -v[6:7]
	v_mov_b64_e32 v[4:5], v[10:11]
.LBB63_190:
	s_and_saveexec_b64 s[8:9], s[2:3]
	s_cbranch_execz .LBB63_200
; %bb.191:
	v_subrev_u32_e32 v7, 50, v0
	v_subrev_u32_e32 v6, 49, v0
	v_cmp_lt_u32_e32 vcc, 6, v7
	v_mov_b32_e32 v202, 49
	s_and_saveexec_b64 s[2:3], vcc
	s_cbranch_execz .LBB63_195
; %bb.192:
	v_and_b32_e32 v7, -8, v6
	s_mov_b32 s12, 0
	s_mov_b64 s[10:11], 0
	v_mov_b32_e32 v201, 0
	s_mov_b32 s13, 0
.LBB63_193:                             ; =>This Inner Loop Header: Depth=1
	v_readfirstlane_b32 s14, v201
	s_add_i32 s14, s14, s12
	s_add_i32 s15, s14, 0x310
	v_mov_b32_e32 v28, s12
	ds_read_b128 v[202:205], v28 offset:1808
	ds_read_b128 v[206:209], v28 offset:1824
	;; [unrolled: 1-line block ×4, first 2 shown]
	scratch_load_dwordx4 v[218:221], off, s15
	s_add_i32 s15, s14, 0x320
	s_addk_i32 s12, 0x80
	s_waitcnt vmcnt(0) lgkmcnt(3)
	v_mul_f64 v[10:11], v[204:205], v[220:221]
	v_mul_f64 v[12:13], v[202:203], v[220:221]
	v_fma_f64 v[10:11], v[202:203], v[218:219], -v[10:11]
	v_fmac_f64_e32 v[12:13], v[204:205], v[218:219]
	v_add_f64 v[10:11], v[2:3], v[10:11]
	v_add_f64 v[12:13], v[4:5], v[12:13]
	scratch_load_dwordx4 v[2:5], off, s15
	s_add_i32 s15, s14, 0x330
	s_waitcnt vmcnt(0) lgkmcnt(2)
	v_mul_f64 v[22:23], v[208:209], v[4:5]
	v_mul_f64 v[4:5], v[206:207], v[4:5]
	v_fmac_f64_e32 v[4:5], v[208:209], v[2:3]
	v_fma_f64 v[22:23], v[206:207], v[2:3], -v[22:23]
	v_add_f64 v[12:13], v[12:13], v[4:5]
	scratch_load_dwordx4 v[2:5], off, s15
	v_add_f64 v[10:11], v[10:11], v[22:23]
	s_add_i32 s15, s14, 0x340
	s_waitcnt vmcnt(0) lgkmcnt(1)
	v_mul_f64 v[22:23], v[212:213], v[4:5]
	v_mul_f64 v[4:5], v[210:211], v[4:5]
	v_fmac_f64_e32 v[4:5], v[212:213], v[2:3]
	v_fma_f64 v[22:23], v[210:211], v[2:3], -v[22:23]
	v_add_f64 v[12:13], v[12:13], v[4:5]
	scratch_load_dwordx4 v[2:5], off, s15
	s_add_i32 s15, s14, 0x350
	scratch_load_dwordx4 v[202:205], off, s15
	v_add_f64 v[10:11], v[10:11], v[22:23]
	s_add_i32 s15, s14, 0x360
	s_waitcnt vmcnt(1) lgkmcnt(0)
	v_mul_f64 v[22:23], v[216:217], v[4:5]
	v_mul_f64 v[4:5], v[214:215], v[4:5]
	v_fmac_f64_e32 v[4:5], v[216:217], v[2:3]
	v_fma_f64 v[22:23], v[214:215], v[2:3], -v[22:23]
	v_add_f64 v[12:13], v[12:13], v[4:5]
	ds_read_b128 v[2:5], v28 offset:1872
	v_add_f64 v[10:11], v[10:11], v[22:23]
	s_waitcnt vmcnt(0) lgkmcnt(0)
	v_mul_f64 v[22:23], v[4:5], v[204:205]
	v_fma_f64 v[22:23], v[2:3], v[202:203], -v[22:23]
	v_mul_f64 v[2:3], v[2:3], v[204:205]
	v_fmac_f64_e32 v[2:3], v[4:5], v[202:203]
	scratch_load_dwordx4 v[202:205], off, s15
	v_add_f64 v[12:13], v[12:13], v[2:3]
	ds_read_b128 v[2:5], v28 offset:1888
	v_add_f64 v[10:11], v[10:11], v[22:23]
	s_add_i32 s15, s14, 0x370
	s_addk_i32 s14, 0x380
	s_waitcnt vmcnt(0) lgkmcnt(0)
	v_mul_f64 v[22:23], v[4:5], v[204:205]
	v_fma_f64 v[22:23], v[2:3], v[202:203], -v[22:23]
	v_mul_f64 v[2:3], v[2:3], v[204:205]
	v_fmac_f64_e32 v[2:3], v[4:5], v[202:203]
	scratch_load_dwordx4 v[202:205], off, s15
	v_add_f64 v[12:13], v[12:13], v[2:3]
	ds_read_b128 v[2:5], v28 offset:1904
	v_add_f64 v[10:11], v[10:11], v[22:23]
	s_waitcnt vmcnt(0) lgkmcnt(0)
	v_mul_f64 v[22:23], v[4:5], v[204:205]
	v_fma_f64 v[22:23], v[2:3], v[202:203], -v[22:23]
	v_mul_f64 v[2:3], v[2:3], v[204:205]
	v_fmac_f64_e32 v[2:3], v[4:5], v[202:203]
	scratch_load_dwordx4 v[202:205], off, s14
	v_add_f64 v[12:13], v[12:13], v[2:3]
	ds_read_b128 v[2:5], v28 offset:1920
	v_add_f64 v[10:11], v[10:11], v[22:23]
	s_add_i32 s14, s13, 8
	v_cmp_eq_u32_e32 vcc, s14, v7
	s_add_i32 s13, s13, 57
	s_or_b64 s[10:11], vcc, s[10:11]
	s_waitcnt vmcnt(0) lgkmcnt(0)
	v_mul_f64 v[22:23], v[4:5], v[204:205]
	v_mul_f64 v[28:29], v[2:3], v[204:205]
	v_fma_f64 v[22:23], v[2:3], v[202:203], -v[22:23]
	v_fmac_f64_e32 v[28:29], v[4:5], v[202:203]
	v_add_f64 v[2:3], v[10:11], v[22:23]
	v_add_f64 v[4:5], v[12:13], v[28:29]
	v_mov_b32_e32 v202, s13
	s_mov_b32 s13, s14
	s_andn2_b64 exec, exec, s[10:11]
	s_cbranch_execnz .LBB63_193
; %bb.194:
	s_or_b64 exec, exec, s[10:11]
.LBB63_195:
	s_or_b64 exec, exec, s[2:3]
	v_and_b32_e32 v6, 7, v6
	v_cmp_ne_u32_e32 vcc, 0, v6
	s_and_saveexec_b64 s[2:3], vcc
	s_cbranch_execz .LBB63_199
; %bb.196:
	v_lshlrev_b32_e32 v10, 4, v202
	v_add_u32_e32 v7, 0x400, v10
	v_add_u32_e32 v201, 0, v10
	s_mov_b64 s[10:11], 0
.LBB63_197:                             ; =>This Inner Loop Header: Depth=1
	scratch_load_dwordx4 v[202:205], v201, off
	ds_read_b128 v[206:209], v7
	v_add_u32_e32 v6, -1, v6
	v_cmp_eq_u32_e32 vcc, 0, v6
	v_add_u32_e32 v7, 16, v7
	v_add_u32_e32 v201, 16, v201
	s_or_b64 s[10:11], vcc, s[10:11]
	s_waitcnt vmcnt(0) lgkmcnt(0)
	v_mul_f64 v[10:11], v[208:209], v[204:205]
	v_mul_f64 v[12:13], v[206:207], v[204:205]
	v_fma_f64 v[10:11], v[206:207], v[202:203], -v[10:11]
	v_fmac_f64_e32 v[12:13], v[208:209], v[202:203]
	v_add_f64 v[2:3], v[2:3], v[10:11]
	v_add_f64 v[4:5], v[4:5], v[12:13]
	s_andn2_b64 exec, exec, s[10:11]
	s_cbranch_execnz .LBB63_197
; %bb.198:
	s_or_b64 exec, exec, s[10:11]
.LBB63_199:
	s_or_b64 exec, exec, s[2:3]
.LBB63_200:
	s_or_b64 exec, exec, s[8:9]
	v_mov_b32_e32 v6, 0
	ds_read_b128 v[202:205], v6 offset:768
	s_waitcnt lgkmcnt(0)
	v_mul_f64 v[6:7], v[4:5], v[204:205]
	v_mul_f64 v[206:207], v[2:3], v[204:205]
	v_fma_f64 v[204:205], v[2:3], v[202:203], -v[6:7]
	v_fmac_f64_e32 v[206:207], v[4:5], v[202:203]
	scratch_store_dwordx4 off, v[204:207], off offset:768
.LBB63_201:
	s_or_b64 exec, exec, s[4:5]
	scratch_load_dwordx4 v[2:5], v154, off
	v_cmp_lt_u32_e64 s[2:3], 47, v0
	s_waitcnt vmcnt(0)
	ds_write_b128 v9, v[2:5]
	s_waitcnt lgkmcnt(0)
	; wave barrier
	s_waitcnt lgkmcnt(0)
	s_and_saveexec_b64 s[4:5], s[2:3]
	s_cbranch_execz .LBB63_215
; %bb.202:
	ds_read_b128 v[2:5], v9
	s_andn2_b64 vcc, exec, s[6:7]
	s_cbranch_vccnz .LBB63_204
; %bb.203:
	scratch_load_dwordx4 v[202:205], v8, off
	s_waitcnt vmcnt(0) lgkmcnt(0)
	v_mul_f64 v[10:11], v[2:3], v[204:205]
	v_mul_f64 v[6:7], v[4:5], v[204:205]
	v_fmac_f64_e32 v[10:11], v[4:5], v[202:203]
	v_fma_f64 v[2:3], v[2:3], v[202:203], -v[6:7]
	v_mov_b64_e32 v[4:5], v[10:11]
.LBB63_204:
	s_and_saveexec_b64 s[8:9], s[0:1]
	s_cbranch_execz .LBB63_214
; %bb.205:
	v_subrev_u32_e32 v6, 49, v0
	v_cmp_lt_u32_e32 vcc, 6, v6
	v_mov_b32_e32 v6, 48
	s_and_saveexec_b64 s[0:1], vcc
	s_cbranch_execz .LBB63_209
; %bb.206:
	v_and_b32_e32 v6, 56, v0
	s_mov_b32 s12, 48
	s_mov_b32 s13, 0
	s_mov_b64 s[10:11], 0
	v_mov_b32_e32 v7, 0
.LBB63_207:                             ; =>This Inner Loop Header: Depth=1
	s_nop 0
	v_readfirstlane_b32 s14, v7
	s_add_i32 s14, s14, s13
	s_add_i32 s15, s14, 0x300
	v_mov_b32_e32 v28, s13
	ds_read_b128 v[202:205], v28 offset:1792
	ds_read_b128 v[206:209], v28 offset:1808
	;; [unrolled: 1-line block ×4, first 2 shown]
	scratch_load_dwordx4 v[218:221], off, s15
	s_add_i32 s15, s14, 0x310
	s_add_i32 s12, s12, 8
	s_addk_i32 s13, 0x80
	v_cmp_eq_u32_e32 vcc, s12, v6
	s_waitcnt vmcnt(0) lgkmcnt(3)
	v_mul_f64 v[10:11], v[204:205], v[220:221]
	v_mul_f64 v[12:13], v[202:203], v[220:221]
	v_fma_f64 v[10:11], v[202:203], v[218:219], -v[10:11]
	v_fmac_f64_e32 v[12:13], v[204:205], v[218:219]
	v_add_f64 v[10:11], v[2:3], v[10:11]
	v_add_f64 v[12:13], v[4:5], v[12:13]
	scratch_load_dwordx4 v[2:5], off, s15
	s_add_i32 s15, s14, 0x320
	s_waitcnt vmcnt(0) lgkmcnt(2)
	v_mul_f64 v[22:23], v[208:209], v[4:5]
	v_mul_f64 v[4:5], v[206:207], v[4:5]
	v_fmac_f64_e32 v[4:5], v[208:209], v[2:3]
	v_fma_f64 v[22:23], v[206:207], v[2:3], -v[22:23]
	v_add_f64 v[12:13], v[12:13], v[4:5]
	scratch_load_dwordx4 v[2:5], off, s15
	v_add_f64 v[10:11], v[10:11], v[22:23]
	s_add_i32 s15, s14, 0x330
	s_waitcnt vmcnt(0) lgkmcnt(1)
	v_mul_f64 v[22:23], v[212:213], v[4:5]
	v_mul_f64 v[4:5], v[210:211], v[4:5]
	v_fmac_f64_e32 v[4:5], v[212:213], v[2:3]
	v_fma_f64 v[22:23], v[210:211], v[2:3], -v[22:23]
	v_add_f64 v[12:13], v[12:13], v[4:5]
	scratch_load_dwordx4 v[2:5], off, s15
	s_add_i32 s15, s14, 0x340
	scratch_load_dwordx4 v[202:205], off, s15
	v_add_f64 v[10:11], v[10:11], v[22:23]
	s_add_i32 s15, s14, 0x350
	s_waitcnt vmcnt(1) lgkmcnt(0)
	v_mul_f64 v[22:23], v[216:217], v[4:5]
	v_mul_f64 v[4:5], v[214:215], v[4:5]
	v_fmac_f64_e32 v[4:5], v[216:217], v[2:3]
	v_fma_f64 v[22:23], v[214:215], v[2:3], -v[22:23]
	v_add_f64 v[12:13], v[12:13], v[4:5]
	ds_read_b128 v[2:5], v28 offset:1856
	v_add_f64 v[10:11], v[10:11], v[22:23]
	s_waitcnt vmcnt(0) lgkmcnt(0)
	v_mul_f64 v[22:23], v[4:5], v[204:205]
	v_fma_f64 v[22:23], v[2:3], v[202:203], -v[22:23]
	v_mul_f64 v[2:3], v[2:3], v[204:205]
	v_fmac_f64_e32 v[2:3], v[4:5], v[202:203]
	scratch_load_dwordx4 v[202:205], off, s15
	v_add_f64 v[12:13], v[12:13], v[2:3]
	ds_read_b128 v[2:5], v28 offset:1872
	v_add_f64 v[10:11], v[10:11], v[22:23]
	s_add_i32 s15, s14, 0x360
	s_addk_i32 s14, 0x370
	s_or_b64 s[10:11], vcc, s[10:11]
	s_waitcnt vmcnt(0) lgkmcnt(0)
	v_mul_f64 v[22:23], v[4:5], v[204:205]
	v_fma_f64 v[22:23], v[2:3], v[202:203], -v[22:23]
	v_mul_f64 v[2:3], v[2:3], v[204:205]
	v_fmac_f64_e32 v[2:3], v[4:5], v[202:203]
	scratch_load_dwordx4 v[202:205], off, s15
	v_add_f64 v[12:13], v[12:13], v[2:3]
	ds_read_b128 v[2:5], v28 offset:1888
	v_add_f64 v[10:11], v[10:11], v[22:23]
	s_waitcnt vmcnt(0) lgkmcnt(0)
	v_mul_f64 v[22:23], v[4:5], v[204:205]
	v_fma_f64 v[22:23], v[2:3], v[202:203], -v[22:23]
	v_mul_f64 v[2:3], v[2:3], v[204:205]
	v_fmac_f64_e32 v[2:3], v[4:5], v[202:203]
	scratch_load_dwordx4 v[202:205], off, s14
	v_add_f64 v[12:13], v[12:13], v[2:3]
	ds_read_b128 v[2:5], v28 offset:1904
	v_add_f64 v[10:11], v[10:11], v[22:23]
	s_waitcnt vmcnt(0) lgkmcnt(0)
	v_mul_f64 v[22:23], v[4:5], v[204:205]
	v_mul_f64 v[28:29], v[2:3], v[204:205]
	v_fma_f64 v[22:23], v[2:3], v[202:203], -v[22:23]
	v_fmac_f64_e32 v[28:29], v[4:5], v[202:203]
	v_add_f64 v[2:3], v[10:11], v[22:23]
	v_add_f64 v[4:5], v[12:13], v[28:29]
	s_andn2_b64 exec, exec, s[10:11]
	s_cbranch_execnz .LBB63_207
; %bb.208:
	s_or_b64 exec, exec, s[10:11]
.LBB63_209:
	s_or_b64 exec, exec, s[0:1]
	v_and_b32_e32 v7, 7, v0
	v_cmp_ne_u32_e32 vcc, 0, v7
	s_and_saveexec_b64 s[0:1], vcc
	s_cbranch_execz .LBB63_213
; %bb.210:
	v_lshlrev_b32_e32 v10, 4, v6
	v_or_b32_e32 v6, 0x400, v10
	v_add_u32_e32 v201, 0, v10
	s_mov_b64 s[10:11], 0
.LBB63_211:                             ; =>This Inner Loop Header: Depth=1
	scratch_load_dwordx4 v[202:205], v201, off
	ds_read_b128 v[206:209], v6
	v_add_u32_e32 v7, -1, v7
	v_cmp_eq_u32_e32 vcc, 0, v7
	v_add_u32_e32 v6, 16, v6
	v_add_u32_e32 v201, 16, v201
	s_or_b64 s[10:11], vcc, s[10:11]
	s_waitcnt vmcnt(0) lgkmcnt(0)
	v_mul_f64 v[10:11], v[208:209], v[204:205]
	v_mul_f64 v[12:13], v[206:207], v[204:205]
	v_fma_f64 v[10:11], v[206:207], v[202:203], -v[10:11]
	v_fmac_f64_e32 v[12:13], v[208:209], v[202:203]
	v_add_f64 v[2:3], v[2:3], v[10:11]
	v_add_f64 v[4:5], v[4:5], v[12:13]
	s_andn2_b64 exec, exec, s[10:11]
	s_cbranch_execnz .LBB63_211
; %bb.212:
	s_or_b64 exec, exec, s[10:11]
.LBB63_213:
	s_or_b64 exec, exec, s[0:1]
.LBB63_214:
	s_or_b64 exec, exec, s[8:9]
	v_mov_b32_e32 v6, 0
	ds_read_b128 v[202:205], v6 offset:752
	s_waitcnt lgkmcnt(0)
	v_mul_f64 v[6:7], v[4:5], v[204:205]
	v_mul_f64 v[206:207], v[2:3], v[204:205]
	v_fma_f64 v[204:205], v[2:3], v[202:203], -v[6:7]
	v_fmac_f64_e32 v[206:207], v[4:5], v[202:203]
	scratch_store_dwordx4 off, v[204:207], off offset:752
.LBB63_215:
	s_or_b64 exec, exec, s[4:5]
	scratch_load_dwordx4 v[2:5], v155, off
	v_cmp_lt_u32_e64 s[0:1], 46, v0
	s_waitcnt vmcnt(0)
	ds_write_b128 v9, v[2:5]
	s_waitcnt lgkmcnt(0)
	; wave barrier
	s_waitcnt lgkmcnt(0)
	s_and_saveexec_b64 s[4:5], s[0:1]
	s_cbranch_execz .LBB63_229
; %bb.216:
	ds_read_b128 v[2:5], v9
	s_andn2_b64 vcc, exec, s[6:7]
	s_cbranch_vccnz .LBB63_218
; %bb.217:
	scratch_load_dwordx4 v[202:205], v8, off
	s_waitcnt vmcnt(0) lgkmcnt(0)
	v_mul_f64 v[10:11], v[2:3], v[204:205]
	v_mul_f64 v[6:7], v[4:5], v[204:205]
	v_fmac_f64_e32 v[10:11], v[4:5], v[202:203]
	v_fma_f64 v[2:3], v[2:3], v[202:203], -v[6:7]
	v_mov_b64_e32 v[4:5], v[10:11]
.LBB63_218:
	s_and_saveexec_b64 s[8:9], s[2:3]
	s_cbranch_execz .LBB63_228
; %bb.219:
	v_subrev_u32_e32 v7, 48, v0
	v_subrev_u32_e32 v6, 47, v0
	v_cmp_lt_u32_e32 vcc, 6, v7
	v_mov_b32_e32 v202, 47
	s_and_saveexec_b64 s[2:3], vcc
	s_cbranch_execz .LBB63_223
; %bb.220:
	v_and_b32_e32 v7, -8, v6
	s_mov_b32 s12, 0
	s_mov_b64 s[10:11], 0
	v_mov_b32_e32 v201, 0
	s_mov_b32 s13, 0
.LBB63_221:                             ; =>This Inner Loop Header: Depth=1
	v_readfirstlane_b32 s14, v201
	s_add_i32 s14, s14, s12
	s_add_i32 s15, s14, 0x2f0
	v_mov_b32_e32 v28, s12
	ds_read_b128 v[202:205], v28 offset:1776
	ds_read_b128 v[206:209], v28 offset:1792
	;; [unrolled: 1-line block ×4, first 2 shown]
	scratch_load_dwordx4 v[218:221], off, s15
	s_add_i32 s15, s14, 0x300
	s_addk_i32 s12, 0x80
	s_waitcnt vmcnt(0) lgkmcnt(3)
	v_mul_f64 v[10:11], v[204:205], v[220:221]
	v_mul_f64 v[12:13], v[202:203], v[220:221]
	v_fma_f64 v[10:11], v[202:203], v[218:219], -v[10:11]
	v_fmac_f64_e32 v[12:13], v[204:205], v[218:219]
	v_add_f64 v[10:11], v[2:3], v[10:11]
	v_add_f64 v[12:13], v[4:5], v[12:13]
	scratch_load_dwordx4 v[2:5], off, s15
	s_add_i32 s15, s14, 0x310
	s_waitcnt vmcnt(0) lgkmcnt(2)
	v_mul_f64 v[22:23], v[208:209], v[4:5]
	v_mul_f64 v[4:5], v[206:207], v[4:5]
	v_fmac_f64_e32 v[4:5], v[208:209], v[2:3]
	v_fma_f64 v[22:23], v[206:207], v[2:3], -v[22:23]
	v_add_f64 v[12:13], v[12:13], v[4:5]
	scratch_load_dwordx4 v[2:5], off, s15
	v_add_f64 v[10:11], v[10:11], v[22:23]
	s_add_i32 s15, s14, 0x320
	s_waitcnt vmcnt(0) lgkmcnt(1)
	v_mul_f64 v[22:23], v[212:213], v[4:5]
	v_mul_f64 v[4:5], v[210:211], v[4:5]
	v_fmac_f64_e32 v[4:5], v[212:213], v[2:3]
	v_fma_f64 v[22:23], v[210:211], v[2:3], -v[22:23]
	v_add_f64 v[12:13], v[12:13], v[4:5]
	scratch_load_dwordx4 v[2:5], off, s15
	s_add_i32 s15, s14, 0x330
	scratch_load_dwordx4 v[202:205], off, s15
	v_add_f64 v[10:11], v[10:11], v[22:23]
	s_add_i32 s15, s14, 0x340
	s_waitcnt vmcnt(1) lgkmcnt(0)
	v_mul_f64 v[22:23], v[216:217], v[4:5]
	v_mul_f64 v[4:5], v[214:215], v[4:5]
	v_fmac_f64_e32 v[4:5], v[216:217], v[2:3]
	v_fma_f64 v[22:23], v[214:215], v[2:3], -v[22:23]
	v_add_f64 v[12:13], v[12:13], v[4:5]
	ds_read_b128 v[2:5], v28 offset:1840
	v_add_f64 v[10:11], v[10:11], v[22:23]
	s_waitcnt vmcnt(0) lgkmcnt(0)
	v_mul_f64 v[22:23], v[4:5], v[204:205]
	v_fma_f64 v[22:23], v[2:3], v[202:203], -v[22:23]
	v_mul_f64 v[2:3], v[2:3], v[204:205]
	v_fmac_f64_e32 v[2:3], v[4:5], v[202:203]
	scratch_load_dwordx4 v[202:205], off, s15
	v_add_f64 v[12:13], v[12:13], v[2:3]
	ds_read_b128 v[2:5], v28 offset:1856
	v_add_f64 v[10:11], v[10:11], v[22:23]
	s_add_i32 s15, s14, 0x350
	s_addk_i32 s14, 0x360
	s_waitcnt vmcnt(0) lgkmcnt(0)
	v_mul_f64 v[22:23], v[4:5], v[204:205]
	v_fma_f64 v[22:23], v[2:3], v[202:203], -v[22:23]
	v_mul_f64 v[2:3], v[2:3], v[204:205]
	v_fmac_f64_e32 v[2:3], v[4:5], v[202:203]
	scratch_load_dwordx4 v[202:205], off, s15
	v_add_f64 v[12:13], v[12:13], v[2:3]
	ds_read_b128 v[2:5], v28 offset:1872
	v_add_f64 v[10:11], v[10:11], v[22:23]
	s_waitcnt vmcnt(0) lgkmcnt(0)
	v_mul_f64 v[22:23], v[4:5], v[204:205]
	v_fma_f64 v[22:23], v[2:3], v[202:203], -v[22:23]
	v_mul_f64 v[2:3], v[2:3], v[204:205]
	v_fmac_f64_e32 v[2:3], v[4:5], v[202:203]
	scratch_load_dwordx4 v[202:205], off, s14
	v_add_f64 v[12:13], v[12:13], v[2:3]
	ds_read_b128 v[2:5], v28 offset:1888
	v_add_f64 v[10:11], v[10:11], v[22:23]
	s_add_i32 s14, s13, 8
	v_cmp_eq_u32_e32 vcc, s14, v7
	s_add_i32 s13, s13, 55
	s_or_b64 s[10:11], vcc, s[10:11]
	s_waitcnt vmcnt(0) lgkmcnt(0)
	v_mul_f64 v[22:23], v[4:5], v[204:205]
	v_mul_f64 v[28:29], v[2:3], v[204:205]
	v_fma_f64 v[22:23], v[2:3], v[202:203], -v[22:23]
	v_fmac_f64_e32 v[28:29], v[4:5], v[202:203]
	v_add_f64 v[2:3], v[10:11], v[22:23]
	v_add_f64 v[4:5], v[12:13], v[28:29]
	v_mov_b32_e32 v202, s13
	s_mov_b32 s13, s14
	s_andn2_b64 exec, exec, s[10:11]
	s_cbranch_execnz .LBB63_221
; %bb.222:
	s_or_b64 exec, exec, s[10:11]
.LBB63_223:
	s_or_b64 exec, exec, s[2:3]
	v_and_b32_e32 v6, 7, v6
	v_cmp_ne_u32_e32 vcc, 0, v6
	s_and_saveexec_b64 s[2:3], vcc
	s_cbranch_execz .LBB63_227
; %bb.224:
	v_lshlrev_b32_e32 v10, 4, v202
	v_add_u32_e32 v7, 0x400, v10
	v_add_u32_e32 v201, 0, v10
	s_mov_b64 s[10:11], 0
.LBB63_225:                             ; =>This Inner Loop Header: Depth=1
	scratch_load_dwordx4 v[202:205], v201, off
	ds_read_b128 v[206:209], v7
	v_add_u32_e32 v6, -1, v6
	v_cmp_eq_u32_e32 vcc, 0, v6
	v_add_u32_e32 v7, 16, v7
	v_add_u32_e32 v201, 16, v201
	s_or_b64 s[10:11], vcc, s[10:11]
	s_waitcnt vmcnt(0) lgkmcnt(0)
	v_mul_f64 v[10:11], v[208:209], v[204:205]
	v_mul_f64 v[12:13], v[206:207], v[204:205]
	v_fma_f64 v[10:11], v[206:207], v[202:203], -v[10:11]
	v_fmac_f64_e32 v[12:13], v[208:209], v[202:203]
	v_add_f64 v[2:3], v[2:3], v[10:11]
	v_add_f64 v[4:5], v[4:5], v[12:13]
	s_andn2_b64 exec, exec, s[10:11]
	s_cbranch_execnz .LBB63_225
; %bb.226:
	s_or_b64 exec, exec, s[10:11]
.LBB63_227:
	s_or_b64 exec, exec, s[2:3]
.LBB63_228:
	s_or_b64 exec, exec, s[8:9]
	v_mov_b32_e32 v6, 0
	ds_read_b128 v[202:205], v6 offset:736
	s_waitcnt lgkmcnt(0)
	v_mul_f64 v[6:7], v[4:5], v[204:205]
	v_mul_f64 v[206:207], v[2:3], v[204:205]
	v_fma_f64 v[204:205], v[2:3], v[202:203], -v[6:7]
	v_fmac_f64_e32 v[206:207], v[4:5], v[202:203]
	scratch_store_dwordx4 off, v[204:207], off offset:736
.LBB63_229:
	s_or_b64 exec, exec, s[4:5]
	scratch_load_dwordx4 v[2:5], v156, off
	v_cmp_lt_u32_e64 s[2:3], 45, v0
	s_waitcnt vmcnt(0)
	ds_write_b128 v9, v[2:5]
	s_waitcnt lgkmcnt(0)
	; wave barrier
	s_waitcnt lgkmcnt(0)
	s_and_saveexec_b64 s[4:5], s[2:3]
	s_cbranch_execz .LBB63_243
; %bb.230:
	ds_read_b128 v[2:5], v9
	s_andn2_b64 vcc, exec, s[6:7]
	s_cbranch_vccnz .LBB63_232
; %bb.231:
	scratch_load_dwordx4 v[202:205], v8, off
	s_waitcnt vmcnt(0) lgkmcnt(0)
	v_mul_f64 v[10:11], v[2:3], v[204:205]
	v_mul_f64 v[6:7], v[4:5], v[204:205]
	v_fmac_f64_e32 v[10:11], v[4:5], v[202:203]
	v_fma_f64 v[2:3], v[2:3], v[202:203], -v[6:7]
	v_mov_b64_e32 v[4:5], v[10:11]
.LBB63_232:
	s_and_saveexec_b64 s[8:9], s[0:1]
	s_cbranch_execz .LBB63_242
; %bb.233:
	v_subrev_u32_e32 v7, 47, v0
	v_subrev_u32_e32 v6, 46, v0
	v_cmp_lt_u32_e32 vcc, 6, v7
	v_mov_b32_e32 v202, 46
	s_and_saveexec_b64 s[0:1], vcc
	s_cbranch_execz .LBB63_237
; %bb.234:
	v_and_b32_e32 v7, -8, v6
	s_mov_b32 s12, 0
	s_mov_b64 s[10:11], 0
	v_mov_b32_e32 v201, 0
	s_mov_b32 s13, 0
.LBB63_235:                             ; =>This Inner Loop Header: Depth=1
	v_readfirstlane_b32 s14, v201
	s_add_i32 s14, s14, s12
	s_add_i32 s15, s14, 0x2e0
	v_mov_b32_e32 v28, s12
	ds_read_b128 v[202:205], v28 offset:1760
	ds_read_b128 v[206:209], v28 offset:1776
	;; [unrolled: 1-line block ×4, first 2 shown]
	scratch_load_dwordx4 v[218:221], off, s15
	s_add_i32 s15, s14, 0x2f0
	s_addk_i32 s12, 0x80
	s_waitcnt vmcnt(0) lgkmcnt(3)
	v_mul_f64 v[10:11], v[204:205], v[220:221]
	v_mul_f64 v[12:13], v[202:203], v[220:221]
	v_fma_f64 v[10:11], v[202:203], v[218:219], -v[10:11]
	v_fmac_f64_e32 v[12:13], v[204:205], v[218:219]
	v_add_f64 v[10:11], v[2:3], v[10:11]
	v_add_f64 v[12:13], v[4:5], v[12:13]
	scratch_load_dwordx4 v[2:5], off, s15
	s_add_i32 s15, s14, 0x300
	s_waitcnt vmcnt(0) lgkmcnt(2)
	v_mul_f64 v[22:23], v[208:209], v[4:5]
	v_mul_f64 v[4:5], v[206:207], v[4:5]
	v_fmac_f64_e32 v[4:5], v[208:209], v[2:3]
	v_fma_f64 v[22:23], v[206:207], v[2:3], -v[22:23]
	v_add_f64 v[12:13], v[12:13], v[4:5]
	scratch_load_dwordx4 v[2:5], off, s15
	v_add_f64 v[10:11], v[10:11], v[22:23]
	s_add_i32 s15, s14, 0x310
	s_waitcnt vmcnt(0) lgkmcnt(1)
	v_mul_f64 v[22:23], v[212:213], v[4:5]
	v_mul_f64 v[4:5], v[210:211], v[4:5]
	v_fmac_f64_e32 v[4:5], v[212:213], v[2:3]
	v_fma_f64 v[22:23], v[210:211], v[2:3], -v[22:23]
	v_add_f64 v[12:13], v[12:13], v[4:5]
	scratch_load_dwordx4 v[2:5], off, s15
	s_add_i32 s15, s14, 0x320
	scratch_load_dwordx4 v[202:205], off, s15
	v_add_f64 v[10:11], v[10:11], v[22:23]
	s_add_i32 s15, s14, 0x330
	s_waitcnt vmcnt(1) lgkmcnt(0)
	v_mul_f64 v[22:23], v[216:217], v[4:5]
	v_mul_f64 v[4:5], v[214:215], v[4:5]
	v_fmac_f64_e32 v[4:5], v[216:217], v[2:3]
	v_fma_f64 v[22:23], v[214:215], v[2:3], -v[22:23]
	v_add_f64 v[12:13], v[12:13], v[4:5]
	ds_read_b128 v[2:5], v28 offset:1824
	v_add_f64 v[10:11], v[10:11], v[22:23]
	s_waitcnt vmcnt(0) lgkmcnt(0)
	v_mul_f64 v[22:23], v[4:5], v[204:205]
	v_fma_f64 v[22:23], v[2:3], v[202:203], -v[22:23]
	v_mul_f64 v[2:3], v[2:3], v[204:205]
	v_fmac_f64_e32 v[2:3], v[4:5], v[202:203]
	scratch_load_dwordx4 v[202:205], off, s15
	v_add_f64 v[12:13], v[12:13], v[2:3]
	ds_read_b128 v[2:5], v28 offset:1840
	v_add_f64 v[10:11], v[10:11], v[22:23]
	s_add_i32 s15, s14, 0x340
	s_addk_i32 s14, 0x350
	s_waitcnt vmcnt(0) lgkmcnt(0)
	v_mul_f64 v[22:23], v[4:5], v[204:205]
	v_fma_f64 v[22:23], v[2:3], v[202:203], -v[22:23]
	v_mul_f64 v[2:3], v[2:3], v[204:205]
	v_fmac_f64_e32 v[2:3], v[4:5], v[202:203]
	scratch_load_dwordx4 v[202:205], off, s15
	v_add_f64 v[12:13], v[12:13], v[2:3]
	ds_read_b128 v[2:5], v28 offset:1856
	v_add_f64 v[10:11], v[10:11], v[22:23]
	s_waitcnt vmcnt(0) lgkmcnt(0)
	v_mul_f64 v[22:23], v[4:5], v[204:205]
	v_fma_f64 v[22:23], v[2:3], v[202:203], -v[22:23]
	v_mul_f64 v[2:3], v[2:3], v[204:205]
	v_fmac_f64_e32 v[2:3], v[4:5], v[202:203]
	scratch_load_dwordx4 v[202:205], off, s14
	v_add_f64 v[12:13], v[12:13], v[2:3]
	ds_read_b128 v[2:5], v28 offset:1872
	v_add_f64 v[10:11], v[10:11], v[22:23]
	s_add_i32 s14, s13, 8
	v_cmp_eq_u32_e32 vcc, s14, v7
	s_add_i32 s13, s13, 54
	s_or_b64 s[10:11], vcc, s[10:11]
	s_waitcnt vmcnt(0) lgkmcnt(0)
	v_mul_f64 v[22:23], v[4:5], v[204:205]
	v_mul_f64 v[28:29], v[2:3], v[204:205]
	v_fma_f64 v[22:23], v[2:3], v[202:203], -v[22:23]
	v_fmac_f64_e32 v[28:29], v[4:5], v[202:203]
	v_add_f64 v[2:3], v[10:11], v[22:23]
	v_add_f64 v[4:5], v[12:13], v[28:29]
	v_mov_b32_e32 v202, s13
	s_mov_b32 s13, s14
	s_andn2_b64 exec, exec, s[10:11]
	s_cbranch_execnz .LBB63_235
; %bb.236:
	s_or_b64 exec, exec, s[10:11]
.LBB63_237:
	s_or_b64 exec, exec, s[0:1]
	v_and_b32_e32 v6, 7, v6
	v_cmp_ne_u32_e32 vcc, 0, v6
	s_and_saveexec_b64 s[0:1], vcc
	s_cbranch_execz .LBB63_241
; %bb.238:
	v_lshlrev_b32_e32 v10, 4, v202
	v_add_u32_e32 v7, 0x400, v10
	v_add_u32_e32 v201, 0, v10
	s_mov_b64 s[10:11], 0
.LBB63_239:                             ; =>This Inner Loop Header: Depth=1
	scratch_load_dwordx4 v[202:205], v201, off
	ds_read_b128 v[206:209], v7
	v_add_u32_e32 v6, -1, v6
	v_cmp_eq_u32_e32 vcc, 0, v6
	v_add_u32_e32 v7, 16, v7
	v_add_u32_e32 v201, 16, v201
	s_or_b64 s[10:11], vcc, s[10:11]
	s_waitcnt vmcnt(0) lgkmcnt(0)
	v_mul_f64 v[10:11], v[208:209], v[204:205]
	v_mul_f64 v[12:13], v[206:207], v[204:205]
	v_fma_f64 v[10:11], v[206:207], v[202:203], -v[10:11]
	v_fmac_f64_e32 v[12:13], v[208:209], v[202:203]
	v_add_f64 v[2:3], v[2:3], v[10:11]
	v_add_f64 v[4:5], v[4:5], v[12:13]
	s_andn2_b64 exec, exec, s[10:11]
	s_cbranch_execnz .LBB63_239
; %bb.240:
	s_or_b64 exec, exec, s[10:11]
.LBB63_241:
	s_or_b64 exec, exec, s[0:1]
.LBB63_242:
	s_or_b64 exec, exec, s[8:9]
	v_mov_b32_e32 v6, 0
	ds_read_b128 v[202:205], v6 offset:720
	s_waitcnt lgkmcnt(0)
	v_mul_f64 v[6:7], v[4:5], v[204:205]
	v_mul_f64 v[206:207], v[2:3], v[204:205]
	v_fma_f64 v[204:205], v[2:3], v[202:203], -v[6:7]
	v_fmac_f64_e32 v[206:207], v[4:5], v[202:203]
	scratch_store_dwordx4 off, v[204:207], off offset:720
.LBB63_243:
	s_or_b64 exec, exec, s[4:5]
	scratch_load_dwordx4 v[2:5], v157, off
	v_cmp_lt_u32_e64 s[0:1], 44, v0
	s_waitcnt vmcnt(0)
	ds_write_b128 v9, v[2:5]
	s_waitcnt lgkmcnt(0)
	; wave barrier
	s_waitcnt lgkmcnt(0)
	s_and_saveexec_b64 s[4:5], s[0:1]
	s_cbranch_execz .LBB63_257
; %bb.244:
	ds_read_b128 v[2:5], v9
	s_andn2_b64 vcc, exec, s[6:7]
	s_cbranch_vccnz .LBB63_246
; %bb.245:
	scratch_load_dwordx4 v[202:205], v8, off
	s_waitcnt vmcnt(0) lgkmcnt(0)
	v_mul_f64 v[10:11], v[2:3], v[204:205]
	v_mul_f64 v[6:7], v[4:5], v[204:205]
	v_fmac_f64_e32 v[10:11], v[4:5], v[202:203]
	v_fma_f64 v[2:3], v[2:3], v[202:203], -v[6:7]
	v_mov_b64_e32 v[4:5], v[10:11]
.LBB63_246:
	s_and_saveexec_b64 s[8:9], s[2:3]
	s_cbranch_execz .LBB63_256
; %bb.247:
	v_subrev_u32_e32 v7, 46, v0
	v_subrev_u32_e32 v6, 45, v0
	v_cmp_lt_u32_e32 vcc, 6, v7
	v_mov_b32_e32 v202, 45
	s_and_saveexec_b64 s[2:3], vcc
	s_cbranch_execz .LBB63_251
; %bb.248:
	v_and_b32_e32 v7, -8, v6
	s_mov_b32 s12, 0
	s_mov_b64 s[10:11], 0
	v_mov_b32_e32 v201, 0
	s_mov_b32 s13, 0
.LBB63_249:                             ; =>This Inner Loop Header: Depth=1
	v_readfirstlane_b32 s14, v201
	s_add_i32 s14, s14, s12
	s_add_i32 s15, s14, 0x2d0
	v_mov_b32_e32 v28, s12
	ds_read_b128 v[202:205], v28 offset:1744
	ds_read_b128 v[206:209], v28 offset:1760
	;; [unrolled: 1-line block ×4, first 2 shown]
	scratch_load_dwordx4 v[218:221], off, s15
	s_add_i32 s15, s14, 0x2e0
	s_addk_i32 s12, 0x80
	s_waitcnt vmcnt(0) lgkmcnt(3)
	v_mul_f64 v[10:11], v[204:205], v[220:221]
	v_mul_f64 v[12:13], v[202:203], v[220:221]
	v_fma_f64 v[10:11], v[202:203], v[218:219], -v[10:11]
	v_fmac_f64_e32 v[12:13], v[204:205], v[218:219]
	v_add_f64 v[10:11], v[2:3], v[10:11]
	v_add_f64 v[12:13], v[4:5], v[12:13]
	scratch_load_dwordx4 v[2:5], off, s15
	s_add_i32 s15, s14, 0x2f0
	s_waitcnt vmcnt(0) lgkmcnt(2)
	v_mul_f64 v[22:23], v[208:209], v[4:5]
	v_mul_f64 v[4:5], v[206:207], v[4:5]
	v_fmac_f64_e32 v[4:5], v[208:209], v[2:3]
	v_fma_f64 v[22:23], v[206:207], v[2:3], -v[22:23]
	v_add_f64 v[12:13], v[12:13], v[4:5]
	scratch_load_dwordx4 v[2:5], off, s15
	v_add_f64 v[10:11], v[10:11], v[22:23]
	s_add_i32 s15, s14, 0x300
	s_waitcnt vmcnt(0) lgkmcnt(1)
	v_mul_f64 v[22:23], v[212:213], v[4:5]
	v_mul_f64 v[4:5], v[210:211], v[4:5]
	v_fmac_f64_e32 v[4:5], v[212:213], v[2:3]
	v_fma_f64 v[22:23], v[210:211], v[2:3], -v[22:23]
	v_add_f64 v[12:13], v[12:13], v[4:5]
	scratch_load_dwordx4 v[2:5], off, s15
	s_add_i32 s15, s14, 0x310
	scratch_load_dwordx4 v[202:205], off, s15
	v_add_f64 v[10:11], v[10:11], v[22:23]
	s_add_i32 s15, s14, 0x320
	s_waitcnt vmcnt(1) lgkmcnt(0)
	v_mul_f64 v[22:23], v[216:217], v[4:5]
	v_mul_f64 v[4:5], v[214:215], v[4:5]
	v_fmac_f64_e32 v[4:5], v[216:217], v[2:3]
	v_fma_f64 v[22:23], v[214:215], v[2:3], -v[22:23]
	v_add_f64 v[12:13], v[12:13], v[4:5]
	ds_read_b128 v[2:5], v28 offset:1808
	v_add_f64 v[10:11], v[10:11], v[22:23]
	s_waitcnt vmcnt(0) lgkmcnt(0)
	v_mul_f64 v[22:23], v[4:5], v[204:205]
	v_fma_f64 v[22:23], v[2:3], v[202:203], -v[22:23]
	v_mul_f64 v[2:3], v[2:3], v[204:205]
	v_fmac_f64_e32 v[2:3], v[4:5], v[202:203]
	scratch_load_dwordx4 v[202:205], off, s15
	v_add_f64 v[12:13], v[12:13], v[2:3]
	ds_read_b128 v[2:5], v28 offset:1824
	v_add_f64 v[10:11], v[10:11], v[22:23]
	s_add_i32 s15, s14, 0x330
	s_addk_i32 s14, 0x340
	s_waitcnt vmcnt(0) lgkmcnt(0)
	v_mul_f64 v[22:23], v[4:5], v[204:205]
	v_fma_f64 v[22:23], v[2:3], v[202:203], -v[22:23]
	v_mul_f64 v[2:3], v[2:3], v[204:205]
	v_fmac_f64_e32 v[2:3], v[4:5], v[202:203]
	scratch_load_dwordx4 v[202:205], off, s15
	v_add_f64 v[12:13], v[12:13], v[2:3]
	ds_read_b128 v[2:5], v28 offset:1840
	v_add_f64 v[10:11], v[10:11], v[22:23]
	s_waitcnt vmcnt(0) lgkmcnt(0)
	v_mul_f64 v[22:23], v[4:5], v[204:205]
	v_fma_f64 v[22:23], v[2:3], v[202:203], -v[22:23]
	v_mul_f64 v[2:3], v[2:3], v[204:205]
	v_fmac_f64_e32 v[2:3], v[4:5], v[202:203]
	scratch_load_dwordx4 v[202:205], off, s14
	v_add_f64 v[12:13], v[12:13], v[2:3]
	ds_read_b128 v[2:5], v28 offset:1856
	v_add_f64 v[10:11], v[10:11], v[22:23]
	s_add_i32 s14, s13, 8
	v_cmp_eq_u32_e32 vcc, s14, v7
	s_add_i32 s13, s13, 53
	s_or_b64 s[10:11], vcc, s[10:11]
	s_waitcnt vmcnt(0) lgkmcnt(0)
	v_mul_f64 v[22:23], v[4:5], v[204:205]
	v_mul_f64 v[28:29], v[2:3], v[204:205]
	v_fma_f64 v[22:23], v[2:3], v[202:203], -v[22:23]
	v_fmac_f64_e32 v[28:29], v[4:5], v[202:203]
	v_add_f64 v[2:3], v[10:11], v[22:23]
	v_add_f64 v[4:5], v[12:13], v[28:29]
	v_mov_b32_e32 v202, s13
	s_mov_b32 s13, s14
	s_andn2_b64 exec, exec, s[10:11]
	s_cbranch_execnz .LBB63_249
; %bb.250:
	s_or_b64 exec, exec, s[10:11]
.LBB63_251:
	s_or_b64 exec, exec, s[2:3]
	v_and_b32_e32 v6, 7, v6
	v_cmp_ne_u32_e32 vcc, 0, v6
	s_and_saveexec_b64 s[2:3], vcc
	s_cbranch_execz .LBB63_255
; %bb.252:
	v_lshlrev_b32_e32 v10, 4, v202
	v_add_u32_e32 v7, 0x400, v10
	v_add_u32_e32 v201, 0, v10
	s_mov_b64 s[10:11], 0
.LBB63_253:                             ; =>This Inner Loop Header: Depth=1
	scratch_load_dwordx4 v[202:205], v201, off
	ds_read_b128 v[206:209], v7
	v_add_u32_e32 v6, -1, v6
	v_cmp_eq_u32_e32 vcc, 0, v6
	v_add_u32_e32 v7, 16, v7
	v_add_u32_e32 v201, 16, v201
	s_or_b64 s[10:11], vcc, s[10:11]
	s_waitcnt vmcnt(0) lgkmcnt(0)
	v_mul_f64 v[10:11], v[208:209], v[204:205]
	v_mul_f64 v[12:13], v[206:207], v[204:205]
	v_fma_f64 v[10:11], v[206:207], v[202:203], -v[10:11]
	v_fmac_f64_e32 v[12:13], v[208:209], v[202:203]
	v_add_f64 v[2:3], v[2:3], v[10:11]
	v_add_f64 v[4:5], v[4:5], v[12:13]
	s_andn2_b64 exec, exec, s[10:11]
	s_cbranch_execnz .LBB63_253
; %bb.254:
	s_or_b64 exec, exec, s[10:11]
.LBB63_255:
	s_or_b64 exec, exec, s[2:3]
.LBB63_256:
	s_or_b64 exec, exec, s[8:9]
	v_mov_b32_e32 v6, 0
	ds_read_b128 v[202:205], v6 offset:704
	s_waitcnt lgkmcnt(0)
	v_mul_f64 v[6:7], v[4:5], v[204:205]
	v_mul_f64 v[206:207], v[2:3], v[204:205]
	v_fma_f64 v[204:205], v[2:3], v[202:203], -v[6:7]
	v_fmac_f64_e32 v[206:207], v[4:5], v[202:203]
	scratch_store_dwordx4 off, v[204:207], off offset:704
.LBB63_257:
	s_or_b64 exec, exec, s[4:5]
	scratch_load_dwordx4 v[2:5], v158, off
	v_cmp_lt_u32_e64 s[2:3], 43, v0
	s_waitcnt vmcnt(0)
	ds_write_b128 v9, v[2:5]
	s_waitcnt lgkmcnt(0)
	; wave barrier
	s_waitcnt lgkmcnt(0)
	s_and_saveexec_b64 s[4:5], s[2:3]
	s_cbranch_execz .LBB63_271
; %bb.258:
	ds_read_b128 v[2:5], v9
	s_andn2_b64 vcc, exec, s[6:7]
	s_cbranch_vccnz .LBB63_260
; %bb.259:
	scratch_load_dwordx4 v[202:205], v8, off
	s_waitcnt vmcnt(0) lgkmcnt(0)
	v_mul_f64 v[10:11], v[2:3], v[204:205]
	v_mul_f64 v[6:7], v[4:5], v[204:205]
	v_fmac_f64_e32 v[10:11], v[4:5], v[202:203]
	v_fma_f64 v[2:3], v[2:3], v[202:203], -v[6:7]
	v_mov_b64_e32 v[4:5], v[10:11]
.LBB63_260:
	s_and_saveexec_b64 s[8:9], s[0:1]
	s_cbranch_execz .LBB63_270
; %bb.261:
	v_subrev_u32_e32 v7, 45, v0
	v_subrev_u32_e32 v6, 44, v0
	v_cmp_lt_u32_e32 vcc, 6, v7
	v_mov_b32_e32 v202, 44
	s_and_saveexec_b64 s[0:1], vcc
	s_cbranch_execz .LBB63_265
; %bb.262:
	v_and_b32_e32 v7, -8, v6
	s_mov_b32 s12, 0
	s_mov_b64 s[10:11], 0
	v_mov_b32_e32 v201, 0
	s_mov_b32 s13, 0
.LBB63_263:                             ; =>This Inner Loop Header: Depth=1
	v_readfirstlane_b32 s14, v201
	s_add_i32 s14, s14, s12
	s_add_i32 s15, s14, 0x2c0
	v_mov_b32_e32 v28, s12
	ds_read_b128 v[202:205], v28 offset:1728
	ds_read_b128 v[206:209], v28 offset:1744
	;; [unrolled: 1-line block ×4, first 2 shown]
	scratch_load_dwordx4 v[218:221], off, s15
	s_add_i32 s15, s14, 0x2d0
	s_addk_i32 s12, 0x80
	s_waitcnt vmcnt(0) lgkmcnt(3)
	v_mul_f64 v[10:11], v[204:205], v[220:221]
	v_mul_f64 v[12:13], v[202:203], v[220:221]
	v_fma_f64 v[10:11], v[202:203], v[218:219], -v[10:11]
	v_fmac_f64_e32 v[12:13], v[204:205], v[218:219]
	v_add_f64 v[10:11], v[2:3], v[10:11]
	v_add_f64 v[12:13], v[4:5], v[12:13]
	scratch_load_dwordx4 v[2:5], off, s15
	s_add_i32 s15, s14, 0x2e0
	s_waitcnt vmcnt(0) lgkmcnt(2)
	v_mul_f64 v[22:23], v[208:209], v[4:5]
	v_mul_f64 v[4:5], v[206:207], v[4:5]
	v_fmac_f64_e32 v[4:5], v[208:209], v[2:3]
	v_fma_f64 v[22:23], v[206:207], v[2:3], -v[22:23]
	v_add_f64 v[12:13], v[12:13], v[4:5]
	scratch_load_dwordx4 v[2:5], off, s15
	v_add_f64 v[10:11], v[10:11], v[22:23]
	s_add_i32 s15, s14, 0x2f0
	s_waitcnt vmcnt(0) lgkmcnt(1)
	v_mul_f64 v[22:23], v[212:213], v[4:5]
	v_mul_f64 v[4:5], v[210:211], v[4:5]
	v_fmac_f64_e32 v[4:5], v[212:213], v[2:3]
	v_fma_f64 v[22:23], v[210:211], v[2:3], -v[22:23]
	v_add_f64 v[12:13], v[12:13], v[4:5]
	scratch_load_dwordx4 v[2:5], off, s15
	s_add_i32 s15, s14, 0x300
	scratch_load_dwordx4 v[202:205], off, s15
	v_add_f64 v[10:11], v[10:11], v[22:23]
	s_add_i32 s15, s14, 0x310
	s_waitcnt vmcnt(1) lgkmcnt(0)
	v_mul_f64 v[22:23], v[216:217], v[4:5]
	v_mul_f64 v[4:5], v[214:215], v[4:5]
	v_fmac_f64_e32 v[4:5], v[216:217], v[2:3]
	v_fma_f64 v[22:23], v[214:215], v[2:3], -v[22:23]
	v_add_f64 v[12:13], v[12:13], v[4:5]
	ds_read_b128 v[2:5], v28 offset:1792
	v_add_f64 v[10:11], v[10:11], v[22:23]
	s_waitcnt vmcnt(0) lgkmcnt(0)
	v_mul_f64 v[22:23], v[4:5], v[204:205]
	v_fma_f64 v[22:23], v[2:3], v[202:203], -v[22:23]
	v_mul_f64 v[2:3], v[2:3], v[204:205]
	v_fmac_f64_e32 v[2:3], v[4:5], v[202:203]
	scratch_load_dwordx4 v[202:205], off, s15
	v_add_f64 v[12:13], v[12:13], v[2:3]
	ds_read_b128 v[2:5], v28 offset:1808
	v_add_f64 v[10:11], v[10:11], v[22:23]
	s_add_i32 s15, s14, 0x320
	s_addk_i32 s14, 0x330
	s_waitcnt vmcnt(0) lgkmcnt(0)
	v_mul_f64 v[22:23], v[4:5], v[204:205]
	v_fma_f64 v[22:23], v[2:3], v[202:203], -v[22:23]
	v_mul_f64 v[2:3], v[2:3], v[204:205]
	v_fmac_f64_e32 v[2:3], v[4:5], v[202:203]
	scratch_load_dwordx4 v[202:205], off, s15
	v_add_f64 v[12:13], v[12:13], v[2:3]
	ds_read_b128 v[2:5], v28 offset:1824
	v_add_f64 v[10:11], v[10:11], v[22:23]
	s_waitcnt vmcnt(0) lgkmcnt(0)
	v_mul_f64 v[22:23], v[4:5], v[204:205]
	v_fma_f64 v[22:23], v[2:3], v[202:203], -v[22:23]
	v_mul_f64 v[2:3], v[2:3], v[204:205]
	v_fmac_f64_e32 v[2:3], v[4:5], v[202:203]
	scratch_load_dwordx4 v[202:205], off, s14
	v_add_f64 v[12:13], v[12:13], v[2:3]
	ds_read_b128 v[2:5], v28 offset:1840
	v_add_f64 v[10:11], v[10:11], v[22:23]
	s_add_i32 s14, s13, 8
	v_cmp_eq_u32_e32 vcc, s14, v7
	s_add_i32 s13, s13, 52
	s_or_b64 s[10:11], vcc, s[10:11]
	s_waitcnt vmcnt(0) lgkmcnt(0)
	v_mul_f64 v[22:23], v[4:5], v[204:205]
	v_mul_f64 v[28:29], v[2:3], v[204:205]
	v_fma_f64 v[22:23], v[2:3], v[202:203], -v[22:23]
	v_fmac_f64_e32 v[28:29], v[4:5], v[202:203]
	v_add_f64 v[2:3], v[10:11], v[22:23]
	v_add_f64 v[4:5], v[12:13], v[28:29]
	v_mov_b32_e32 v202, s13
	s_mov_b32 s13, s14
	s_andn2_b64 exec, exec, s[10:11]
	s_cbranch_execnz .LBB63_263
; %bb.264:
	s_or_b64 exec, exec, s[10:11]
.LBB63_265:
	s_or_b64 exec, exec, s[0:1]
	v_and_b32_e32 v6, 7, v6
	v_cmp_ne_u32_e32 vcc, 0, v6
	s_and_saveexec_b64 s[0:1], vcc
	s_cbranch_execz .LBB63_269
; %bb.266:
	v_lshlrev_b32_e32 v10, 4, v202
	v_add_u32_e32 v7, 0x400, v10
	v_add_u32_e32 v201, 0, v10
	s_mov_b64 s[10:11], 0
.LBB63_267:                             ; =>This Inner Loop Header: Depth=1
	scratch_load_dwordx4 v[202:205], v201, off
	ds_read_b128 v[206:209], v7
	v_add_u32_e32 v6, -1, v6
	v_cmp_eq_u32_e32 vcc, 0, v6
	v_add_u32_e32 v7, 16, v7
	v_add_u32_e32 v201, 16, v201
	s_or_b64 s[10:11], vcc, s[10:11]
	s_waitcnt vmcnt(0) lgkmcnt(0)
	v_mul_f64 v[10:11], v[208:209], v[204:205]
	v_mul_f64 v[12:13], v[206:207], v[204:205]
	v_fma_f64 v[10:11], v[206:207], v[202:203], -v[10:11]
	v_fmac_f64_e32 v[12:13], v[208:209], v[202:203]
	v_add_f64 v[2:3], v[2:3], v[10:11]
	v_add_f64 v[4:5], v[4:5], v[12:13]
	s_andn2_b64 exec, exec, s[10:11]
	s_cbranch_execnz .LBB63_267
; %bb.268:
	s_or_b64 exec, exec, s[10:11]
.LBB63_269:
	s_or_b64 exec, exec, s[0:1]
.LBB63_270:
	s_or_b64 exec, exec, s[8:9]
	v_mov_b32_e32 v6, 0
	ds_read_b128 v[202:205], v6 offset:688
	s_waitcnt lgkmcnt(0)
	v_mul_f64 v[6:7], v[4:5], v[204:205]
	v_mul_f64 v[206:207], v[2:3], v[204:205]
	v_fma_f64 v[204:205], v[2:3], v[202:203], -v[6:7]
	v_fmac_f64_e32 v[206:207], v[4:5], v[202:203]
	scratch_store_dwordx4 off, v[204:207], off offset:688
.LBB63_271:
	s_or_b64 exec, exec, s[4:5]
	scratch_load_dwordx4 v[2:5], v159, off
	v_cmp_lt_u32_e64 s[0:1], 42, v0
	s_waitcnt vmcnt(0)
	ds_write_b128 v9, v[2:5]
	s_waitcnt lgkmcnt(0)
	; wave barrier
	s_waitcnt lgkmcnt(0)
	s_and_saveexec_b64 s[4:5], s[0:1]
	s_cbranch_execz .LBB63_285
; %bb.272:
	ds_read_b128 v[2:5], v9
	s_andn2_b64 vcc, exec, s[6:7]
	s_cbranch_vccnz .LBB63_274
; %bb.273:
	scratch_load_dwordx4 v[202:205], v8, off
	s_waitcnt vmcnt(0) lgkmcnt(0)
	v_mul_f64 v[10:11], v[2:3], v[204:205]
	v_mul_f64 v[6:7], v[4:5], v[204:205]
	v_fmac_f64_e32 v[10:11], v[4:5], v[202:203]
	v_fma_f64 v[2:3], v[2:3], v[202:203], -v[6:7]
	v_mov_b64_e32 v[4:5], v[10:11]
.LBB63_274:
	s_and_saveexec_b64 s[8:9], s[2:3]
	s_cbranch_execz .LBB63_284
; %bb.275:
	v_subrev_u32_e32 v7, 44, v0
	v_subrev_u32_e32 v6, 43, v0
	v_cmp_lt_u32_e32 vcc, 6, v7
	v_mov_b32_e32 v202, 43
	s_and_saveexec_b64 s[2:3], vcc
	s_cbranch_execz .LBB63_279
; %bb.276:
	v_and_b32_e32 v7, -8, v6
	s_mov_b32 s12, 0
	s_mov_b64 s[10:11], 0
	v_mov_b32_e32 v201, 0
	s_mov_b32 s13, 0
.LBB63_277:                             ; =>This Inner Loop Header: Depth=1
	v_readfirstlane_b32 s14, v201
	s_add_i32 s14, s14, s12
	s_add_i32 s15, s14, 0x2b0
	v_mov_b32_e32 v28, s12
	ds_read_b128 v[202:205], v28 offset:1712
	ds_read_b128 v[206:209], v28 offset:1728
	;; [unrolled: 1-line block ×4, first 2 shown]
	scratch_load_dwordx4 v[218:221], off, s15
	s_add_i32 s15, s14, 0x2c0
	s_addk_i32 s12, 0x80
	s_waitcnt vmcnt(0) lgkmcnt(3)
	v_mul_f64 v[10:11], v[204:205], v[220:221]
	v_mul_f64 v[12:13], v[202:203], v[220:221]
	v_fma_f64 v[10:11], v[202:203], v[218:219], -v[10:11]
	v_fmac_f64_e32 v[12:13], v[204:205], v[218:219]
	v_add_f64 v[10:11], v[2:3], v[10:11]
	v_add_f64 v[12:13], v[4:5], v[12:13]
	scratch_load_dwordx4 v[2:5], off, s15
	s_add_i32 s15, s14, 0x2d0
	s_waitcnt vmcnt(0) lgkmcnt(2)
	v_mul_f64 v[22:23], v[208:209], v[4:5]
	v_mul_f64 v[4:5], v[206:207], v[4:5]
	v_fmac_f64_e32 v[4:5], v[208:209], v[2:3]
	v_fma_f64 v[22:23], v[206:207], v[2:3], -v[22:23]
	v_add_f64 v[12:13], v[12:13], v[4:5]
	scratch_load_dwordx4 v[2:5], off, s15
	v_add_f64 v[10:11], v[10:11], v[22:23]
	s_add_i32 s15, s14, 0x2e0
	s_waitcnt vmcnt(0) lgkmcnt(1)
	v_mul_f64 v[22:23], v[212:213], v[4:5]
	v_mul_f64 v[4:5], v[210:211], v[4:5]
	v_fmac_f64_e32 v[4:5], v[212:213], v[2:3]
	v_fma_f64 v[22:23], v[210:211], v[2:3], -v[22:23]
	v_add_f64 v[12:13], v[12:13], v[4:5]
	scratch_load_dwordx4 v[2:5], off, s15
	s_add_i32 s15, s14, 0x2f0
	scratch_load_dwordx4 v[202:205], off, s15
	v_add_f64 v[10:11], v[10:11], v[22:23]
	s_add_i32 s15, s14, 0x300
	s_waitcnt vmcnt(1) lgkmcnt(0)
	v_mul_f64 v[22:23], v[216:217], v[4:5]
	v_mul_f64 v[4:5], v[214:215], v[4:5]
	v_fmac_f64_e32 v[4:5], v[216:217], v[2:3]
	v_fma_f64 v[22:23], v[214:215], v[2:3], -v[22:23]
	v_add_f64 v[12:13], v[12:13], v[4:5]
	ds_read_b128 v[2:5], v28 offset:1776
	v_add_f64 v[10:11], v[10:11], v[22:23]
	s_waitcnt vmcnt(0) lgkmcnt(0)
	v_mul_f64 v[22:23], v[4:5], v[204:205]
	v_fma_f64 v[22:23], v[2:3], v[202:203], -v[22:23]
	v_mul_f64 v[2:3], v[2:3], v[204:205]
	v_fmac_f64_e32 v[2:3], v[4:5], v[202:203]
	scratch_load_dwordx4 v[202:205], off, s15
	v_add_f64 v[12:13], v[12:13], v[2:3]
	ds_read_b128 v[2:5], v28 offset:1792
	v_add_f64 v[10:11], v[10:11], v[22:23]
	s_add_i32 s15, s14, 0x310
	s_addk_i32 s14, 0x320
	s_waitcnt vmcnt(0) lgkmcnt(0)
	v_mul_f64 v[22:23], v[4:5], v[204:205]
	v_fma_f64 v[22:23], v[2:3], v[202:203], -v[22:23]
	v_mul_f64 v[2:3], v[2:3], v[204:205]
	v_fmac_f64_e32 v[2:3], v[4:5], v[202:203]
	scratch_load_dwordx4 v[202:205], off, s15
	v_add_f64 v[12:13], v[12:13], v[2:3]
	ds_read_b128 v[2:5], v28 offset:1808
	v_add_f64 v[10:11], v[10:11], v[22:23]
	s_waitcnt vmcnt(0) lgkmcnt(0)
	v_mul_f64 v[22:23], v[4:5], v[204:205]
	v_fma_f64 v[22:23], v[2:3], v[202:203], -v[22:23]
	v_mul_f64 v[2:3], v[2:3], v[204:205]
	v_fmac_f64_e32 v[2:3], v[4:5], v[202:203]
	scratch_load_dwordx4 v[202:205], off, s14
	v_add_f64 v[12:13], v[12:13], v[2:3]
	ds_read_b128 v[2:5], v28 offset:1824
	v_add_f64 v[10:11], v[10:11], v[22:23]
	s_add_i32 s14, s13, 8
	v_cmp_eq_u32_e32 vcc, s14, v7
	s_add_i32 s13, s13, 51
	s_or_b64 s[10:11], vcc, s[10:11]
	s_waitcnt vmcnt(0) lgkmcnt(0)
	v_mul_f64 v[22:23], v[4:5], v[204:205]
	v_mul_f64 v[28:29], v[2:3], v[204:205]
	v_fma_f64 v[22:23], v[2:3], v[202:203], -v[22:23]
	v_fmac_f64_e32 v[28:29], v[4:5], v[202:203]
	v_add_f64 v[2:3], v[10:11], v[22:23]
	v_add_f64 v[4:5], v[12:13], v[28:29]
	v_mov_b32_e32 v202, s13
	s_mov_b32 s13, s14
	s_andn2_b64 exec, exec, s[10:11]
	s_cbranch_execnz .LBB63_277
; %bb.278:
	s_or_b64 exec, exec, s[10:11]
.LBB63_279:
	s_or_b64 exec, exec, s[2:3]
	v_and_b32_e32 v6, 7, v6
	v_cmp_ne_u32_e32 vcc, 0, v6
	s_and_saveexec_b64 s[2:3], vcc
	s_cbranch_execz .LBB63_283
; %bb.280:
	v_lshlrev_b32_e32 v10, 4, v202
	v_add_u32_e32 v7, 0x400, v10
	v_add_u32_e32 v201, 0, v10
	s_mov_b64 s[10:11], 0
.LBB63_281:                             ; =>This Inner Loop Header: Depth=1
	scratch_load_dwordx4 v[202:205], v201, off
	ds_read_b128 v[206:209], v7
	v_add_u32_e32 v6, -1, v6
	v_cmp_eq_u32_e32 vcc, 0, v6
	v_add_u32_e32 v7, 16, v7
	v_add_u32_e32 v201, 16, v201
	s_or_b64 s[10:11], vcc, s[10:11]
	s_waitcnt vmcnt(0) lgkmcnt(0)
	v_mul_f64 v[10:11], v[208:209], v[204:205]
	v_mul_f64 v[12:13], v[206:207], v[204:205]
	v_fma_f64 v[10:11], v[206:207], v[202:203], -v[10:11]
	v_fmac_f64_e32 v[12:13], v[208:209], v[202:203]
	v_add_f64 v[2:3], v[2:3], v[10:11]
	v_add_f64 v[4:5], v[4:5], v[12:13]
	s_andn2_b64 exec, exec, s[10:11]
	s_cbranch_execnz .LBB63_281
; %bb.282:
	s_or_b64 exec, exec, s[10:11]
.LBB63_283:
	s_or_b64 exec, exec, s[2:3]
.LBB63_284:
	s_or_b64 exec, exec, s[8:9]
	v_mov_b32_e32 v6, 0
	ds_read_b128 v[202:205], v6 offset:672
	s_waitcnt lgkmcnt(0)
	v_mul_f64 v[6:7], v[4:5], v[204:205]
	v_mul_f64 v[206:207], v[2:3], v[204:205]
	v_fma_f64 v[204:205], v[2:3], v[202:203], -v[6:7]
	v_fmac_f64_e32 v[206:207], v[4:5], v[202:203]
	scratch_store_dwordx4 off, v[204:207], off offset:672
.LBB63_285:
	s_or_b64 exec, exec, s[4:5]
	scratch_load_dwordx4 v[2:5], v160, off
	v_cmp_lt_u32_e64 s[2:3], 41, v0
	s_waitcnt vmcnt(0)
	ds_write_b128 v9, v[2:5]
	s_waitcnt lgkmcnt(0)
	; wave barrier
	s_waitcnt lgkmcnt(0)
	s_and_saveexec_b64 s[4:5], s[2:3]
	s_cbranch_execz .LBB63_299
; %bb.286:
	ds_read_b128 v[2:5], v9
	s_andn2_b64 vcc, exec, s[6:7]
	s_cbranch_vccnz .LBB63_288
; %bb.287:
	scratch_load_dwordx4 v[202:205], v8, off
	s_waitcnt vmcnt(0) lgkmcnt(0)
	v_mul_f64 v[10:11], v[2:3], v[204:205]
	v_mul_f64 v[6:7], v[4:5], v[204:205]
	v_fmac_f64_e32 v[10:11], v[4:5], v[202:203]
	v_fma_f64 v[2:3], v[2:3], v[202:203], -v[6:7]
	v_mov_b64_e32 v[4:5], v[10:11]
.LBB63_288:
	s_and_saveexec_b64 s[8:9], s[0:1]
	s_cbranch_execz .LBB63_298
; %bb.289:
	v_subrev_u32_e32 v7, 43, v0
	v_subrev_u32_e32 v6, 42, v0
	v_cmp_lt_u32_e32 vcc, 6, v7
	v_mov_b32_e32 v202, 42
	s_and_saveexec_b64 s[0:1], vcc
	s_cbranch_execz .LBB63_293
; %bb.290:
	v_and_b32_e32 v7, -8, v6
	s_mov_b32 s12, 0
	s_mov_b64 s[10:11], 0
	v_mov_b32_e32 v201, 0
	s_mov_b32 s13, 0
.LBB63_291:                             ; =>This Inner Loop Header: Depth=1
	v_readfirstlane_b32 s14, v201
	s_add_i32 s14, s14, s12
	s_add_i32 s15, s14, 0x2a0
	v_mov_b32_e32 v28, s12
	ds_read_b128 v[202:205], v28 offset:1696
	ds_read_b128 v[206:209], v28 offset:1712
	;; [unrolled: 1-line block ×4, first 2 shown]
	scratch_load_dwordx4 v[218:221], off, s15
	s_add_i32 s15, s14, 0x2b0
	s_addk_i32 s12, 0x80
	s_waitcnt vmcnt(0) lgkmcnt(3)
	v_mul_f64 v[10:11], v[204:205], v[220:221]
	v_mul_f64 v[12:13], v[202:203], v[220:221]
	v_fma_f64 v[10:11], v[202:203], v[218:219], -v[10:11]
	v_fmac_f64_e32 v[12:13], v[204:205], v[218:219]
	v_add_f64 v[10:11], v[2:3], v[10:11]
	v_add_f64 v[12:13], v[4:5], v[12:13]
	scratch_load_dwordx4 v[2:5], off, s15
	s_add_i32 s15, s14, 0x2c0
	s_waitcnt vmcnt(0) lgkmcnt(2)
	v_mul_f64 v[22:23], v[208:209], v[4:5]
	v_mul_f64 v[4:5], v[206:207], v[4:5]
	v_fmac_f64_e32 v[4:5], v[208:209], v[2:3]
	v_fma_f64 v[22:23], v[206:207], v[2:3], -v[22:23]
	v_add_f64 v[12:13], v[12:13], v[4:5]
	scratch_load_dwordx4 v[2:5], off, s15
	v_add_f64 v[10:11], v[10:11], v[22:23]
	s_add_i32 s15, s14, 0x2d0
	s_waitcnt vmcnt(0) lgkmcnt(1)
	v_mul_f64 v[22:23], v[212:213], v[4:5]
	v_mul_f64 v[4:5], v[210:211], v[4:5]
	v_fmac_f64_e32 v[4:5], v[212:213], v[2:3]
	v_fma_f64 v[22:23], v[210:211], v[2:3], -v[22:23]
	v_add_f64 v[12:13], v[12:13], v[4:5]
	scratch_load_dwordx4 v[2:5], off, s15
	s_add_i32 s15, s14, 0x2e0
	scratch_load_dwordx4 v[202:205], off, s15
	v_add_f64 v[10:11], v[10:11], v[22:23]
	s_add_i32 s15, s14, 0x2f0
	s_waitcnt vmcnt(1) lgkmcnt(0)
	v_mul_f64 v[22:23], v[216:217], v[4:5]
	v_mul_f64 v[4:5], v[214:215], v[4:5]
	v_fmac_f64_e32 v[4:5], v[216:217], v[2:3]
	v_fma_f64 v[22:23], v[214:215], v[2:3], -v[22:23]
	v_add_f64 v[12:13], v[12:13], v[4:5]
	ds_read_b128 v[2:5], v28 offset:1760
	v_add_f64 v[10:11], v[10:11], v[22:23]
	s_waitcnt vmcnt(0) lgkmcnt(0)
	v_mul_f64 v[22:23], v[4:5], v[204:205]
	v_fma_f64 v[22:23], v[2:3], v[202:203], -v[22:23]
	v_mul_f64 v[2:3], v[2:3], v[204:205]
	v_fmac_f64_e32 v[2:3], v[4:5], v[202:203]
	scratch_load_dwordx4 v[202:205], off, s15
	v_add_f64 v[12:13], v[12:13], v[2:3]
	ds_read_b128 v[2:5], v28 offset:1776
	v_add_f64 v[10:11], v[10:11], v[22:23]
	s_add_i32 s15, s14, 0x300
	s_addk_i32 s14, 0x310
	s_waitcnt vmcnt(0) lgkmcnt(0)
	v_mul_f64 v[22:23], v[4:5], v[204:205]
	v_fma_f64 v[22:23], v[2:3], v[202:203], -v[22:23]
	v_mul_f64 v[2:3], v[2:3], v[204:205]
	v_fmac_f64_e32 v[2:3], v[4:5], v[202:203]
	scratch_load_dwordx4 v[202:205], off, s15
	v_add_f64 v[12:13], v[12:13], v[2:3]
	ds_read_b128 v[2:5], v28 offset:1792
	v_add_f64 v[10:11], v[10:11], v[22:23]
	s_waitcnt vmcnt(0) lgkmcnt(0)
	v_mul_f64 v[22:23], v[4:5], v[204:205]
	v_fma_f64 v[22:23], v[2:3], v[202:203], -v[22:23]
	v_mul_f64 v[2:3], v[2:3], v[204:205]
	v_fmac_f64_e32 v[2:3], v[4:5], v[202:203]
	scratch_load_dwordx4 v[202:205], off, s14
	v_add_f64 v[12:13], v[12:13], v[2:3]
	ds_read_b128 v[2:5], v28 offset:1808
	v_add_f64 v[10:11], v[10:11], v[22:23]
	s_add_i32 s14, s13, 8
	v_cmp_eq_u32_e32 vcc, s14, v7
	s_add_i32 s13, s13, 50
	s_or_b64 s[10:11], vcc, s[10:11]
	s_waitcnt vmcnt(0) lgkmcnt(0)
	v_mul_f64 v[22:23], v[4:5], v[204:205]
	v_mul_f64 v[28:29], v[2:3], v[204:205]
	v_fma_f64 v[22:23], v[2:3], v[202:203], -v[22:23]
	v_fmac_f64_e32 v[28:29], v[4:5], v[202:203]
	v_add_f64 v[2:3], v[10:11], v[22:23]
	v_add_f64 v[4:5], v[12:13], v[28:29]
	v_mov_b32_e32 v202, s13
	s_mov_b32 s13, s14
	s_andn2_b64 exec, exec, s[10:11]
	s_cbranch_execnz .LBB63_291
; %bb.292:
	s_or_b64 exec, exec, s[10:11]
.LBB63_293:
	s_or_b64 exec, exec, s[0:1]
	v_and_b32_e32 v6, 7, v6
	v_cmp_ne_u32_e32 vcc, 0, v6
	s_and_saveexec_b64 s[0:1], vcc
	s_cbranch_execz .LBB63_297
; %bb.294:
	v_lshlrev_b32_e32 v10, 4, v202
	v_add_u32_e32 v7, 0x400, v10
	v_add_u32_e32 v201, 0, v10
	s_mov_b64 s[10:11], 0
.LBB63_295:                             ; =>This Inner Loop Header: Depth=1
	scratch_load_dwordx4 v[202:205], v201, off
	ds_read_b128 v[206:209], v7
	v_add_u32_e32 v6, -1, v6
	v_cmp_eq_u32_e32 vcc, 0, v6
	v_add_u32_e32 v7, 16, v7
	v_add_u32_e32 v201, 16, v201
	s_or_b64 s[10:11], vcc, s[10:11]
	s_waitcnt vmcnt(0) lgkmcnt(0)
	v_mul_f64 v[10:11], v[208:209], v[204:205]
	v_mul_f64 v[12:13], v[206:207], v[204:205]
	v_fma_f64 v[10:11], v[206:207], v[202:203], -v[10:11]
	v_fmac_f64_e32 v[12:13], v[208:209], v[202:203]
	v_add_f64 v[2:3], v[2:3], v[10:11]
	v_add_f64 v[4:5], v[4:5], v[12:13]
	s_andn2_b64 exec, exec, s[10:11]
	s_cbranch_execnz .LBB63_295
; %bb.296:
	s_or_b64 exec, exec, s[10:11]
.LBB63_297:
	s_or_b64 exec, exec, s[0:1]
.LBB63_298:
	s_or_b64 exec, exec, s[8:9]
	v_mov_b32_e32 v6, 0
	ds_read_b128 v[202:205], v6 offset:656
	s_waitcnt lgkmcnt(0)
	v_mul_f64 v[6:7], v[4:5], v[204:205]
	v_mul_f64 v[206:207], v[2:3], v[204:205]
	v_fma_f64 v[204:205], v[2:3], v[202:203], -v[6:7]
	v_fmac_f64_e32 v[206:207], v[4:5], v[202:203]
	scratch_store_dwordx4 off, v[204:207], off offset:656
.LBB63_299:
	s_or_b64 exec, exec, s[4:5]
	scratch_load_dwordx4 v[2:5], v161, off
	v_cmp_lt_u32_e64 s[0:1], 40, v0
	s_waitcnt vmcnt(0)
	ds_write_b128 v9, v[2:5]
	s_waitcnt lgkmcnt(0)
	; wave barrier
	s_waitcnt lgkmcnt(0)
	s_and_saveexec_b64 s[4:5], s[0:1]
	s_cbranch_execz .LBB63_313
; %bb.300:
	ds_read_b128 v[2:5], v9
	s_andn2_b64 vcc, exec, s[6:7]
	s_cbranch_vccnz .LBB63_302
; %bb.301:
	scratch_load_dwordx4 v[202:205], v8, off
	s_waitcnt vmcnt(0) lgkmcnt(0)
	v_mul_f64 v[10:11], v[2:3], v[204:205]
	v_mul_f64 v[6:7], v[4:5], v[204:205]
	v_fmac_f64_e32 v[10:11], v[4:5], v[202:203]
	v_fma_f64 v[2:3], v[2:3], v[202:203], -v[6:7]
	v_mov_b64_e32 v[4:5], v[10:11]
.LBB63_302:
	s_and_saveexec_b64 s[8:9], s[2:3]
	s_cbranch_execz .LBB63_312
; %bb.303:
	v_subrev_u32_e32 v7, 42, v0
	v_subrev_u32_e32 v6, 41, v0
	v_cmp_lt_u32_e32 vcc, 6, v7
	v_mov_b32_e32 v202, 41
	s_and_saveexec_b64 s[2:3], vcc
	s_cbranch_execz .LBB63_307
; %bb.304:
	v_and_b32_e32 v7, -8, v6
	s_mov_b32 s12, 0
	s_mov_b64 s[10:11], 0
	v_mov_b32_e32 v201, 0
	s_mov_b32 s13, 0
.LBB63_305:                             ; =>This Inner Loop Header: Depth=1
	v_readfirstlane_b32 s14, v201
	s_add_i32 s14, s14, s12
	s_add_i32 s15, s14, 0x290
	v_mov_b32_e32 v28, s12
	ds_read_b128 v[202:205], v28 offset:1680
	ds_read_b128 v[206:209], v28 offset:1696
	;; [unrolled: 1-line block ×4, first 2 shown]
	scratch_load_dwordx4 v[218:221], off, s15
	s_add_i32 s15, s14, 0x2a0
	s_addk_i32 s12, 0x80
	s_waitcnt vmcnt(0) lgkmcnt(3)
	v_mul_f64 v[10:11], v[204:205], v[220:221]
	v_mul_f64 v[12:13], v[202:203], v[220:221]
	v_fma_f64 v[10:11], v[202:203], v[218:219], -v[10:11]
	v_fmac_f64_e32 v[12:13], v[204:205], v[218:219]
	v_add_f64 v[10:11], v[2:3], v[10:11]
	v_add_f64 v[12:13], v[4:5], v[12:13]
	scratch_load_dwordx4 v[2:5], off, s15
	s_add_i32 s15, s14, 0x2b0
	s_waitcnt vmcnt(0) lgkmcnt(2)
	v_mul_f64 v[22:23], v[208:209], v[4:5]
	v_mul_f64 v[4:5], v[206:207], v[4:5]
	v_fmac_f64_e32 v[4:5], v[208:209], v[2:3]
	v_fma_f64 v[22:23], v[206:207], v[2:3], -v[22:23]
	v_add_f64 v[12:13], v[12:13], v[4:5]
	scratch_load_dwordx4 v[2:5], off, s15
	v_add_f64 v[10:11], v[10:11], v[22:23]
	s_add_i32 s15, s14, 0x2c0
	s_waitcnt vmcnt(0) lgkmcnt(1)
	v_mul_f64 v[22:23], v[212:213], v[4:5]
	v_mul_f64 v[4:5], v[210:211], v[4:5]
	v_fmac_f64_e32 v[4:5], v[212:213], v[2:3]
	v_fma_f64 v[22:23], v[210:211], v[2:3], -v[22:23]
	v_add_f64 v[12:13], v[12:13], v[4:5]
	scratch_load_dwordx4 v[2:5], off, s15
	s_add_i32 s15, s14, 0x2d0
	scratch_load_dwordx4 v[202:205], off, s15
	v_add_f64 v[10:11], v[10:11], v[22:23]
	s_add_i32 s15, s14, 0x2e0
	s_waitcnt vmcnt(1) lgkmcnt(0)
	v_mul_f64 v[22:23], v[216:217], v[4:5]
	v_mul_f64 v[4:5], v[214:215], v[4:5]
	v_fmac_f64_e32 v[4:5], v[216:217], v[2:3]
	v_fma_f64 v[22:23], v[214:215], v[2:3], -v[22:23]
	v_add_f64 v[12:13], v[12:13], v[4:5]
	ds_read_b128 v[2:5], v28 offset:1744
	v_add_f64 v[10:11], v[10:11], v[22:23]
	s_waitcnt vmcnt(0) lgkmcnt(0)
	v_mul_f64 v[22:23], v[4:5], v[204:205]
	v_fma_f64 v[22:23], v[2:3], v[202:203], -v[22:23]
	v_mul_f64 v[2:3], v[2:3], v[204:205]
	v_fmac_f64_e32 v[2:3], v[4:5], v[202:203]
	scratch_load_dwordx4 v[202:205], off, s15
	v_add_f64 v[12:13], v[12:13], v[2:3]
	ds_read_b128 v[2:5], v28 offset:1760
	v_add_f64 v[10:11], v[10:11], v[22:23]
	s_add_i32 s15, s14, 0x2f0
	s_addk_i32 s14, 0x300
	s_waitcnt vmcnt(0) lgkmcnt(0)
	v_mul_f64 v[22:23], v[4:5], v[204:205]
	v_fma_f64 v[22:23], v[2:3], v[202:203], -v[22:23]
	v_mul_f64 v[2:3], v[2:3], v[204:205]
	v_fmac_f64_e32 v[2:3], v[4:5], v[202:203]
	scratch_load_dwordx4 v[202:205], off, s15
	v_add_f64 v[12:13], v[12:13], v[2:3]
	ds_read_b128 v[2:5], v28 offset:1776
	v_add_f64 v[10:11], v[10:11], v[22:23]
	s_waitcnt vmcnt(0) lgkmcnt(0)
	v_mul_f64 v[22:23], v[4:5], v[204:205]
	v_fma_f64 v[22:23], v[2:3], v[202:203], -v[22:23]
	v_mul_f64 v[2:3], v[2:3], v[204:205]
	v_fmac_f64_e32 v[2:3], v[4:5], v[202:203]
	scratch_load_dwordx4 v[202:205], off, s14
	v_add_f64 v[12:13], v[12:13], v[2:3]
	ds_read_b128 v[2:5], v28 offset:1792
	v_add_f64 v[10:11], v[10:11], v[22:23]
	s_add_i32 s14, s13, 8
	v_cmp_eq_u32_e32 vcc, s14, v7
	s_add_i32 s13, s13, 49
	s_or_b64 s[10:11], vcc, s[10:11]
	s_waitcnt vmcnt(0) lgkmcnt(0)
	v_mul_f64 v[22:23], v[4:5], v[204:205]
	v_mul_f64 v[28:29], v[2:3], v[204:205]
	v_fma_f64 v[22:23], v[2:3], v[202:203], -v[22:23]
	v_fmac_f64_e32 v[28:29], v[4:5], v[202:203]
	v_add_f64 v[2:3], v[10:11], v[22:23]
	v_add_f64 v[4:5], v[12:13], v[28:29]
	v_mov_b32_e32 v202, s13
	s_mov_b32 s13, s14
	s_andn2_b64 exec, exec, s[10:11]
	s_cbranch_execnz .LBB63_305
; %bb.306:
	s_or_b64 exec, exec, s[10:11]
.LBB63_307:
	s_or_b64 exec, exec, s[2:3]
	v_and_b32_e32 v6, 7, v6
	v_cmp_ne_u32_e32 vcc, 0, v6
	s_and_saveexec_b64 s[2:3], vcc
	s_cbranch_execz .LBB63_311
; %bb.308:
	v_lshlrev_b32_e32 v10, 4, v202
	v_add_u32_e32 v7, 0x400, v10
	v_add_u32_e32 v201, 0, v10
	s_mov_b64 s[10:11], 0
.LBB63_309:                             ; =>This Inner Loop Header: Depth=1
	scratch_load_dwordx4 v[202:205], v201, off
	ds_read_b128 v[206:209], v7
	v_add_u32_e32 v6, -1, v6
	v_cmp_eq_u32_e32 vcc, 0, v6
	v_add_u32_e32 v7, 16, v7
	v_add_u32_e32 v201, 16, v201
	s_or_b64 s[10:11], vcc, s[10:11]
	s_waitcnt vmcnt(0) lgkmcnt(0)
	v_mul_f64 v[10:11], v[208:209], v[204:205]
	v_mul_f64 v[12:13], v[206:207], v[204:205]
	v_fma_f64 v[10:11], v[206:207], v[202:203], -v[10:11]
	v_fmac_f64_e32 v[12:13], v[208:209], v[202:203]
	v_add_f64 v[2:3], v[2:3], v[10:11]
	v_add_f64 v[4:5], v[4:5], v[12:13]
	s_andn2_b64 exec, exec, s[10:11]
	s_cbranch_execnz .LBB63_309
; %bb.310:
	s_or_b64 exec, exec, s[10:11]
.LBB63_311:
	s_or_b64 exec, exec, s[2:3]
.LBB63_312:
	s_or_b64 exec, exec, s[8:9]
	v_mov_b32_e32 v6, 0
	ds_read_b128 v[202:205], v6 offset:640
	s_waitcnt lgkmcnt(0)
	v_mul_f64 v[6:7], v[4:5], v[204:205]
	v_mul_f64 v[206:207], v[2:3], v[204:205]
	v_fma_f64 v[204:205], v[2:3], v[202:203], -v[6:7]
	v_fmac_f64_e32 v[206:207], v[4:5], v[202:203]
	scratch_store_dwordx4 off, v[204:207], off offset:640
.LBB63_313:
	s_or_b64 exec, exec, s[4:5]
	scratch_load_dwordx4 v[2:5], v162, off
	v_cmp_lt_u32_e64 s[2:3], 39, v0
	s_waitcnt vmcnt(0)
	ds_write_b128 v9, v[2:5]
	s_waitcnt lgkmcnt(0)
	; wave barrier
	s_waitcnt lgkmcnt(0)
	s_and_saveexec_b64 s[4:5], s[2:3]
	s_cbranch_execz .LBB63_327
; %bb.314:
	ds_read_b128 v[2:5], v9
	s_andn2_b64 vcc, exec, s[6:7]
	s_cbranch_vccnz .LBB63_316
; %bb.315:
	scratch_load_dwordx4 v[202:205], v8, off
	s_waitcnt vmcnt(0) lgkmcnt(0)
	v_mul_f64 v[10:11], v[2:3], v[204:205]
	v_mul_f64 v[6:7], v[4:5], v[204:205]
	v_fmac_f64_e32 v[10:11], v[4:5], v[202:203]
	v_fma_f64 v[2:3], v[2:3], v[202:203], -v[6:7]
	v_mov_b64_e32 v[4:5], v[10:11]
.LBB63_316:
	s_and_saveexec_b64 s[8:9], s[0:1]
	s_cbranch_execz .LBB63_326
; %bb.317:
	v_subrev_u32_e32 v6, 41, v0
	v_cmp_lt_u32_e32 vcc, 6, v6
	v_mov_b32_e32 v6, 40
	s_and_saveexec_b64 s[0:1], vcc
	s_cbranch_execz .LBB63_321
; %bb.318:
	v_and_b32_e32 v6, 56, v0
	s_mov_b32 s12, 40
	s_mov_b32 s13, 0
	s_mov_b64 s[10:11], 0
	v_mov_b32_e32 v7, 0
.LBB63_319:                             ; =>This Inner Loop Header: Depth=1
	s_nop 0
	v_readfirstlane_b32 s14, v7
	s_add_i32 s14, s14, s13
	s_add_i32 s15, s14, 0x280
	v_mov_b32_e32 v28, s13
	ds_read_b128 v[202:205], v28 offset:1664
	ds_read_b128 v[206:209], v28 offset:1680
	;; [unrolled: 1-line block ×4, first 2 shown]
	scratch_load_dwordx4 v[218:221], off, s15
	s_add_i32 s15, s14, 0x290
	s_add_i32 s12, s12, 8
	s_addk_i32 s13, 0x80
	v_cmp_eq_u32_e32 vcc, s12, v6
	s_waitcnt vmcnt(0) lgkmcnt(3)
	v_mul_f64 v[10:11], v[204:205], v[220:221]
	v_mul_f64 v[12:13], v[202:203], v[220:221]
	v_fma_f64 v[10:11], v[202:203], v[218:219], -v[10:11]
	v_fmac_f64_e32 v[12:13], v[204:205], v[218:219]
	v_add_f64 v[10:11], v[2:3], v[10:11]
	v_add_f64 v[12:13], v[4:5], v[12:13]
	scratch_load_dwordx4 v[2:5], off, s15
	s_add_i32 s15, s14, 0x2a0
	s_waitcnt vmcnt(0) lgkmcnt(2)
	v_mul_f64 v[22:23], v[208:209], v[4:5]
	v_mul_f64 v[4:5], v[206:207], v[4:5]
	v_fmac_f64_e32 v[4:5], v[208:209], v[2:3]
	v_fma_f64 v[22:23], v[206:207], v[2:3], -v[22:23]
	v_add_f64 v[12:13], v[12:13], v[4:5]
	scratch_load_dwordx4 v[2:5], off, s15
	v_add_f64 v[10:11], v[10:11], v[22:23]
	s_add_i32 s15, s14, 0x2b0
	s_waitcnt vmcnt(0) lgkmcnt(1)
	v_mul_f64 v[22:23], v[212:213], v[4:5]
	v_mul_f64 v[4:5], v[210:211], v[4:5]
	v_fmac_f64_e32 v[4:5], v[212:213], v[2:3]
	v_fma_f64 v[22:23], v[210:211], v[2:3], -v[22:23]
	v_add_f64 v[12:13], v[12:13], v[4:5]
	scratch_load_dwordx4 v[2:5], off, s15
	s_add_i32 s15, s14, 0x2c0
	scratch_load_dwordx4 v[202:205], off, s15
	v_add_f64 v[10:11], v[10:11], v[22:23]
	s_add_i32 s15, s14, 0x2d0
	s_waitcnt vmcnt(1) lgkmcnt(0)
	v_mul_f64 v[22:23], v[216:217], v[4:5]
	v_mul_f64 v[4:5], v[214:215], v[4:5]
	v_fmac_f64_e32 v[4:5], v[216:217], v[2:3]
	v_fma_f64 v[22:23], v[214:215], v[2:3], -v[22:23]
	v_add_f64 v[12:13], v[12:13], v[4:5]
	ds_read_b128 v[2:5], v28 offset:1728
	v_add_f64 v[10:11], v[10:11], v[22:23]
	s_waitcnt vmcnt(0) lgkmcnt(0)
	v_mul_f64 v[22:23], v[4:5], v[204:205]
	v_fma_f64 v[22:23], v[2:3], v[202:203], -v[22:23]
	v_mul_f64 v[2:3], v[2:3], v[204:205]
	v_fmac_f64_e32 v[2:3], v[4:5], v[202:203]
	scratch_load_dwordx4 v[202:205], off, s15
	v_add_f64 v[12:13], v[12:13], v[2:3]
	ds_read_b128 v[2:5], v28 offset:1744
	v_add_f64 v[10:11], v[10:11], v[22:23]
	s_add_i32 s15, s14, 0x2e0
	s_addk_i32 s14, 0x2f0
	s_or_b64 s[10:11], vcc, s[10:11]
	s_waitcnt vmcnt(0) lgkmcnt(0)
	v_mul_f64 v[22:23], v[4:5], v[204:205]
	v_fma_f64 v[22:23], v[2:3], v[202:203], -v[22:23]
	v_mul_f64 v[2:3], v[2:3], v[204:205]
	v_fmac_f64_e32 v[2:3], v[4:5], v[202:203]
	scratch_load_dwordx4 v[202:205], off, s15
	v_add_f64 v[12:13], v[12:13], v[2:3]
	ds_read_b128 v[2:5], v28 offset:1760
	v_add_f64 v[10:11], v[10:11], v[22:23]
	s_waitcnt vmcnt(0) lgkmcnt(0)
	v_mul_f64 v[22:23], v[4:5], v[204:205]
	v_fma_f64 v[22:23], v[2:3], v[202:203], -v[22:23]
	v_mul_f64 v[2:3], v[2:3], v[204:205]
	v_fmac_f64_e32 v[2:3], v[4:5], v[202:203]
	scratch_load_dwordx4 v[202:205], off, s14
	v_add_f64 v[12:13], v[12:13], v[2:3]
	ds_read_b128 v[2:5], v28 offset:1776
	v_add_f64 v[10:11], v[10:11], v[22:23]
	s_waitcnt vmcnt(0) lgkmcnt(0)
	v_mul_f64 v[22:23], v[4:5], v[204:205]
	v_mul_f64 v[28:29], v[2:3], v[204:205]
	v_fma_f64 v[22:23], v[2:3], v[202:203], -v[22:23]
	v_fmac_f64_e32 v[28:29], v[4:5], v[202:203]
	v_add_f64 v[2:3], v[10:11], v[22:23]
	v_add_f64 v[4:5], v[12:13], v[28:29]
	s_andn2_b64 exec, exec, s[10:11]
	s_cbranch_execnz .LBB63_319
; %bb.320:
	s_or_b64 exec, exec, s[10:11]
.LBB63_321:
	s_or_b64 exec, exec, s[0:1]
	v_and_b32_e32 v7, 7, v0
	v_cmp_ne_u32_e32 vcc, 0, v7
	s_and_saveexec_b64 s[0:1], vcc
	s_cbranch_execz .LBB63_325
; %bb.322:
	v_lshlrev_b32_e32 v10, 4, v6
	v_or_b32_e32 v6, 0x400, v10
	v_add_u32_e32 v201, 0, v10
	s_mov_b64 s[10:11], 0
.LBB63_323:                             ; =>This Inner Loop Header: Depth=1
	scratch_load_dwordx4 v[202:205], v201, off
	ds_read_b128 v[206:209], v6
	v_add_u32_e32 v7, -1, v7
	v_cmp_eq_u32_e32 vcc, 0, v7
	v_add_u32_e32 v6, 16, v6
	v_add_u32_e32 v201, 16, v201
	s_or_b64 s[10:11], vcc, s[10:11]
	s_waitcnt vmcnt(0) lgkmcnt(0)
	v_mul_f64 v[10:11], v[208:209], v[204:205]
	v_mul_f64 v[12:13], v[206:207], v[204:205]
	v_fma_f64 v[10:11], v[206:207], v[202:203], -v[10:11]
	v_fmac_f64_e32 v[12:13], v[208:209], v[202:203]
	v_add_f64 v[2:3], v[2:3], v[10:11]
	v_add_f64 v[4:5], v[4:5], v[12:13]
	s_andn2_b64 exec, exec, s[10:11]
	s_cbranch_execnz .LBB63_323
; %bb.324:
	s_or_b64 exec, exec, s[10:11]
.LBB63_325:
	s_or_b64 exec, exec, s[0:1]
.LBB63_326:
	s_or_b64 exec, exec, s[8:9]
	v_mov_b32_e32 v6, 0
	ds_read_b128 v[202:205], v6 offset:624
	s_waitcnt lgkmcnt(0)
	v_mul_f64 v[6:7], v[4:5], v[204:205]
	v_mul_f64 v[206:207], v[2:3], v[204:205]
	v_fma_f64 v[204:205], v[2:3], v[202:203], -v[6:7]
	v_fmac_f64_e32 v[206:207], v[4:5], v[202:203]
	scratch_store_dwordx4 off, v[204:207], off offset:624
.LBB63_327:
	s_or_b64 exec, exec, s[4:5]
	scratch_load_dwordx4 v[2:5], v163, off
	v_cmp_lt_u32_e64 s[0:1], 38, v0
	s_waitcnt vmcnt(0)
	ds_write_b128 v9, v[2:5]
	s_waitcnt lgkmcnt(0)
	; wave barrier
	s_waitcnt lgkmcnt(0)
	s_and_saveexec_b64 s[4:5], s[0:1]
	s_cbranch_execz .LBB63_341
; %bb.328:
	ds_read_b128 v[2:5], v9
	s_andn2_b64 vcc, exec, s[6:7]
	s_cbranch_vccnz .LBB63_330
; %bb.329:
	scratch_load_dwordx4 v[202:205], v8, off
	s_waitcnt vmcnt(0) lgkmcnt(0)
	v_mul_f64 v[10:11], v[2:3], v[204:205]
	v_mul_f64 v[6:7], v[4:5], v[204:205]
	v_fmac_f64_e32 v[10:11], v[4:5], v[202:203]
	v_fma_f64 v[2:3], v[2:3], v[202:203], -v[6:7]
	v_mov_b64_e32 v[4:5], v[10:11]
.LBB63_330:
	s_and_saveexec_b64 s[8:9], s[2:3]
	s_cbranch_execz .LBB63_340
; %bb.331:
	v_subrev_u32_e32 v7, 40, v0
	v_subrev_u32_e32 v6, 39, v0
	v_cmp_lt_u32_e32 vcc, 6, v7
	v_mov_b32_e32 v202, 39
	s_and_saveexec_b64 s[2:3], vcc
	s_cbranch_execz .LBB63_335
; %bb.332:
	v_and_b32_e32 v7, -8, v6
	s_mov_b32 s12, 0
	s_mov_b64 s[10:11], 0
	v_mov_b32_e32 v201, 0
	s_mov_b32 s13, 0
.LBB63_333:                             ; =>This Inner Loop Header: Depth=1
	v_readfirstlane_b32 s14, v201
	s_add_i32 s14, s14, s12
	s_add_i32 s15, s14, 0x270
	v_mov_b32_e32 v28, s12
	ds_read_b128 v[202:205], v28 offset:1648
	ds_read_b128 v[206:209], v28 offset:1664
	;; [unrolled: 1-line block ×4, first 2 shown]
	scratch_load_dwordx4 v[218:221], off, s15
	s_add_i32 s15, s14, 0x280
	s_addk_i32 s12, 0x80
	s_waitcnt vmcnt(0) lgkmcnt(3)
	v_mul_f64 v[10:11], v[204:205], v[220:221]
	v_mul_f64 v[12:13], v[202:203], v[220:221]
	v_fma_f64 v[10:11], v[202:203], v[218:219], -v[10:11]
	v_fmac_f64_e32 v[12:13], v[204:205], v[218:219]
	v_add_f64 v[10:11], v[2:3], v[10:11]
	v_add_f64 v[12:13], v[4:5], v[12:13]
	scratch_load_dwordx4 v[2:5], off, s15
	s_add_i32 s15, s14, 0x290
	s_waitcnt vmcnt(0) lgkmcnt(2)
	v_mul_f64 v[22:23], v[208:209], v[4:5]
	v_mul_f64 v[4:5], v[206:207], v[4:5]
	v_fmac_f64_e32 v[4:5], v[208:209], v[2:3]
	v_fma_f64 v[22:23], v[206:207], v[2:3], -v[22:23]
	v_add_f64 v[12:13], v[12:13], v[4:5]
	scratch_load_dwordx4 v[2:5], off, s15
	v_add_f64 v[10:11], v[10:11], v[22:23]
	s_add_i32 s15, s14, 0x2a0
	s_waitcnt vmcnt(0) lgkmcnt(1)
	v_mul_f64 v[22:23], v[212:213], v[4:5]
	v_mul_f64 v[4:5], v[210:211], v[4:5]
	v_fmac_f64_e32 v[4:5], v[212:213], v[2:3]
	v_fma_f64 v[22:23], v[210:211], v[2:3], -v[22:23]
	v_add_f64 v[12:13], v[12:13], v[4:5]
	scratch_load_dwordx4 v[2:5], off, s15
	s_add_i32 s15, s14, 0x2b0
	scratch_load_dwordx4 v[202:205], off, s15
	v_add_f64 v[10:11], v[10:11], v[22:23]
	s_add_i32 s15, s14, 0x2c0
	s_waitcnt vmcnt(1) lgkmcnt(0)
	v_mul_f64 v[22:23], v[216:217], v[4:5]
	v_mul_f64 v[4:5], v[214:215], v[4:5]
	v_fmac_f64_e32 v[4:5], v[216:217], v[2:3]
	v_fma_f64 v[22:23], v[214:215], v[2:3], -v[22:23]
	v_add_f64 v[12:13], v[12:13], v[4:5]
	ds_read_b128 v[2:5], v28 offset:1712
	v_add_f64 v[10:11], v[10:11], v[22:23]
	s_waitcnt vmcnt(0) lgkmcnt(0)
	v_mul_f64 v[22:23], v[4:5], v[204:205]
	v_fma_f64 v[22:23], v[2:3], v[202:203], -v[22:23]
	v_mul_f64 v[2:3], v[2:3], v[204:205]
	v_fmac_f64_e32 v[2:3], v[4:5], v[202:203]
	scratch_load_dwordx4 v[202:205], off, s15
	v_add_f64 v[12:13], v[12:13], v[2:3]
	ds_read_b128 v[2:5], v28 offset:1728
	v_add_f64 v[10:11], v[10:11], v[22:23]
	s_add_i32 s15, s14, 0x2d0
	s_addk_i32 s14, 0x2e0
	s_waitcnt vmcnt(0) lgkmcnt(0)
	v_mul_f64 v[22:23], v[4:5], v[204:205]
	v_fma_f64 v[22:23], v[2:3], v[202:203], -v[22:23]
	v_mul_f64 v[2:3], v[2:3], v[204:205]
	v_fmac_f64_e32 v[2:3], v[4:5], v[202:203]
	scratch_load_dwordx4 v[202:205], off, s15
	v_add_f64 v[12:13], v[12:13], v[2:3]
	ds_read_b128 v[2:5], v28 offset:1744
	v_add_f64 v[10:11], v[10:11], v[22:23]
	s_waitcnt vmcnt(0) lgkmcnt(0)
	v_mul_f64 v[22:23], v[4:5], v[204:205]
	v_fma_f64 v[22:23], v[2:3], v[202:203], -v[22:23]
	v_mul_f64 v[2:3], v[2:3], v[204:205]
	v_fmac_f64_e32 v[2:3], v[4:5], v[202:203]
	scratch_load_dwordx4 v[202:205], off, s14
	v_add_f64 v[12:13], v[12:13], v[2:3]
	ds_read_b128 v[2:5], v28 offset:1760
	v_add_f64 v[10:11], v[10:11], v[22:23]
	s_add_i32 s14, s13, 8
	v_cmp_eq_u32_e32 vcc, s14, v7
	s_add_i32 s13, s13, 47
	s_or_b64 s[10:11], vcc, s[10:11]
	s_waitcnt vmcnt(0) lgkmcnt(0)
	v_mul_f64 v[22:23], v[4:5], v[204:205]
	v_mul_f64 v[28:29], v[2:3], v[204:205]
	v_fma_f64 v[22:23], v[2:3], v[202:203], -v[22:23]
	v_fmac_f64_e32 v[28:29], v[4:5], v[202:203]
	v_add_f64 v[2:3], v[10:11], v[22:23]
	v_add_f64 v[4:5], v[12:13], v[28:29]
	v_mov_b32_e32 v202, s13
	s_mov_b32 s13, s14
	s_andn2_b64 exec, exec, s[10:11]
	s_cbranch_execnz .LBB63_333
; %bb.334:
	s_or_b64 exec, exec, s[10:11]
.LBB63_335:
	s_or_b64 exec, exec, s[2:3]
	v_and_b32_e32 v6, 7, v6
	v_cmp_ne_u32_e32 vcc, 0, v6
	s_and_saveexec_b64 s[2:3], vcc
	s_cbranch_execz .LBB63_339
; %bb.336:
	v_lshlrev_b32_e32 v10, 4, v202
	v_add_u32_e32 v7, 0x400, v10
	v_add_u32_e32 v201, 0, v10
	s_mov_b64 s[10:11], 0
.LBB63_337:                             ; =>This Inner Loop Header: Depth=1
	scratch_load_dwordx4 v[202:205], v201, off
	ds_read_b128 v[206:209], v7
	v_add_u32_e32 v6, -1, v6
	v_cmp_eq_u32_e32 vcc, 0, v6
	v_add_u32_e32 v7, 16, v7
	v_add_u32_e32 v201, 16, v201
	s_or_b64 s[10:11], vcc, s[10:11]
	s_waitcnt vmcnt(0) lgkmcnt(0)
	v_mul_f64 v[10:11], v[208:209], v[204:205]
	v_mul_f64 v[12:13], v[206:207], v[204:205]
	v_fma_f64 v[10:11], v[206:207], v[202:203], -v[10:11]
	v_fmac_f64_e32 v[12:13], v[208:209], v[202:203]
	v_add_f64 v[2:3], v[2:3], v[10:11]
	v_add_f64 v[4:5], v[4:5], v[12:13]
	s_andn2_b64 exec, exec, s[10:11]
	s_cbranch_execnz .LBB63_337
; %bb.338:
	s_or_b64 exec, exec, s[10:11]
.LBB63_339:
	s_or_b64 exec, exec, s[2:3]
.LBB63_340:
	s_or_b64 exec, exec, s[8:9]
	v_mov_b32_e32 v6, 0
	ds_read_b128 v[202:205], v6 offset:608
	s_waitcnt lgkmcnt(0)
	v_mul_f64 v[6:7], v[4:5], v[204:205]
	v_mul_f64 v[206:207], v[2:3], v[204:205]
	v_fma_f64 v[204:205], v[2:3], v[202:203], -v[6:7]
	v_fmac_f64_e32 v[206:207], v[4:5], v[202:203]
	scratch_store_dwordx4 off, v[204:207], off offset:608
.LBB63_341:
	s_or_b64 exec, exec, s[4:5]
	scratch_load_dwordx4 v[2:5], v164, off
	v_cmp_lt_u32_e64 s[2:3], 37, v0
	s_waitcnt vmcnt(0)
	ds_write_b128 v9, v[2:5]
	s_waitcnt lgkmcnt(0)
	; wave barrier
	s_waitcnt lgkmcnt(0)
	s_and_saveexec_b64 s[4:5], s[2:3]
	s_cbranch_execz .LBB63_355
; %bb.342:
	ds_read_b128 v[2:5], v9
	s_andn2_b64 vcc, exec, s[6:7]
	s_cbranch_vccnz .LBB63_344
; %bb.343:
	scratch_load_dwordx4 v[202:205], v8, off
	s_waitcnt vmcnt(0) lgkmcnt(0)
	v_mul_f64 v[10:11], v[2:3], v[204:205]
	v_mul_f64 v[6:7], v[4:5], v[204:205]
	v_fmac_f64_e32 v[10:11], v[4:5], v[202:203]
	v_fma_f64 v[2:3], v[2:3], v[202:203], -v[6:7]
	v_mov_b64_e32 v[4:5], v[10:11]
.LBB63_344:
	s_and_saveexec_b64 s[8:9], s[0:1]
	s_cbranch_execz .LBB63_354
; %bb.345:
	v_subrev_u32_e32 v7, 39, v0
	v_subrev_u32_e32 v6, 38, v0
	v_cmp_lt_u32_e32 vcc, 6, v7
	v_mov_b32_e32 v202, 38
	s_and_saveexec_b64 s[0:1], vcc
	s_cbranch_execz .LBB63_349
; %bb.346:
	v_and_b32_e32 v7, -8, v6
	s_mov_b32 s12, 0
	s_mov_b64 s[10:11], 0
	v_mov_b32_e32 v201, 0
	s_mov_b32 s13, 0
.LBB63_347:                             ; =>This Inner Loop Header: Depth=1
	v_readfirstlane_b32 s14, v201
	s_add_i32 s14, s14, s12
	s_add_i32 s15, s14, 0x260
	v_mov_b32_e32 v28, s12
	ds_read_b128 v[202:205], v28 offset:1632
	ds_read_b128 v[206:209], v28 offset:1648
	;; [unrolled: 1-line block ×4, first 2 shown]
	scratch_load_dwordx4 v[218:221], off, s15
	s_add_i32 s15, s14, 0x270
	s_addk_i32 s12, 0x80
	s_waitcnt vmcnt(0) lgkmcnt(3)
	v_mul_f64 v[10:11], v[204:205], v[220:221]
	v_mul_f64 v[12:13], v[202:203], v[220:221]
	v_fma_f64 v[10:11], v[202:203], v[218:219], -v[10:11]
	v_fmac_f64_e32 v[12:13], v[204:205], v[218:219]
	v_add_f64 v[10:11], v[2:3], v[10:11]
	v_add_f64 v[12:13], v[4:5], v[12:13]
	scratch_load_dwordx4 v[2:5], off, s15
	s_add_i32 s15, s14, 0x280
	s_waitcnt vmcnt(0) lgkmcnt(2)
	v_mul_f64 v[22:23], v[208:209], v[4:5]
	v_mul_f64 v[4:5], v[206:207], v[4:5]
	v_fmac_f64_e32 v[4:5], v[208:209], v[2:3]
	v_fma_f64 v[22:23], v[206:207], v[2:3], -v[22:23]
	v_add_f64 v[12:13], v[12:13], v[4:5]
	scratch_load_dwordx4 v[2:5], off, s15
	v_add_f64 v[10:11], v[10:11], v[22:23]
	s_add_i32 s15, s14, 0x290
	s_waitcnt vmcnt(0) lgkmcnt(1)
	v_mul_f64 v[22:23], v[212:213], v[4:5]
	v_mul_f64 v[4:5], v[210:211], v[4:5]
	v_fmac_f64_e32 v[4:5], v[212:213], v[2:3]
	v_fma_f64 v[22:23], v[210:211], v[2:3], -v[22:23]
	v_add_f64 v[12:13], v[12:13], v[4:5]
	scratch_load_dwordx4 v[2:5], off, s15
	s_add_i32 s15, s14, 0x2a0
	scratch_load_dwordx4 v[202:205], off, s15
	v_add_f64 v[10:11], v[10:11], v[22:23]
	s_add_i32 s15, s14, 0x2b0
	s_waitcnt vmcnt(1) lgkmcnt(0)
	v_mul_f64 v[22:23], v[216:217], v[4:5]
	v_mul_f64 v[4:5], v[214:215], v[4:5]
	v_fmac_f64_e32 v[4:5], v[216:217], v[2:3]
	v_fma_f64 v[22:23], v[214:215], v[2:3], -v[22:23]
	v_add_f64 v[12:13], v[12:13], v[4:5]
	ds_read_b128 v[2:5], v28 offset:1696
	v_add_f64 v[10:11], v[10:11], v[22:23]
	s_waitcnt vmcnt(0) lgkmcnt(0)
	v_mul_f64 v[22:23], v[4:5], v[204:205]
	v_fma_f64 v[22:23], v[2:3], v[202:203], -v[22:23]
	v_mul_f64 v[2:3], v[2:3], v[204:205]
	v_fmac_f64_e32 v[2:3], v[4:5], v[202:203]
	scratch_load_dwordx4 v[202:205], off, s15
	v_add_f64 v[12:13], v[12:13], v[2:3]
	ds_read_b128 v[2:5], v28 offset:1712
	v_add_f64 v[10:11], v[10:11], v[22:23]
	s_add_i32 s15, s14, 0x2c0
	s_addk_i32 s14, 0x2d0
	s_waitcnt vmcnt(0) lgkmcnt(0)
	v_mul_f64 v[22:23], v[4:5], v[204:205]
	v_fma_f64 v[22:23], v[2:3], v[202:203], -v[22:23]
	v_mul_f64 v[2:3], v[2:3], v[204:205]
	v_fmac_f64_e32 v[2:3], v[4:5], v[202:203]
	scratch_load_dwordx4 v[202:205], off, s15
	v_add_f64 v[12:13], v[12:13], v[2:3]
	ds_read_b128 v[2:5], v28 offset:1728
	v_add_f64 v[10:11], v[10:11], v[22:23]
	s_waitcnt vmcnt(0) lgkmcnt(0)
	v_mul_f64 v[22:23], v[4:5], v[204:205]
	v_fma_f64 v[22:23], v[2:3], v[202:203], -v[22:23]
	v_mul_f64 v[2:3], v[2:3], v[204:205]
	v_fmac_f64_e32 v[2:3], v[4:5], v[202:203]
	scratch_load_dwordx4 v[202:205], off, s14
	v_add_f64 v[12:13], v[12:13], v[2:3]
	ds_read_b128 v[2:5], v28 offset:1744
	v_add_f64 v[10:11], v[10:11], v[22:23]
	s_add_i32 s14, s13, 8
	v_cmp_eq_u32_e32 vcc, s14, v7
	s_add_i32 s13, s13, 46
	s_or_b64 s[10:11], vcc, s[10:11]
	s_waitcnt vmcnt(0) lgkmcnt(0)
	v_mul_f64 v[22:23], v[4:5], v[204:205]
	v_mul_f64 v[28:29], v[2:3], v[204:205]
	v_fma_f64 v[22:23], v[2:3], v[202:203], -v[22:23]
	v_fmac_f64_e32 v[28:29], v[4:5], v[202:203]
	v_add_f64 v[2:3], v[10:11], v[22:23]
	v_add_f64 v[4:5], v[12:13], v[28:29]
	v_mov_b32_e32 v202, s13
	s_mov_b32 s13, s14
	s_andn2_b64 exec, exec, s[10:11]
	s_cbranch_execnz .LBB63_347
; %bb.348:
	s_or_b64 exec, exec, s[10:11]
.LBB63_349:
	s_or_b64 exec, exec, s[0:1]
	v_and_b32_e32 v6, 7, v6
	v_cmp_ne_u32_e32 vcc, 0, v6
	s_and_saveexec_b64 s[0:1], vcc
	s_cbranch_execz .LBB63_353
; %bb.350:
	v_lshlrev_b32_e32 v10, 4, v202
	v_add_u32_e32 v7, 0x400, v10
	v_add_u32_e32 v201, 0, v10
	s_mov_b64 s[10:11], 0
.LBB63_351:                             ; =>This Inner Loop Header: Depth=1
	scratch_load_dwordx4 v[202:205], v201, off
	ds_read_b128 v[206:209], v7
	v_add_u32_e32 v6, -1, v6
	v_cmp_eq_u32_e32 vcc, 0, v6
	v_add_u32_e32 v7, 16, v7
	v_add_u32_e32 v201, 16, v201
	s_or_b64 s[10:11], vcc, s[10:11]
	s_waitcnt vmcnt(0) lgkmcnt(0)
	v_mul_f64 v[10:11], v[208:209], v[204:205]
	v_mul_f64 v[12:13], v[206:207], v[204:205]
	v_fma_f64 v[10:11], v[206:207], v[202:203], -v[10:11]
	v_fmac_f64_e32 v[12:13], v[208:209], v[202:203]
	v_add_f64 v[2:3], v[2:3], v[10:11]
	v_add_f64 v[4:5], v[4:5], v[12:13]
	s_andn2_b64 exec, exec, s[10:11]
	s_cbranch_execnz .LBB63_351
; %bb.352:
	s_or_b64 exec, exec, s[10:11]
.LBB63_353:
	s_or_b64 exec, exec, s[0:1]
.LBB63_354:
	s_or_b64 exec, exec, s[8:9]
	v_mov_b32_e32 v6, 0
	ds_read_b128 v[202:205], v6 offset:592
	s_waitcnt lgkmcnt(0)
	v_mul_f64 v[6:7], v[4:5], v[204:205]
	v_mul_f64 v[206:207], v[2:3], v[204:205]
	v_fma_f64 v[204:205], v[2:3], v[202:203], -v[6:7]
	v_fmac_f64_e32 v[206:207], v[4:5], v[202:203]
	scratch_store_dwordx4 off, v[204:207], off offset:592
.LBB63_355:
	s_or_b64 exec, exec, s[4:5]
	scratch_load_dwordx4 v[2:5], v165, off
	v_cmp_lt_u32_e64 s[0:1], 36, v0
	s_waitcnt vmcnt(0)
	ds_write_b128 v9, v[2:5]
	s_waitcnt lgkmcnt(0)
	; wave barrier
	s_waitcnt lgkmcnt(0)
	s_and_saveexec_b64 s[4:5], s[0:1]
	s_cbranch_execz .LBB63_369
; %bb.356:
	ds_read_b128 v[2:5], v9
	s_andn2_b64 vcc, exec, s[6:7]
	s_cbranch_vccnz .LBB63_358
; %bb.357:
	scratch_load_dwordx4 v[202:205], v8, off
	s_waitcnt vmcnt(0) lgkmcnt(0)
	v_mul_f64 v[10:11], v[2:3], v[204:205]
	v_mul_f64 v[6:7], v[4:5], v[204:205]
	v_fmac_f64_e32 v[10:11], v[4:5], v[202:203]
	v_fma_f64 v[2:3], v[2:3], v[202:203], -v[6:7]
	v_mov_b64_e32 v[4:5], v[10:11]
.LBB63_358:
	s_and_saveexec_b64 s[8:9], s[2:3]
	s_cbranch_execz .LBB63_368
; %bb.359:
	v_subrev_u32_e32 v7, 38, v0
	v_subrev_u32_e32 v6, 37, v0
	v_cmp_lt_u32_e32 vcc, 6, v7
	v_mov_b32_e32 v202, 37
	s_and_saveexec_b64 s[2:3], vcc
	s_cbranch_execz .LBB63_363
; %bb.360:
	v_and_b32_e32 v7, -8, v6
	s_mov_b32 s12, 0
	s_mov_b64 s[10:11], 0
	v_mov_b32_e32 v201, 0
	s_mov_b32 s13, 0
.LBB63_361:                             ; =>This Inner Loop Header: Depth=1
	v_readfirstlane_b32 s14, v201
	s_add_i32 s14, s14, s12
	s_add_i32 s15, s14, 0x250
	v_mov_b32_e32 v28, s12
	ds_read_b128 v[202:205], v28 offset:1616
	ds_read_b128 v[206:209], v28 offset:1632
	;; [unrolled: 1-line block ×4, first 2 shown]
	scratch_load_dwordx4 v[218:221], off, s15
	s_add_i32 s15, s14, 0x260
	s_addk_i32 s12, 0x80
	s_waitcnt vmcnt(0) lgkmcnt(3)
	v_mul_f64 v[10:11], v[204:205], v[220:221]
	v_mul_f64 v[12:13], v[202:203], v[220:221]
	v_fma_f64 v[10:11], v[202:203], v[218:219], -v[10:11]
	v_fmac_f64_e32 v[12:13], v[204:205], v[218:219]
	v_add_f64 v[10:11], v[2:3], v[10:11]
	v_add_f64 v[12:13], v[4:5], v[12:13]
	scratch_load_dwordx4 v[2:5], off, s15
	s_add_i32 s15, s14, 0x270
	s_waitcnt vmcnt(0) lgkmcnt(2)
	v_mul_f64 v[22:23], v[208:209], v[4:5]
	v_mul_f64 v[4:5], v[206:207], v[4:5]
	v_fmac_f64_e32 v[4:5], v[208:209], v[2:3]
	v_fma_f64 v[22:23], v[206:207], v[2:3], -v[22:23]
	v_add_f64 v[12:13], v[12:13], v[4:5]
	scratch_load_dwordx4 v[2:5], off, s15
	v_add_f64 v[10:11], v[10:11], v[22:23]
	s_add_i32 s15, s14, 0x280
	s_waitcnt vmcnt(0) lgkmcnt(1)
	v_mul_f64 v[22:23], v[212:213], v[4:5]
	v_mul_f64 v[4:5], v[210:211], v[4:5]
	v_fmac_f64_e32 v[4:5], v[212:213], v[2:3]
	v_fma_f64 v[22:23], v[210:211], v[2:3], -v[22:23]
	v_add_f64 v[12:13], v[12:13], v[4:5]
	scratch_load_dwordx4 v[2:5], off, s15
	s_add_i32 s15, s14, 0x290
	scratch_load_dwordx4 v[202:205], off, s15
	v_add_f64 v[10:11], v[10:11], v[22:23]
	s_add_i32 s15, s14, 0x2a0
	s_waitcnt vmcnt(1) lgkmcnt(0)
	v_mul_f64 v[22:23], v[216:217], v[4:5]
	v_mul_f64 v[4:5], v[214:215], v[4:5]
	v_fmac_f64_e32 v[4:5], v[216:217], v[2:3]
	v_fma_f64 v[22:23], v[214:215], v[2:3], -v[22:23]
	v_add_f64 v[12:13], v[12:13], v[4:5]
	ds_read_b128 v[2:5], v28 offset:1680
	v_add_f64 v[10:11], v[10:11], v[22:23]
	s_waitcnt vmcnt(0) lgkmcnt(0)
	v_mul_f64 v[22:23], v[4:5], v[204:205]
	v_fma_f64 v[22:23], v[2:3], v[202:203], -v[22:23]
	v_mul_f64 v[2:3], v[2:3], v[204:205]
	v_fmac_f64_e32 v[2:3], v[4:5], v[202:203]
	scratch_load_dwordx4 v[202:205], off, s15
	v_add_f64 v[12:13], v[12:13], v[2:3]
	ds_read_b128 v[2:5], v28 offset:1696
	v_add_f64 v[10:11], v[10:11], v[22:23]
	s_add_i32 s15, s14, 0x2b0
	s_addk_i32 s14, 0x2c0
	s_waitcnt vmcnt(0) lgkmcnt(0)
	v_mul_f64 v[22:23], v[4:5], v[204:205]
	v_fma_f64 v[22:23], v[2:3], v[202:203], -v[22:23]
	v_mul_f64 v[2:3], v[2:3], v[204:205]
	v_fmac_f64_e32 v[2:3], v[4:5], v[202:203]
	scratch_load_dwordx4 v[202:205], off, s15
	v_add_f64 v[12:13], v[12:13], v[2:3]
	ds_read_b128 v[2:5], v28 offset:1712
	v_add_f64 v[10:11], v[10:11], v[22:23]
	s_waitcnt vmcnt(0) lgkmcnt(0)
	v_mul_f64 v[22:23], v[4:5], v[204:205]
	v_fma_f64 v[22:23], v[2:3], v[202:203], -v[22:23]
	v_mul_f64 v[2:3], v[2:3], v[204:205]
	v_fmac_f64_e32 v[2:3], v[4:5], v[202:203]
	scratch_load_dwordx4 v[202:205], off, s14
	v_add_f64 v[12:13], v[12:13], v[2:3]
	ds_read_b128 v[2:5], v28 offset:1728
	v_add_f64 v[10:11], v[10:11], v[22:23]
	s_add_i32 s14, s13, 8
	v_cmp_eq_u32_e32 vcc, s14, v7
	s_add_i32 s13, s13, 45
	s_or_b64 s[10:11], vcc, s[10:11]
	s_waitcnt vmcnt(0) lgkmcnt(0)
	v_mul_f64 v[22:23], v[4:5], v[204:205]
	v_mul_f64 v[28:29], v[2:3], v[204:205]
	v_fma_f64 v[22:23], v[2:3], v[202:203], -v[22:23]
	v_fmac_f64_e32 v[28:29], v[4:5], v[202:203]
	v_add_f64 v[2:3], v[10:11], v[22:23]
	v_add_f64 v[4:5], v[12:13], v[28:29]
	v_mov_b32_e32 v202, s13
	s_mov_b32 s13, s14
	s_andn2_b64 exec, exec, s[10:11]
	s_cbranch_execnz .LBB63_361
; %bb.362:
	s_or_b64 exec, exec, s[10:11]
.LBB63_363:
	s_or_b64 exec, exec, s[2:3]
	v_and_b32_e32 v6, 7, v6
	v_cmp_ne_u32_e32 vcc, 0, v6
	s_and_saveexec_b64 s[2:3], vcc
	s_cbranch_execz .LBB63_367
; %bb.364:
	v_lshlrev_b32_e32 v10, 4, v202
	v_add_u32_e32 v7, 0x400, v10
	v_add_u32_e32 v201, 0, v10
	s_mov_b64 s[10:11], 0
.LBB63_365:                             ; =>This Inner Loop Header: Depth=1
	scratch_load_dwordx4 v[202:205], v201, off
	ds_read_b128 v[206:209], v7
	v_add_u32_e32 v6, -1, v6
	v_cmp_eq_u32_e32 vcc, 0, v6
	v_add_u32_e32 v7, 16, v7
	v_add_u32_e32 v201, 16, v201
	s_or_b64 s[10:11], vcc, s[10:11]
	s_waitcnt vmcnt(0) lgkmcnt(0)
	v_mul_f64 v[10:11], v[208:209], v[204:205]
	v_mul_f64 v[12:13], v[206:207], v[204:205]
	v_fma_f64 v[10:11], v[206:207], v[202:203], -v[10:11]
	v_fmac_f64_e32 v[12:13], v[208:209], v[202:203]
	v_add_f64 v[2:3], v[2:3], v[10:11]
	v_add_f64 v[4:5], v[4:5], v[12:13]
	s_andn2_b64 exec, exec, s[10:11]
	s_cbranch_execnz .LBB63_365
; %bb.366:
	s_or_b64 exec, exec, s[10:11]
.LBB63_367:
	s_or_b64 exec, exec, s[2:3]
.LBB63_368:
	s_or_b64 exec, exec, s[8:9]
	v_mov_b32_e32 v6, 0
	ds_read_b128 v[202:205], v6 offset:576
	s_waitcnt lgkmcnt(0)
	v_mul_f64 v[6:7], v[4:5], v[204:205]
	v_mul_f64 v[206:207], v[2:3], v[204:205]
	v_fma_f64 v[204:205], v[2:3], v[202:203], -v[6:7]
	v_fmac_f64_e32 v[206:207], v[4:5], v[202:203]
	scratch_store_dwordx4 off, v[204:207], off offset:576
.LBB63_369:
	s_or_b64 exec, exec, s[4:5]
	scratch_load_dwordx4 v[2:5], v166, off
	v_cmp_lt_u32_e64 s[2:3], 35, v0
	s_waitcnt vmcnt(0)
	ds_write_b128 v9, v[2:5]
	s_waitcnt lgkmcnt(0)
	; wave barrier
	s_waitcnt lgkmcnt(0)
	s_and_saveexec_b64 s[4:5], s[2:3]
	s_cbranch_execz .LBB63_383
; %bb.370:
	ds_read_b128 v[2:5], v9
	s_andn2_b64 vcc, exec, s[6:7]
	s_cbranch_vccnz .LBB63_372
; %bb.371:
	scratch_load_dwordx4 v[202:205], v8, off
	s_waitcnt vmcnt(0) lgkmcnt(0)
	v_mul_f64 v[10:11], v[2:3], v[204:205]
	v_mul_f64 v[6:7], v[4:5], v[204:205]
	v_fmac_f64_e32 v[10:11], v[4:5], v[202:203]
	v_fma_f64 v[2:3], v[2:3], v[202:203], -v[6:7]
	v_mov_b64_e32 v[4:5], v[10:11]
.LBB63_372:
	s_and_saveexec_b64 s[8:9], s[0:1]
	s_cbranch_execz .LBB63_382
; %bb.373:
	v_subrev_u32_e32 v7, 37, v0
	v_subrev_u32_e32 v6, 36, v0
	v_cmp_lt_u32_e32 vcc, 6, v7
	v_mov_b32_e32 v202, 36
	s_and_saveexec_b64 s[0:1], vcc
	s_cbranch_execz .LBB63_377
; %bb.374:
	v_and_b32_e32 v7, -8, v6
	s_mov_b32 s12, 0
	s_mov_b64 s[10:11], 0
	v_mov_b32_e32 v201, 0
	s_mov_b32 s13, 0
.LBB63_375:                             ; =>This Inner Loop Header: Depth=1
	v_readfirstlane_b32 s14, v201
	s_add_i32 s14, s14, s12
	s_add_i32 s15, s14, 0x240
	v_mov_b32_e32 v28, s12
	ds_read_b128 v[202:205], v28 offset:1600
	ds_read_b128 v[206:209], v28 offset:1616
	;; [unrolled: 1-line block ×4, first 2 shown]
	scratch_load_dwordx4 v[218:221], off, s15
	s_add_i32 s15, s14, 0x250
	s_addk_i32 s12, 0x80
	s_waitcnt vmcnt(0) lgkmcnt(3)
	v_mul_f64 v[10:11], v[204:205], v[220:221]
	v_mul_f64 v[12:13], v[202:203], v[220:221]
	v_fma_f64 v[10:11], v[202:203], v[218:219], -v[10:11]
	v_fmac_f64_e32 v[12:13], v[204:205], v[218:219]
	v_add_f64 v[10:11], v[2:3], v[10:11]
	v_add_f64 v[12:13], v[4:5], v[12:13]
	scratch_load_dwordx4 v[2:5], off, s15
	s_add_i32 s15, s14, 0x260
	s_waitcnt vmcnt(0) lgkmcnt(2)
	v_mul_f64 v[22:23], v[208:209], v[4:5]
	v_mul_f64 v[4:5], v[206:207], v[4:5]
	v_fmac_f64_e32 v[4:5], v[208:209], v[2:3]
	v_fma_f64 v[22:23], v[206:207], v[2:3], -v[22:23]
	v_add_f64 v[12:13], v[12:13], v[4:5]
	scratch_load_dwordx4 v[2:5], off, s15
	v_add_f64 v[10:11], v[10:11], v[22:23]
	s_add_i32 s15, s14, 0x270
	s_waitcnt vmcnt(0) lgkmcnt(1)
	v_mul_f64 v[22:23], v[212:213], v[4:5]
	v_mul_f64 v[4:5], v[210:211], v[4:5]
	v_fmac_f64_e32 v[4:5], v[212:213], v[2:3]
	v_fma_f64 v[22:23], v[210:211], v[2:3], -v[22:23]
	v_add_f64 v[12:13], v[12:13], v[4:5]
	scratch_load_dwordx4 v[2:5], off, s15
	s_add_i32 s15, s14, 0x280
	scratch_load_dwordx4 v[202:205], off, s15
	v_add_f64 v[10:11], v[10:11], v[22:23]
	s_add_i32 s15, s14, 0x290
	s_waitcnt vmcnt(1) lgkmcnt(0)
	v_mul_f64 v[22:23], v[216:217], v[4:5]
	v_mul_f64 v[4:5], v[214:215], v[4:5]
	v_fmac_f64_e32 v[4:5], v[216:217], v[2:3]
	v_fma_f64 v[22:23], v[214:215], v[2:3], -v[22:23]
	v_add_f64 v[12:13], v[12:13], v[4:5]
	ds_read_b128 v[2:5], v28 offset:1664
	v_add_f64 v[10:11], v[10:11], v[22:23]
	s_waitcnt vmcnt(0) lgkmcnt(0)
	v_mul_f64 v[22:23], v[4:5], v[204:205]
	v_fma_f64 v[22:23], v[2:3], v[202:203], -v[22:23]
	v_mul_f64 v[2:3], v[2:3], v[204:205]
	v_fmac_f64_e32 v[2:3], v[4:5], v[202:203]
	scratch_load_dwordx4 v[202:205], off, s15
	v_add_f64 v[12:13], v[12:13], v[2:3]
	ds_read_b128 v[2:5], v28 offset:1680
	v_add_f64 v[10:11], v[10:11], v[22:23]
	s_add_i32 s15, s14, 0x2a0
	s_addk_i32 s14, 0x2b0
	s_waitcnt vmcnt(0) lgkmcnt(0)
	v_mul_f64 v[22:23], v[4:5], v[204:205]
	v_fma_f64 v[22:23], v[2:3], v[202:203], -v[22:23]
	v_mul_f64 v[2:3], v[2:3], v[204:205]
	v_fmac_f64_e32 v[2:3], v[4:5], v[202:203]
	scratch_load_dwordx4 v[202:205], off, s15
	v_add_f64 v[12:13], v[12:13], v[2:3]
	ds_read_b128 v[2:5], v28 offset:1696
	v_add_f64 v[10:11], v[10:11], v[22:23]
	s_waitcnt vmcnt(0) lgkmcnt(0)
	v_mul_f64 v[22:23], v[4:5], v[204:205]
	v_fma_f64 v[22:23], v[2:3], v[202:203], -v[22:23]
	v_mul_f64 v[2:3], v[2:3], v[204:205]
	v_fmac_f64_e32 v[2:3], v[4:5], v[202:203]
	scratch_load_dwordx4 v[202:205], off, s14
	v_add_f64 v[12:13], v[12:13], v[2:3]
	ds_read_b128 v[2:5], v28 offset:1712
	v_add_f64 v[10:11], v[10:11], v[22:23]
	s_add_i32 s14, s13, 8
	v_cmp_eq_u32_e32 vcc, s14, v7
	s_add_i32 s13, s13, 44
	s_or_b64 s[10:11], vcc, s[10:11]
	s_waitcnt vmcnt(0) lgkmcnt(0)
	v_mul_f64 v[22:23], v[4:5], v[204:205]
	v_mul_f64 v[28:29], v[2:3], v[204:205]
	v_fma_f64 v[22:23], v[2:3], v[202:203], -v[22:23]
	v_fmac_f64_e32 v[28:29], v[4:5], v[202:203]
	v_add_f64 v[2:3], v[10:11], v[22:23]
	v_add_f64 v[4:5], v[12:13], v[28:29]
	v_mov_b32_e32 v202, s13
	s_mov_b32 s13, s14
	s_andn2_b64 exec, exec, s[10:11]
	s_cbranch_execnz .LBB63_375
; %bb.376:
	s_or_b64 exec, exec, s[10:11]
.LBB63_377:
	s_or_b64 exec, exec, s[0:1]
	v_and_b32_e32 v6, 7, v6
	v_cmp_ne_u32_e32 vcc, 0, v6
	s_and_saveexec_b64 s[0:1], vcc
	s_cbranch_execz .LBB63_381
; %bb.378:
	v_lshlrev_b32_e32 v10, 4, v202
	v_add_u32_e32 v7, 0x400, v10
	v_add_u32_e32 v201, 0, v10
	s_mov_b64 s[10:11], 0
.LBB63_379:                             ; =>This Inner Loop Header: Depth=1
	scratch_load_dwordx4 v[202:205], v201, off
	ds_read_b128 v[206:209], v7
	v_add_u32_e32 v6, -1, v6
	v_cmp_eq_u32_e32 vcc, 0, v6
	v_add_u32_e32 v7, 16, v7
	v_add_u32_e32 v201, 16, v201
	s_or_b64 s[10:11], vcc, s[10:11]
	s_waitcnt vmcnt(0) lgkmcnt(0)
	v_mul_f64 v[10:11], v[208:209], v[204:205]
	v_mul_f64 v[12:13], v[206:207], v[204:205]
	v_fma_f64 v[10:11], v[206:207], v[202:203], -v[10:11]
	v_fmac_f64_e32 v[12:13], v[208:209], v[202:203]
	v_add_f64 v[2:3], v[2:3], v[10:11]
	v_add_f64 v[4:5], v[4:5], v[12:13]
	s_andn2_b64 exec, exec, s[10:11]
	s_cbranch_execnz .LBB63_379
; %bb.380:
	s_or_b64 exec, exec, s[10:11]
.LBB63_381:
	s_or_b64 exec, exec, s[0:1]
.LBB63_382:
	s_or_b64 exec, exec, s[8:9]
	v_mov_b32_e32 v6, 0
	ds_read_b128 v[202:205], v6 offset:560
	s_waitcnt lgkmcnt(0)
	v_mul_f64 v[6:7], v[4:5], v[204:205]
	v_mul_f64 v[206:207], v[2:3], v[204:205]
	v_fma_f64 v[204:205], v[2:3], v[202:203], -v[6:7]
	v_fmac_f64_e32 v[206:207], v[4:5], v[202:203]
	scratch_store_dwordx4 off, v[204:207], off offset:560
.LBB63_383:
	s_or_b64 exec, exec, s[4:5]
	scratch_load_dwordx4 v[2:5], v167, off
	v_cmp_lt_u32_e64 s[0:1], 34, v0
	s_waitcnt vmcnt(0)
	ds_write_b128 v9, v[2:5]
	s_waitcnt lgkmcnt(0)
	; wave barrier
	s_waitcnt lgkmcnt(0)
	s_and_saveexec_b64 s[4:5], s[0:1]
	s_cbranch_execz .LBB63_397
; %bb.384:
	ds_read_b128 v[2:5], v9
	s_andn2_b64 vcc, exec, s[6:7]
	s_cbranch_vccnz .LBB63_386
; %bb.385:
	scratch_load_dwordx4 v[202:205], v8, off
	s_waitcnt vmcnt(0) lgkmcnt(0)
	v_mul_f64 v[10:11], v[2:3], v[204:205]
	v_mul_f64 v[6:7], v[4:5], v[204:205]
	v_fmac_f64_e32 v[10:11], v[4:5], v[202:203]
	v_fma_f64 v[2:3], v[2:3], v[202:203], -v[6:7]
	v_mov_b64_e32 v[4:5], v[10:11]
.LBB63_386:
	s_and_saveexec_b64 s[8:9], s[2:3]
	s_cbranch_execz .LBB63_396
; %bb.387:
	v_subrev_u32_e32 v7, 36, v0
	v_subrev_u32_e32 v6, 35, v0
	v_cmp_lt_u32_e32 vcc, 6, v7
	v_mov_b32_e32 v202, 35
	s_and_saveexec_b64 s[2:3], vcc
	s_cbranch_execz .LBB63_391
; %bb.388:
	v_and_b32_e32 v7, -8, v6
	s_mov_b32 s12, 0
	s_mov_b64 s[10:11], 0
	v_mov_b32_e32 v201, 0
	s_mov_b32 s13, 0
.LBB63_389:                             ; =>This Inner Loop Header: Depth=1
	v_readfirstlane_b32 s14, v201
	s_add_i32 s14, s14, s12
	s_add_i32 s15, s14, 0x230
	v_mov_b32_e32 v28, s12
	ds_read_b128 v[202:205], v28 offset:1584
	ds_read_b128 v[206:209], v28 offset:1600
	;; [unrolled: 1-line block ×4, first 2 shown]
	scratch_load_dwordx4 v[218:221], off, s15
	s_add_i32 s15, s14, 0x240
	s_addk_i32 s12, 0x80
	s_waitcnt vmcnt(0) lgkmcnt(3)
	v_mul_f64 v[10:11], v[204:205], v[220:221]
	v_mul_f64 v[12:13], v[202:203], v[220:221]
	v_fma_f64 v[10:11], v[202:203], v[218:219], -v[10:11]
	v_fmac_f64_e32 v[12:13], v[204:205], v[218:219]
	v_add_f64 v[10:11], v[2:3], v[10:11]
	v_add_f64 v[12:13], v[4:5], v[12:13]
	scratch_load_dwordx4 v[2:5], off, s15
	s_add_i32 s15, s14, 0x250
	s_waitcnt vmcnt(0) lgkmcnt(2)
	v_mul_f64 v[22:23], v[208:209], v[4:5]
	v_mul_f64 v[4:5], v[206:207], v[4:5]
	v_fmac_f64_e32 v[4:5], v[208:209], v[2:3]
	v_fma_f64 v[22:23], v[206:207], v[2:3], -v[22:23]
	v_add_f64 v[12:13], v[12:13], v[4:5]
	scratch_load_dwordx4 v[2:5], off, s15
	v_add_f64 v[10:11], v[10:11], v[22:23]
	s_add_i32 s15, s14, 0x260
	s_waitcnt vmcnt(0) lgkmcnt(1)
	v_mul_f64 v[22:23], v[212:213], v[4:5]
	v_mul_f64 v[4:5], v[210:211], v[4:5]
	v_fmac_f64_e32 v[4:5], v[212:213], v[2:3]
	v_fma_f64 v[22:23], v[210:211], v[2:3], -v[22:23]
	v_add_f64 v[12:13], v[12:13], v[4:5]
	scratch_load_dwordx4 v[2:5], off, s15
	s_add_i32 s15, s14, 0x270
	scratch_load_dwordx4 v[202:205], off, s15
	v_add_f64 v[10:11], v[10:11], v[22:23]
	s_add_i32 s15, s14, 0x280
	s_waitcnt vmcnt(1) lgkmcnt(0)
	v_mul_f64 v[22:23], v[216:217], v[4:5]
	v_mul_f64 v[4:5], v[214:215], v[4:5]
	v_fmac_f64_e32 v[4:5], v[216:217], v[2:3]
	v_fma_f64 v[22:23], v[214:215], v[2:3], -v[22:23]
	v_add_f64 v[12:13], v[12:13], v[4:5]
	ds_read_b128 v[2:5], v28 offset:1648
	v_add_f64 v[10:11], v[10:11], v[22:23]
	s_waitcnt vmcnt(0) lgkmcnt(0)
	v_mul_f64 v[22:23], v[4:5], v[204:205]
	v_fma_f64 v[22:23], v[2:3], v[202:203], -v[22:23]
	v_mul_f64 v[2:3], v[2:3], v[204:205]
	v_fmac_f64_e32 v[2:3], v[4:5], v[202:203]
	scratch_load_dwordx4 v[202:205], off, s15
	v_add_f64 v[12:13], v[12:13], v[2:3]
	ds_read_b128 v[2:5], v28 offset:1664
	v_add_f64 v[10:11], v[10:11], v[22:23]
	s_add_i32 s15, s14, 0x290
	s_addk_i32 s14, 0x2a0
	s_waitcnt vmcnt(0) lgkmcnt(0)
	v_mul_f64 v[22:23], v[4:5], v[204:205]
	v_fma_f64 v[22:23], v[2:3], v[202:203], -v[22:23]
	v_mul_f64 v[2:3], v[2:3], v[204:205]
	v_fmac_f64_e32 v[2:3], v[4:5], v[202:203]
	scratch_load_dwordx4 v[202:205], off, s15
	v_add_f64 v[12:13], v[12:13], v[2:3]
	ds_read_b128 v[2:5], v28 offset:1680
	v_add_f64 v[10:11], v[10:11], v[22:23]
	s_waitcnt vmcnt(0) lgkmcnt(0)
	v_mul_f64 v[22:23], v[4:5], v[204:205]
	v_fma_f64 v[22:23], v[2:3], v[202:203], -v[22:23]
	v_mul_f64 v[2:3], v[2:3], v[204:205]
	v_fmac_f64_e32 v[2:3], v[4:5], v[202:203]
	scratch_load_dwordx4 v[202:205], off, s14
	v_add_f64 v[12:13], v[12:13], v[2:3]
	ds_read_b128 v[2:5], v28 offset:1696
	v_add_f64 v[10:11], v[10:11], v[22:23]
	s_add_i32 s14, s13, 8
	v_cmp_eq_u32_e32 vcc, s14, v7
	s_add_i32 s13, s13, 43
	s_or_b64 s[10:11], vcc, s[10:11]
	s_waitcnt vmcnt(0) lgkmcnt(0)
	v_mul_f64 v[22:23], v[4:5], v[204:205]
	v_mul_f64 v[28:29], v[2:3], v[204:205]
	v_fma_f64 v[22:23], v[2:3], v[202:203], -v[22:23]
	v_fmac_f64_e32 v[28:29], v[4:5], v[202:203]
	v_add_f64 v[2:3], v[10:11], v[22:23]
	v_add_f64 v[4:5], v[12:13], v[28:29]
	v_mov_b32_e32 v202, s13
	s_mov_b32 s13, s14
	s_andn2_b64 exec, exec, s[10:11]
	s_cbranch_execnz .LBB63_389
; %bb.390:
	s_or_b64 exec, exec, s[10:11]
.LBB63_391:
	s_or_b64 exec, exec, s[2:3]
	v_and_b32_e32 v6, 7, v6
	v_cmp_ne_u32_e32 vcc, 0, v6
	s_and_saveexec_b64 s[2:3], vcc
	s_cbranch_execz .LBB63_395
; %bb.392:
	v_lshlrev_b32_e32 v10, 4, v202
	v_add_u32_e32 v7, 0x400, v10
	v_add_u32_e32 v201, 0, v10
	s_mov_b64 s[10:11], 0
.LBB63_393:                             ; =>This Inner Loop Header: Depth=1
	scratch_load_dwordx4 v[202:205], v201, off
	ds_read_b128 v[206:209], v7
	v_add_u32_e32 v6, -1, v6
	v_cmp_eq_u32_e32 vcc, 0, v6
	v_add_u32_e32 v7, 16, v7
	v_add_u32_e32 v201, 16, v201
	s_or_b64 s[10:11], vcc, s[10:11]
	s_waitcnt vmcnt(0) lgkmcnt(0)
	v_mul_f64 v[10:11], v[208:209], v[204:205]
	v_mul_f64 v[12:13], v[206:207], v[204:205]
	v_fma_f64 v[10:11], v[206:207], v[202:203], -v[10:11]
	v_fmac_f64_e32 v[12:13], v[208:209], v[202:203]
	v_add_f64 v[2:3], v[2:3], v[10:11]
	v_add_f64 v[4:5], v[4:5], v[12:13]
	s_andn2_b64 exec, exec, s[10:11]
	s_cbranch_execnz .LBB63_393
; %bb.394:
	s_or_b64 exec, exec, s[10:11]
.LBB63_395:
	s_or_b64 exec, exec, s[2:3]
.LBB63_396:
	s_or_b64 exec, exec, s[8:9]
	v_mov_b32_e32 v6, 0
	ds_read_b128 v[202:205], v6 offset:544
	s_waitcnt lgkmcnt(0)
	v_mul_f64 v[6:7], v[4:5], v[204:205]
	v_mul_f64 v[206:207], v[2:3], v[204:205]
	v_fma_f64 v[204:205], v[2:3], v[202:203], -v[6:7]
	v_fmac_f64_e32 v[206:207], v[4:5], v[202:203]
	scratch_store_dwordx4 off, v[204:207], off offset:544
.LBB63_397:
	s_or_b64 exec, exec, s[4:5]
	scratch_load_dwordx4 v[2:5], v168, off
	v_cmp_lt_u32_e64 s[2:3], 33, v0
	s_waitcnt vmcnt(0)
	ds_write_b128 v9, v[2:5]
	s_waitcnt lgkmcnt(0)
	; wave barrier
	s_waitcnt lgkmcnt(0)
	s_and_saveexec_b64 s[4:5], s[2:3]
	s_cbranch_execz .LBB63_411
; %bb.398:
	ds_read_b128 v[2:5], v9
	s_andn2_b64 vcc, exec, s[6:7]
	s_cbranch_vccnz .LBB63_400
; %bb.399:
	scratch_load_dwordx4 v[202:205], v8, off
	s_waitcnt vmcnt(0) lgkmcnt(0)
	v_mul_f64 v[10:11], v[2:3], v[204:205]
	v_mul_f64 v[6:7], v[4:5], v[204:205]
	v_fmac_f64_e32 v[10:11], v[4:5], v[202:203]
	v_fma_f64 v[2:3], v[2:3], v[202:203], -v[6:7]
	v_mov_b64_e32 v[4:5], v[10:11]
.LBB63_400:
	s_and_saveexec_b64 s[8:9], s[0:1]
	s_cbranch_execz .LBB63_410
; %bb.401:
	v_subrev_u32_e32 v7, 35, v0
	v_subrev_u32_e32 v6, 34, v0
	v_cmp_lt_u32_e32 vcc, 6, v7
	v_mov_b32_e32 v202, 34
	s_and_saveexec_b64 s[0:1], vcc
	s_cbranch_execz .LBB63_405
; %bb.402:
	v_and_b32_e32 v7, -8, v6
	s_mov_b32 s12, 0
	s_mov_b64 s[10:11], 0
	v_mov_b32_e32 v201, 0
	s_mov_b32 s13, 0
.LBB63_403:                             ; =>This Inner Loop Header: Depth=1
	v_readfirstlane_b32 s14, v201
	s_add_i32 s14, s14, s12
	s_add_i32 s15, s14, 0x220
	v_mov_b32_e32 v28, s12
	ds_read_b128 v[202:205], v28 offset:1568
	ds_read_b128 v[206:209], v28 offset:1584
	;; [unrolled: 1-line block ×4, first 2 shown]
	scratch_load_dwordx4 v[218:221], off, s15
	s_add_i32 s15, s14, 0x230
	s_addk_i32 s12, 0x80
	s_waitcnt vmcnt(0) lgkmcnt(3)
	v_mul_f64 v[10:11], v[204:205], v[220:221]
	v_mul_f64 v[12:13], v[202:203], v[220:221]
	v_fma_f64 v[10:11], v[202:203], v[218:219], -v[10:11]
	v_fmac_f64_e32 v[12:13], v[204:205], v[218:219]
	v_add_f64 v[10:11], v[2:3], v[10:11]
	v_add_f64 v[12:13], v[4:5], v[12:13]
	scratch_load_dwordx4 v[2:5], off, s15
	s_add_i32 s15, s14, 0x240
	s_waitcnt vmcnt(0) lgkmcnt(2)
	v_mul_f64 v[22:23], v[208:209], v[4:5]
	v_mul_f64 v[4:5], v[206:207], v[4:5]
	v_fmac_f64_e32 v[4:5], v[208:209], v[2:3]
	v_fma_f64 v[22:23], v[206:207], v[2:3], -v[22:23]
	v_add_f64 v[12:13], v[12:13], v[4:5]
	scratch_load_dwordx4 v[2:5], off, s15
	v_add_f64 v[10:11], v[10:11], v[22:23]
	s_add_i32 s15, s14, 0x250
	s_waitcnt vmcnt(0) lgkmcnt(1)
	v_mul_f64 v[22:23], v[212:213], v[4:5]
	v_mul_f64 v[4:5], v[210:211], v[4:5]
	v_fmac_f64_e32 v[4:5], v[212:213], v[2:3]
	v_fma_f64 v[22:23], v[210:211], v[2:3], -v[22:23]
	v_add_f64 v[12:13], v[12:13], v[4:5]
	scratch_load_dwordx4 v[2:5], off, s15
	s_add_i32 s15, s14, 0x260
	scratch_load_dwordx4 v[202:205], off, s15
	v_add_f64 v[10:11], v[10:11], v[22:23]
	s_add_i32 s15, s14, 0x270
	s_waitcnt vmcnt(1) lgkmcnt(0)
	v_mul_f64 v[22:23], v[216:217], v[4:5]
	v_mul_f64 v[4:5], v[214:215], v[4:5]
	v_fmac_f64_e32 v[4:5], v[216:217], v[2:3]
	v_fma_f64 v[22:23], v[214:215], v[2:3], -v[22:23]
	v_add_f64 v[12:13], v[12:13], v[4:5]
	ds_read_b128 v[2:5], v28 offset:1632
	v_add_f64 v[10:11], v[10:11], v[22:23]
	s_waitcnt vmcnt(0) lgkmcnt(0)
	v_mul_f64 v[22:23], v[4:5], v[204:205]
	v_fma_f64 v[22:23], v[2:3], v[202:203], -v[22:23]
	v_mul_f64 v[2:3], v[2:3], v[204:205]
	v_fmac_f64_e32 v[2:3], v[4:5], v[202:203]
	scratch_load_dwordx4 v[202:205], off, s15
	v_add_f64 v[12:13], v[12:13], v[2:3]
	ds_read_b128 v[2:5], v28 offset:1648
	v_add_f64 v[10:11], v[10:11], v[22:23]
	s_add_i32 s15, s14, 0x280
	s_addk_i32 s14, 0x290
	s_waitcnt vmcnt(0) lgkmcnt(0)
	v_mul_f64 v[22:23], v[4:5], v[204:205]
	v_fma_f64 v[22:23], v[2:3], v[202:203], -v[22:23]
	v_mul_f64 v[2:3], v[2:3], v[204:205]
	v_fmac_f64_e32 v[2:3], v[4:5], v[202:203]
	scratch_load_dwordx4 v[202:205], off, s15
	v_add_f64 v[12:13], v[12:13], v[2:3]
	ds_read_b128 v[2:5], v28 offset:1664
	v_add_f64 v[10:11], v[10:11], v[22:23]
	s_waitcnt vmcnt(0) lgkmcnt(0)
	v_mul_f64 v[22:23], v[4:5], v[204:205]
	v_fma_f64 v[22:23], v[2:3], v[202:203], -v[22:23]
	v_mul_f64 v[2:3], v[2:3], v[204:205]
	v_fmac_f64_e32 v[2:3], v[4:5], v[202:203]
	scratch_load_dwordx4 v[202:205], off, s14
	v_add_f64 v[12:13], v[12:13], v[2:3]
	ds_read_b128 v[2:5], v28 offset:1680
	v_add_f64 v[10:11], v[10:11], v[22:23]
	s_add_i32 s14, s13, 8
	v_cmp_eq_u32_e32 vcc, s14, v7
	s_add_i32 s13, s13, 42
	s_or_b64 s[10:11], vcc, s[10:11]
	s_waitcnt vmcnt(0) lgkmcnt(0)
	v_mul_f64 v[22:23], v[4:5], v[204:205]
	v_mul_f64 v[28:29], v[2:3], v[204:205]
	v_fma_f64 v[22:23], v[2:3], v[202:203], -v[22:23]
	v_fmac_f64_e32 v[28:29], v[4:5], v[202:203]
	v_add_f64 v[2:3], v[10:11], v[22:23]
	v_add_f64 v[4:5], v[12:13], v[28:29]
	v_mov_b32_e32 v202, s13
	s_mov_b32 s13, s14
	s_andn2_b64 exec, exec, s[10:11]
	s_cbranch_execnz .LBB63_403
; %bb.404:
	s_or_b64 exec, exec, s[10:11]
.LBB63_405:
	s_or_b64 exec, exec, s[0:1]
	v_and_b32_e32 v6, 7, v6
	v_cmp_ne_u32_e32 vcc, 0, v6
	s_and_saveexec_b64 s[0:1], vcc
	s_cbranch_execz .LBB63_409
; %bb.406:
	v_lshlrev_b32_e32 v10, 4, v202
	v_add_u32_e32 v7, 0x400, v10
	v_add_u32_e32 v201, 0, v10
	s_mov_b64 s[10:11], 0
.LBB63_407:                             ; =>This Inner Loop Header: Depth=1
	scratch_load_dwordx4 v[202:205], v201, off
	ds_read_b128 v[206:209], v7
	v_add_u32_e32 v6, -1, v6
	v_cmp_eq_u32_e32 vcc, 0, v6
	v_add_u32_e32 v7, 16, v7
	v_add_u32_e32 v201, 16, v201
	s_or_b64 s[10:11], vcc, s[10:11]
	s_waitcnt vmcnt(0) lgkmcnt(0)
	v_mul_f64 v[10:11], v[208:209], v[204:205]
	v_mul_f64 v[12:13], v[206:207], v[204:205]
	v_fma_f64 v[10:11], v[206:207], v[202:203], -v[10:11]
	v_fmac_f64_e32 v[12:13], v[208:209], v[202:203]
	v_add_f64 v[2:3], v[2:3], v[10:11]
	v_add_f64 v[4:5], v[4:5], v[12:13]
	s_andn2_b64 exec, exec, s[10:11]
	s_cbranch_execnz .LBB63_407
; %bb.408:
	s_or_b64 exec, exec, s[10:11]
.LBB63_409:
	s_or_b64 exec, exec, s[0:1]
.LBB63_410:
	s_or_b64 exec, exec, s[8:9]
	v_mov_b32_e32 v6, 0
	ds_read_b128 v[202:205], v6 offset:528
	s_waitcnt lgkmcnt(0)
	v_mul_f64 v[6:7], v[4:5], v[204:205]
	v_mul_f64 v[206:207], v[2:3], v[204:205]
	v_fma_f64 v[204:205], v[2:3], v[202:203], -v[6:7]
	v_fmac_f64_e32 v[206:207], v[4:5], v[202:203]
	scratch_store_dwordx4 off, v[204:207], off offset:528
.LBB63_411:
	s_or_b64 exec, exec, s[4:5]
	scratch_load_dwordx4 v[2:5], v169, off
	v_cmp_lt_u32_e64 s[0:1], 32, v0
	s_waitcnt vmcnt(0)
	ds_write_b128 v9, v[2:5]
	s_waitcnt lgkmcnt(0)
	; wave barrier
	s_waitcnt lgkmcnt(0)
	s_and_saveexec_b64 s[4:5], s[0:1]
	s_cbranch_execz .LBB63_425
; %bb.412:
	ds_read_b128 v[2:5], v9
	s_andn2_b64 vcc, exec, s[6:7]
	s_cbranch_vccnz .LBB63_414
; %bb.413:
	scratch_load_dwordx4 v[202:205], v8, off
	s_waitcnt vmcnt(0) lgkmcnt(0)
	v_mul_f64 v[10:11], v[2:3], v[204:205]
	v_mul_f64 v[6:7], v[4:5], v[204:205]
	v_fmac_f64_e32 v[10:11], v[4:5], v[202:203]
	v_fma_f64 v[2:3], v[2:3], v[202:203], -v[6:7]
	v_mov_b64_e32 v[4:5], v[10:11]
.LBB63_414:
	s_and_saveexec_b64 s[8:9], s[2:3]
	s_cbranch_execz .LBB63_424
; %bb.415:
	v_subrev_u32_e32 v7, 34, v0
	v_subrev_u32_e32 v6, 33, v0
	v_cmp_lt_u32_e32 vcc, 6, v7
	v_mov_b32_e32 v202, 33
	s_and_saveexec_b64 s[2:3], vcc
	s_cbranch_execz .LBB63_419
; %bb.416:
	v_and_b32_e32 v7, -8, v6
	s_mov_b32 s12, 0
	s_mov_b64 s[10:11], 0
	v_mov_b32_e32 v201, 0
	s_mov_b32 s13, 0
.LBB63_417:                             ; =>This Inner Loop Header: Depth=1
	v_readfirstlane_b32 s14, v201
	s_add_i32 s14, s14, s12
	s_add_i32 s15, s14, 0x210
	v_mov_b32_e32 v28, s12
	ds_read_b128 v[202:205], v28 offset:1552
	ds_read_b128 v[206:209], v28 offset:1568
	;; [unrolled: 1-line block ×4, first 2 shown]
	scratch_load_dwordx4 v[218:221], off, s15
	s_add_i32 s15, s14, 0x220
	s_addk_i32 s12, 0x80
	s_waitcnt vmcnt(0) lgkmcnt(3)
	v_mul_f64 v[10:11], v[204:205], v[220:221]
	v_mul_f64 v[12:13], v[202:203], v[220:221]
	v_fma_f64 v[10:11], v[202:203], v[218:219], -v[10:11]
	v_fmac_f64_e32 v[12:13], v[204:205], v[218:219]
	v_add_f64 v[10:11], v[2:3], v[10:11]
	v_add_f64 v[12:13], v[4:5], v[12:13]
	scratch_load_dwordx4 v[2:5], off, s15
	s_add_i32 s15, s14, 0x230
	s_waitcnt vmcnt(0) lgkmcnt(2)
	v_mul_f64 v[22:23], v[208:209], v[4:5]
	v_mul_f64 v[4:5], v[206:207], v[4:5]
	v_fmac_f64_e32 v[4:5], v[208:209], v[2:3]
	v_fma_f64 v[22:23], v[206:207], v[2:3], -v[22:23]
	v_add_f64 v[12:13], v[12:13], v[4:5]
	scratch_load_dwordx4 v[2:5], off, s15
	v_add_f64 v[10:11], v[10:11], v[22:23]
	s_add_i32 s15, s14, 0x240
	s_waitcnt vmcnt(0) lgkmcnt(1)
	v_mul_f64 v[22:23], v[212:213], v[4:5]
	v_mul_f64 v[4:5], v[210:211], v[4:5]
	v_fmac_f64_e32 v[4:5], v[212:213], v[2:3]
	v_fma_f64 v[22:23], v[210:211], v[2:3], -v[22:23]
	v_add_f64 v[12:13], v[12:13], v[4:5]
	scratch_load_dwordx4 v[2:5], off, s15
	s_add_i32 s15, s14, 0x250
	scratch_load_dwordx4 v[202:205], off, s15
	v_add_f64 v[10:11], v[10:11], v[22:23]
	s_add_i32 s15, s14, 0x260
	s_waitcnt vmcnt(1) lgkmcnt(0)
	v_mul_f64 v[22:23], v[216:217], v[4:5]
	v_mul_f64 v[4:5], v[214:215], v[4:5]
	v_fmac_f64_e32 v[4:5], v[216:217], v[2:3]
	v_fma_f64 v[22:23], v[214:215], v[2:3], -v[22:23]
	v_add_f64 v[12:13], v[12:13], v[4:5]
	ds_read_b128 v[2:5], v28 offset:1616
	v_add_f64 v[10:11], v[10:11], v[22:23]
	s_waitcnt vmcnt(0) lgkmcnt(0)
	v_mul_f64 v[22:23], v[4:5], v[204:205]
	v_fma_f64 v[22:23], v[2:3], v[202:203], -v[22:23]
	v_mul_f64 v[2:3], v[2:3], v[204:205]
	v_fmac_f64_e32 v[2:3], v[4:5], v[202:203]
	scratch_load_dwordx4 v[202:205], off, s15
	v_add_f64 v[12:13], v[12:13], v[2:3]
	ds_read_b128 v[2:5], v28 offset:1632
	v_add_f64 v[10:11], v[10:11], v[22:23]
	s_add_i32 s15, s14, 0x270
	s_addk_i32 s14, 0x280
	s_waitcnt vmcnt(0) lgkmcnt(0)
	v_mul_f64 v[22:23], v[4:5], v[204:205]
	v_fma_f64 v[22:23], v[2:3], v[202:203], -v[22:23]
	v_mul_f64 v[2:3], v[2:3], v[204:205]
	v_fmac_f64_e32 v[2:3], v[4:5], v[202:203]
	scratch_load_dwordx4 v[202:205], off, s15
	v_add_f64 v[12:13], v[12:13], v[2:3]
	ds_read_b128 v[2:5], v28 offset:1648
	v_add_f64 v[10:11], v[10:11], v[22:23]
	s_waitcnt vmcnt(0) lgkmcnt(0)
	v_mul_f64 v[22:23], v[4:5], v[204:205]
	v_fma_f64 v[22:23], v[2:3], v[202:203], -v[22:23]
	v_mul_f64 v[2:3], v[2:3], v[204:205]
	v_fmac_f64_e32 v[2:3], v[4:5], v[202:203]
	scratch_load_dwordx4 v[202:205], off, s14
	v_add_f64 v[12:13], v[12:13], v[2:3]
	ds_read_b128 v[2:5], v28 offset:1664
	v_add_f64 v[10:11], v[10:11], v[22:23]
	s_add_i32 s14, s13, 8
	v_cmp_eq_u32_e32 vcc, s14, v7
	s_add_i32 s13, s13, 41
	s_or_b64 s[10:11], vcc, s[10:11]
	s_waitcnt vmcnt(0) lgkmcnt(0)
	v_mul_f64 v[22:23], v[4:5], v[204:205]
	v_mul_f64 v[28:29], v[2:3], v[204:205]
	v_fma_f64 v[22:23], v[2:3], v[202:203], -v[22:23]
	v_fmac_f64_e32 v[28:29], v[4:5], v[202:203]
	v_add_f64 v[2:3], v[10:11], v[22:23]
	v_add_f64 v[4:5], v[12:13], v[28:29]
	v_mov_b32_e32 v202, s13
	s_mov_b32 s13, s14
	s_andn2_b64 exec, exec, s[10:11]
	s_cbranch_execnz .LBB63_417
; %bb.418:
	s_or_b64 exec, exec, s[10:11]
.LBB63_419:
	s_or_b64 exec, exec, s[2:3]
	v_and_b32_e32 v6, 7, v6
	v_cmp_ne_u32_e32 vcc, 0, v6
	s_and_saveexec_b64 s[2:3], vcc
	s_cbranch_execz .LBB63_423
; %bb.420:
	v_lshlrev_b32_e32 v10, 4, v202
	v_add_u32_e32 v7, 0x400, v10
	v_add_u32_e32 v201, 0, v10
	s_mov_b64 s[10:11], 0
.LBB63_421:                             ; =>This Inner Loop Header: Depth=1
	scratch_load_dwordx4 v[202:205], v201, off
	ds_read_b128 v[206:209], v7
	v_add_u32_e32 v6, -1, v6
	v_cmp_eq_u32_e32 vcc, 0, v6
	v_add_u32_e32 v7, 16, v7
	v_add_u32_e32 v201, 16, v201
	s_or_b64 s[10:11], vcc, s[10:11]
	s_waitcnt vmcnt(0) lgkmcnt(0)
	v_mul_f64 v[10:11], v[208:209], v[204:205]
	v_mul_f64 v[12:13], v[206:207], v[204:205]
	v_fma_f64 v[10:11], v[206:207], v[202:203], -v[10:11]
	v_fmac_f64_e32 v[12:13], v[208:209], v[202:203]
	v_add_f64 v[2:3], v[2:3], v[10:11]
	v_add_f64 v[4:5], v[4:5], v[12:13]
	s_andn2_b64 exec, exec, s[10:11]
	s_cbranch_execnz .LBB63_421
; %bb.422:
	s_or_b64 exec, exec, s[10:11]
.LBB63_423:
	s_or_b64 exec, exec, s[2:3]
.LBB63_424:
	s_or_b64 exec, exec, s[8:9]
	v_mov_b32_e32 v6, 0
	ds_read_b128 v[202:205], v6 offset:512
	s_waitcnt lgkmcnt(0)
	v_mul_f64 v[6:7], v[4:5], v[204:205]
	v_mul_f64 v[206:207], v[2:3], v[204:205]
	v_fma_f64 v[204:205], v[2:3], v[202:203], -v[6:7]
	v_fmac_f64_e32 v[206:207], v[4:5], v[202:203]
	scratch_store_dwordx4 off, v[204:207], off offset:512
.LBB63_425:
	s_or_b64 exec, exec, s[4:5]
	scratch_load_dwordx4 v[2:5], v170, off
	v_cmp_lt_u32_e64 s[2:3], 31, v0
	s_waitcnt vmcnt(0)
	ds_write_b128 v9, v[2:5]
	s_waitcnt lgkmcnt(0)
	; wave barrier
	s_waitcnt lgkmcnt(0)
	s_and_saveexec_b64 s[4:5], s[2:3]
	s_cbranch_execz .LBB63_439
; %bb.426:
	ds_read_b128 v[2:5], v9
	s_andn2_b64 vcc, exec, s[6:7]
	s_cbranch_vccnz .LBB63_428
; %bb.427:
	scratch_load_dwordx4 v[202:205], v8, off
	s_waitcnt vmcnt(0) lgkmcnt(0)
	v_mul_f64 v[10:11], v[2:3], v[204:205]
	v_mul_f64 v[6:7], v[4:5], v[204:205]
	v_fmac_f64_e32 v[10:11], v[4:5], v[202:203]
	v_fma_f64 v[2:3], v[2:3], v[202:203], -v[6:7]
	v_mov_b64_e32 v[4:5], v[10:11]
.LBB63_428:
	s_and_saveexec_b64 s[8:9], s[0:1]
	s_cbranch_execz .LBB63_438
; %bb.429:
	v_subrev_u32_e32 v6, 33, v0
	v_cmp_lt_u32_e32 vcc, 6, v6
	v_mov_b32_e32 v6, 32
	s_and_saveexec_b64 s[0:1], vcc
	s_cbranch_execz .LBB63_433
; %bb.430:
	v_and_b32_e32 v6, 56, v0
	s_mov_b32 s12, 32
	s_mov_b32 s13, 0
	s_mov_b64 s[10:11], 0
	v_mov_b32_e32 v7, 0
.LBB63_431:                             ; =>This Inner Loop Header: Depth=1
	s_nop 0
	v_readfirstlane_b32 s14, v7
	s_add_i32 s14, s14, s13
	s_add_i32 s15, s14, 0x200
	v_mov_b32_e32 v28, s13
	ds_read_b128 v[202:205], v28 offset:1536
	ds_read_b128 v[206:209], v28 offset:1552
	;; [unrolled: 1-line block ×4, first 2 shown]
	scratch_load_dwordx4 v[218:221], off, s15
	s_add_i32 s15, s14, 0x210
	s_add_i32 s12, s12, 8
	s_addk_i32 s13, 0x80
	v_cmp_eq_u32_e32 vcc, s12, v6
	s_waitcnt vmcnt(0) lgkmcnt(3)
	v_mul_f64 v[10:11], v[204:205], v[220:221]
	v_mul_f64 v[12:13], v[202:203], v[220:221]
	v_fma_f64 v[10:11], v[202:203], v[218:219], -v[10:11]
	v_fmac_f64_e32 v[12:13], v[204:205], v[218:219]
	v_add_f64 v[10:11], v[2:3], v[10:11]
	v_add_f64 v[12:13], v[4:5], v[12:13]
	scratch_load_dwordx4 v[2:5], off, s15
	s_add_i32 s15, s14, 0x220
	s_waitcnt vmcnt(0) lgkmcnt(2)
	v_mul_f64 v[22:23], v[208:209], v[4:5]
	v_mul_f64 v[4:5], v[206:207], v[4:5]
	v_fmac_f64_e32 v[4:5], v[208:209], v[2:3]
	v_fma_f64 v[22:23], v[206:207], v[2:3], -v[22:23]
	v_add_f64 v[12:13], v[12:13], v[4:5]
	scratch_load_dwordx4 v[2:5], off, s15
	v_add_f64 v[10:11], v[10:11], v[22:23]
	s_add_i32 s15, s14, 0x230
	s_waitcnt vmcnt(0) lgkmcnt(1)
	v_mul_f64 v[22:23], v[212:213], v[4:5]
	v_mul_f64 v[4:5], v[210:211], v[4:5]
	v_fmac_f64_e32 v[4:5], v[212:213], v[2:3]
	v_fma_f64 v[22:23], v[210:211], v[2:3], -v[22:23]
	v_add_f64 v[12:13], v[12:13], v[4:5]
	scratch_load_dwordx4 v[2:5], off, s15
	s_add_i32 s15, s14, 0x240
	scratch_load_dwordx4 v[202:205], off, s15
	v_add_f64 v[10:11], v[10:11], v[22:23]
	s_add_i32 s15, s14, 0x250
	s_waitcnt vmcnt(1) lgkmcnt(0)
	v_mul_f64 v[22:23], v[216:217], v[4:5]
	v_mul_f64 v[4:5], v[214:215], v[4:5]
	v_fmac_f64_e32 v[4:5], v[216:217], v[2:3]
	v_fma_f64 v[22:23], v[214:215], v[2:3], -v[22:23]
	v_add_f64 v[12:13], v[12:13], v[4:5]
	ds_read_b128 v[2:5], v28 offset:1600
	v_add_f64 v[10:11], v[10:11], v[22:23]
	s_waitcnt vmcnt(0) lgkmcnt(0)
	v_mul_f64 v[22:23], v[4:5], v[204:205]
	v_fma_f64 v[22:23], v[2:3], v[202:203], -v[22:23]
	v_mul_f64 v[2:3], v[2:3], v[204:205]
	v_fmac_f64_e32 v[2:3], v[4:5], v[202:203]
	scratch_load_dwordx4 v[202:205], off, s15
	v_add_f64 v[12:13], v[12:13], v[2:3]
	ds_read_b128 v[2:5], v28 offset:1616
	v_add_f64 v[10:11], v[10:11], v[22:23]
	s_add_i32 s15, s14, 0x260
	s_addk_i32 s14, 0x270
	s_or_b64 s[10:11], vcc, s[10:11]
	s_waitcnt vmcnt(0) lgkmcnt(0)
	v_mul_f64 v[22:23], v[4:5], v[204:205]
	v_fma_f64 v[22:23], v[2:3], v[202:203], -v[22:23]
	v_mul_f64 v[2:3], v[2:3], v[204:205]
	v_fmac_f64_e32 v[2:3], v[4:5], v[202:203]
	scratch_load_dwordx4 v[202:205], off, s15
	v_add_f64 v[12:13], v[12:13], v[2:3]
	ds_read_b128 v[2:5], v28 offset:1632
	v_add_f64 v[10:11], v[10:11], v[22:23]
	s_waitcnt vmcnt(0) lgkmcnt(0)
	v_mul_f64 v[22:23], v[4:5], v[204:205]
	v_fma_f64 v[22:23], v[2:3], v[202:203], -v[22:23]
	v_mul_f64 v[2:3], v[2:3], v[204:205]
	v_fmac_f64_e32 v[2:3], v[4:5], v[202:203]
	scratch_load_dwordx4 v[202:205], off, s14
	v_add_f64 v[12:13], v[12:13], v[2:3]
	ds_read_b128 v[2:5], v28 offset:1648
	v_add_f64 v[10:11], v[10:11], v[22:23]
	s_waitcnt vmcnt(0) lgkmcnt(0)
	v_mul_f64 v[22:23], v[4:5], v[204:205]
	v_mul_f64 v[28:29], v[2:3], v[204:205]
	v_fma_f64 v[22:23], v[2:3], v[202:203], -v[22:23]
	v_fmac_f64_e32 v[28:29], v[4:5], v[202:203]
	v_add_f64 v[2:3], v[10:11], v[22:23]
	v_add_f64 v[4:5], v[12:13], v[28:29]
	s_andn2_b64 exec, exec, s[10:11]
	s_cbranch_execnz .LBB63_431
; %bb.432:
	s_or_b64 exec, exec, s[10:11]
.LBB63_433:
	s_or_b64 exec, exec, s[0:1]
	v_and_b32_e32 v7, 7, v0
	v_cmp_ne_u32_e32 vcc, 0, v7
	s_and_saveexec_b64 s[0:1], vcc
	s_cbranch_execz .LBB63_437
; %bb.434:
	v_lshlrev_b32_e32 v10, 4, v6
	v_or_b32_e32 v6, 0x400, v10
	v_add_u32_e32 v201, 0, v10
	s_mov_b64 s[10:11], 0
.LBB63_435:                             ; =>This Inner Loop Header: Depth=1
	scratch_load_dwordx4 v[202:205], v201, off
	ds_read_b128 v[206:209], v6
	v_add_u32_e32 v7, -1, v7
	v_cmp_eq_u32_e32 vcc, 0, v7
	v_add_u32_e32 v6, 16, v6
	v_add_u32_e32 v201, 16, v201
	s_or_b64 s[10:11], vcc, s[10:11]
	s_waitcnt vmcnt(0) lgkmcnt(0)
	v_mul_f64 v[10:11], v[208:209], v[204:205]
	v_mul_f64 v[12:13], v[206:207], v[204:205]
	v_fma_f64 v[10:11], v[206:207], v[202:203], -v[10:11]
	v_fmac_f64_e32 v[12:13], v[208:209], v[202:203]
	v_add_f64 v[2:3], v[2:3], v[10:11]
	v_add_f64 v[4:5], v[4:5], v[12:13]
	s_andn2_b64 exec, exec, s[10:11]
	s_cbranch_execnz .LBB63_435
; %bb.436:
	s_or_b64 exec, exec, s[10:11]
.LBB63_437:
	s_or_b64 exec, exec, s[0:1]
.LBB63_438:
	s_or_b64 exec, exec, s[8:9]
	v_mov_b32_e32 v6, 0
	ds_read_b128 v[202:205], v6 offset:496
	s_waitcnt lgkmcnt(0)
	v_mul_f64 v[6:7], v[4:5], v[204:205]
	v_mul_f64 v[206:207], v[2:3], v[204:205]
	v_fma_f64 v[204:205], v[2:3], v[202:203], -v[6:7]
	v_fmac_f64_e32 v[206:207], v[4:5], v[202:203]
	scratch_store_dwordx4 off, v[204:207], off offset:496
.LBB63_439:
	s_or_b64 exec, exec, s[4:5]
	scratch_load_dwordx4 v[2:5], v171, off
	v_cmp_lt_u32_e64 s[0:1], 30, v0
	s_waitcnt vmcnt(0)
	ds_write_b128 v9, v[2:5]
	s_waitcnt lgkmcnt(0)
	; wave barrier
	s_waitcnt lgkmcnt(0)
	s_and_saveexec_b64 s[4:5], s[0:1]
	s_cbranch_execz .LBB63_453
; %bb.440:
	ds_read_b128 v[2:5], v9
	s_andn2_b64 vcc, exec, s[6:7]
	s_cbranch_vccnz .LBB63_442
; %bb.441:
	scratch_load_dwordx4 v[202:205], v8, off
	s_waitcnt vmcnt(0) lgkmcnt(0)
	v_mul_f64 v[10:11], v[2:3], v[204:205]
	v_mul_f64 v[6:7], v[4:5], v[204:205]
	v_fmac_f64_e32 v[10:11], v[4:5], v[202:203]
	v_fma_f64 v[2:3], v[2:3], v[202:203], -v[6:7]
	v_mov_b64_e32 v[4:5], v[10:11]
.LBB63_442:
	s_and_saveexec_b64 s[8:9], s[2:3]
	s_cbranch_execz .LBB63_452
; %bb.443:
	v_subrev_u32_e32 v7, 32, v0
	v_subrev_u32_e32 v6, 31, v0
	v_cmp_lt_u32_e32 vcc, 6, v7
	v_mov_b32_e32 v202, 31
	s_and_saveexec_b64 s[2:3], vcc
	s_cbranch_execz .LBB63_447
; %bb.444:
	v_and_b32_e32 v7, -8, v6
	s_mov_b32 s12, 0
	s_mov_b64 s[10:11], 0
	v_mov_b32_e32 v201, 0
	s_mov_b32 s13, 0
.LBB63_445:                             ; =>This Inner Loop Header: Depth=1
	v_readfirstlane_b32 s14, v201
	s_add_i32 s14, s14, s12
	s_add_i32 s15, s14, 0x1f0
	v_mov_b32_e32 v28, s12
	ds_read_b128 v[202:205], v28 offset:1520
	ds_read_b128 v[206:209], v28 offset:1536
	;; [unrolled: 1-line block ×4, first 2 shown]
	scratch_load_dwordx4 v[218:221], off, s15
	s_add_i32 s15, s14, 0x200
	s_addk_i32 s12, 0x80
	s_waitcnt vmcnt(0) lgkmcnt(3)
	v_mul_f64 v[10:11], v[204:205], v[220:221]
	v_mul_f64 v[12:13], v[202:203], v[220:221]
	v_fma_f64 v[10:11], v[202:203], v[218:219], -v[10:11]
	v_fmac_f64_e32 v[12:13], v[204:205], v[218:219]
	v_add_f64 v[10:11], v[2:3], v[10:11]
	v_add_f64 v[12:13], v[4:5], v[12:13]
	scratch_load_dwordx4 v[2:5], off, s15
	s_add_i32 s15, s14, 0x210
	s_waitcnt vmcnt(0) lgkmcnt(2)
	v_mul_f64 v[22:23], v[208:209], v[4:5]
	v_mul_f64 v[4:5], v[206:207], v[4:5]
	v_fmac_f64_e32 v[4:5], v[208:209], v[2:3]
	v_fma_f64 v[22:23], v[206:207], v[2:3], -v[22:23]
	v_add_f64 v[12:13], v[12:13], v[4:5]
	scratch_load_dwordx4 v[2:5], off, s15
	v_add_f64 v[10:11], v[10:11], v[22:23]
	s_add_i32 s15, s14, 0x220
	s_waitcnt vmcnt(0) lgkmcnt(1)
	v_mul_f64 v[22:23], v[212:213], v[4:5]
	v_mul_f64 v[4:5], v[210:211], v[4:5]
	v_fmac_f64_e32 v[4:5], v[212:213], v[2:3]
	v_fma_f64 v[22:23], v[210:211], v[2:3], -v[22:23]
	v_add_f64 v[12:13], v[12:13], v[4:5]
	scratch_load_dwordx4 v[2:5], off, s15
	s_add_i32 s15, s14, 0x230
	scratch_load_dwordx4 v[202:205], off, s15
	v_add_f64 v[10:11], v[10:11], v[22:23]
	s_add_i32 s15, s14, 0x240
	s_waitcnt vmcnt(1) lgkmcnt(0)
	v_mul_f64 v[22:23], v[216:217], v[4:5]
	v_mul_f64 v[4:5], v[214:215], v[4:5]
	v_fmac_f64_e32 v[4:5], v[216:217], v[2:3]
	v_fma_f64 v[22:23], v[214:215], v[2:3], -v[22:23]
	v_add_f64 v[12:13], v[12:13], v[4:5]
	ds_read_b128 v[2:5], v28 offset:1584
	v_add_f64 v[10:11], v[10:11], v[22:23]
	s_waitcnt vmcnt(0) lgkmcnt(0)
	v_mul_f64 v[22:23], v[4:5], v[204:205]
	v_fma_f64 v[22:23], v[2:3], v[202:203], -v[22:23]
	v_mul_f64 v[2:3], v[2:3], v[204:205]
	v_fmac_f64_e32 v[2:3], v[4:5], v[202:203]
	scratch_load_dwordx4 v[202:205], off, s15
	v_add_f64 v[12:13], v[12:13], v[2:3]
	ds_read_b128 v[2:5], v28 offset:1600
	v_add_f64 v[10:11], v[10:11], v[22:23]
	s_add_i32 s15, s14, 0x250
	s_addk_i32 s14, 0x260
	s_waitcnt vmcnt(0) lgkmcnt(0)
	v_mul_f64 v[22:23], v[4:5], v[204:205]
	v_fma_f64 v[22:23], v[2:3], v[202:203], -v[22:23]
	v_mul_f64 v[2:3], v[2:3], v[204:205]
	v_fmac_f64_e32 v[2:3], v[4:5], v[202:203]
	scratch_load_dwordx4 v[202:205], off, s15
	v_add_f64 v[12:13], v[12:13], v[2:3]
	ds_read_b128 v[2:5], v28 offset:1616
	v_add_f64 v[10:11], v[10:11], v[22:23]
	s_waitcnt vmcnt(0) lgkmcnt(0)
	v_mul_f64 v[22:23], v[4:5], v[204:205]
	v_fma_f64 v[22:23], v[2:3], v[202:203], -v[22:23]
	v_mul_f64 v[2:3], v[2:3], v[204:205]
	v_fmac_f64_e32 v[2:3], v[4:5], v[202:203]
	scratch_load_dwordx4 v[202:205], off, s14
	v_add_f64 v[12:13], v[12:13], v[2:3]
	ds_read_b128 v[2:5], v28 offset:1632
	v_add_f64 v[10:11], v[10:11], v[22:23]
	s_add_i32 s14, s13, 8
	v_cmp_eq_u32_e32 vcc, s14, v7
	s_add_i32 s13, s13, 39
	s_or_b64 s[10:11], vcc, s[10:11]
	s_waitcnt vmcnt(0) lgkmcnt(0)
	v_mul_f64 v[22:23], v[4:5], v[204:205]
	v_mul_f64 v[28:29], v[2:3], v[204:205]
	v_fma_f64 v[22:23], v[2:3], v[202:203], -v[22:23]
	v_fmac_f64_e32 v[28:29], v[4:5], v[202:203]
	v_add_f64 v[2:3], v[10:11], v[22:23]
	v_add_f64 v[4:5], v[12:13], v[28:29]
	v_mov_b32_e32 v202, s13
	s_mov_b32 s13, s14
	s_andn2_b64 exec, exec, s[10:11]
	s_cbranch_execnz .LBB63_445
; %bb.446:
	s_or_b64 exec, exec, s[10:11]
.LBB63_447:
	s_or_b64 exec, exec, s[2:3]
	v_and_b32_e32 v6, 7, v6
	v_cmp_ne_u32_e32 vcc, 0, v6
	s_and_saveexec_b64 s[2:3], vcc
	s_cbranch_execz .LBB63_451
; %bb.448:
	v_lshlrev_b32_e32 v10, 4, v202
	v_add_u32_e32 v7, 0x400, v10
	v_add_u32_e32 v201, 0, v10
	s_mov_b64 s[10:11], 0
.LBB63_449:                             ; =>This Inner Loop Header: Depth=1
	scratch_load_dwordx4 v[202:205], v201, off
	ds_read_b128 v[206:209], v7
	v_add_u32_e32 v6, -1, v6
	v_cmp_eq_u32_e32 vcc, 0, v6
	v_add_u32_e32 v7, 16, v7
	v_add_u32_e32 v201, 16, v201
	s_or_b64 s[10:11], vcc, s[10:11]
	s_waitcnt vmcnt(0) lgkmcnt(0)
	v_mul_f64 v[10:11], v[208:209], v[204:205]
	v_mul_f64 v[12:13], v[206:207], v[204:205]
	v_fma_f64 v[10:11], v[206:207], v[202:203], -v[10:11]
	v_fmac_f64_e32 v[12:13], v[208:209], v[202:203]
	v_add_f64 v[2:3], v[2:3], v[10:11]
	v_add_f64 v[4:5], v[4:5], v[12:13]
	s_andn2_b64 exec, exec, s[10:11]
	s_cbranch_execnz .LBB63_449
; %bb.450:
	s_or_b64 exec, exec, s[10:11]
.LBB63_451:
	s_or_b64 exec, exec, s[2:3]
.LBB63_452:
	s_or_b64 exec, exec, s[8:9]
	v_mov_b32_e32 v6, 0
	ds_read_b128 v[202:205], v6 offset:480
	s_waitcnt lgkmcnt(0)
	v_mul_f64 v[6:7], v[4:5], v[204:205]
	v_mul_f64 v[206:207], v[2:3], v[204:205]
	v_fma_f64 v[204:205], v[2:3], v[202:203], -v[6:7]
	v_fmac_f64_e32 v[206:207], v[4:5], v[202:203]
	scratch_store_dwordx4 off, v[204:207], off offset:480
.LBB63_453:
	s_or_b64 exec, exec, s[4:5]
	scratch_load_dwordx4 v[2:5], v172, off
	v_cmp_lt_u32_e64 s[2:3], 29, v0
	s_waitcnt vmcnt(0)
	ds_write_b128 v9, v[2:5]
	s_waitcnt lgkmcnt(0)
	; wave barrier
	s_waitcnt lgkmcnt(0)
	s_and_saveexec_b64 s[4:5], s[2:3]
	s_cbranch_execz .LBB63_467
; %bb.454:
	ds_read_b128 v[2:5], v9
	s_andn2_b64 vcc, exec, s[6:7]
	s_cbranch_vccnz .LBB63_456
; %bb.455:
	scratch_load_dwordx4 v[202:205], v8, off
	s_waitcnt vmcnt(0) lgkmcnt(0)
	v_mul_f64 v[10:11], v[2:3], v[204:205]
	v_mul_f64 v[6:7], v[4:5], v[204:205]
	v_fmac_f64_e32 v[10:11], v[4:5], v[202:203]
	v_fma_f64 v[2:3], v[2:3], v[202:203], -v[6:7]
	v_mov_b64_e32 v[4:5], v[10:11]
.LBB63_456:
	s_and_saveexec_b64 s[8:9], s[0:1]
	s_cbranch_execz .LBB63_466
; %bb.457:
	v_subrev_u32_e32 v7, 31, v0
	v_subrev_u32_e32 v6, 30, v0
	v_cmp_lt_u32_e32 vcc, 6, v7
	v_mov_b32_e32 v202, 30
	s_and_saveexec_b64 s[0:1], vcc
	s_cbranch_execz .LBB63_461
; %bb.458:
	v_and_b32_e32 v7, -8, v6
	s_mov_b32 s12, 0
	s_mov_b64 s[10:11], 0
	v_mov_b32_e32 v201, 0
	s_mov_b32 s13, 0
.LBB63_459:                             ; =>This Inner Loop Header: Depth=1
	v_readfirstlane_b32 s14, v201
	s_add_i32 s14, s14, s12
	s_add_i32 s15, s14, 0x1e0
	v_mov_b32_e32 v28, s12
	ds_read_b128 v[202:205], v28 offset:1504
	ds_read_b128 v[206:209], v28 offset:1520
	;; [unrolled: 1-line block ×4, first 2 shown]
	scratch_load_dwordx4 v[218:221], off, s15
	s_add_i32 s15, s14, 0x1f0
	s_addk_i32 s12, 0x80
	s_waitcnt vmcnt(0) lgkmcnt(3)
	v_mul_f64 v[10:11], v[204:205], v[220:221]
	v_mul_f64 v[12:13], v[202:203], v[220:221]
	v_fma_f64 v[10:11], v[202:203], v[218:219], -v[10:11]
	v_fmac_f64_e32 v[12:13], v[204:205], v[218:219]
	v_add_f64 v[10:11], v[2:3], v[10:11]
	v_add_f64 v[12:13], v[4:5], v[12:13]
	scratch_load_dwordx4 v[2:5], off, s15
	s_add_i32 s15, s14, 0x200
	s_waitcnt vmcnt(0) lgkmcnt(2)
	v_mul_f64 v[22:23], v[208:209], v[4:5]
	v_mul_f64 v[4:5], v[206:207], v[4:5]
	v_fmac_f64_e32 v[4:5], v[208:209], v[2:3]
	v_fma_f64 v[22:23], v[206:207], v[2:3], -v[22:23]
	v_add_f64 v[12:13], v[12:13], v[4:5]
	scratch_load_dwordx4 v[2:5], off, s15
	v_add_f64 v[10:11], v[10:11], v[22:23]
	s_add_i32 s15, s14, 0x210
	s_waitcnt vmcnt(0) lgkmcnt(1)
	v_mul_f64 v[22:23], v[212:213], v[4:5]
	v_mul_f64 v[4:5], v[210:211], v[4:5]
	v_fmac_f64_e32 v[4:5], v[212:213], v[2:3]
	v_fma_f64 v[22:23], v[210:211], v[2:3], -v[22:23]
	v_add_f64 v[12:13], v[12:13], v[4:5]
	scratch_load_dwordx4 v[2:5], off, s15
	s_add_i32 s15, s14, 0x220
	scratch_load_dwordx4 v[202:205], off, s15
	v_add_f64 v[10:11], v[10:11], v[22:23]
	s_add_i32 s15, s14, 0x230
	s_waitcnt vmcnt(1) lgkmcnt(0)
	v_mul_f64 v[22:23], v[216:217], v[4:5]
	v_mul_f64 v[4:5], v[214:215], v[4:5]
	v_fmac_f64_e32 v[4:5], v[216:217], v[2:3]
	v_fma_f64 v[22:23], v[214:215], v[2:3], -v[22:23]
	v_add_f64 v[12:13], v[12:13], v[4:5]
	ds_read_b128 v[2:5], v28 offset:1568
	v_add_f64 v[10:11], v[10:11], v[22:23]
	s_waitcnt vmcnt(0) lgkmcnt(0)
	v_mul_f64 v[22:23], v[4:5], v[204:205]
	v_fma_f64 v[22:23], v[2:3], v[202:203], -v[22:23]
	v_mul_f64 v[2:3], v[2:3], v[204:205]
	v_fmac_f64_e32 v[2:3], v[4:5], v[202:203]
	scratch_load_dwordx4 v[202:205], off, s15
	v_add_f64 v[12:13], v[12:13], v[2:3]
	ds_read_b128 v[2:5], v28 offset:1584
	v_add_f64 v[10:11], v[10:11], v[22:23]
	s_add_i32 s15, s14, 0x240
	s_addk_i32 s14, 0x250
	s_waitcnt vmcnt(0) lgkmcnt(0)
	v_mul_f64 v[22:23], v[4:5], v[204:205]
	v_fma_f64 v[22:23], v[2:3], v[202:203], -v[22:23]
	v_mul_f64 v[2:3], v[2:3], v[204:205]
	v_fmac_f64_e32 v[2:3], v[4:5], v[202:203]
	scratch_load_dwordx4 v[202:205], off, s15
	v_add_f64 v[12:13], v[12:13], v[2:3]
	ds_read_b128 v[2:5], v28 offset:1600
	v_add_f64 v[10:11], v[10:11], v[22:23]
	s_waitcnt vmcnt(0) lgkmcnt(0)
	v_mul_f64 v[22:23], v[4:5], v[204:205]
	v_fma_f64 v[22:23], v[2:3], v[202:203], -v[22:23]
	v_mul_f64 v[2:3], v[2:3], v[204:205]
	v_fmac_f64_e32 v[2:3], v[4:5], v[202:203]
	scratch_load_dwordx4 v[202:205], off, s14
	v_add_f64 v[12:13], v[12:13], v[2:3]
	ds_read_b128 v[2:5], v28 offset:1616
	v_add_f64 v[10:11], v[10:11], v[22:23]
	s_add_i32 s14, s13, 8
	v_cmp_eq_u32_e32 vcc, s14, v7
	s_add_i32 s13, s13, 38
	s_or_b64 s[10:11], vcc, s[10:11]
	s_waitcnt vmcnt(0) lgkmcnt(0)
	v_mul_f64 v[22:23], v[4:5], v[204:205]
	v_mul_f64 v[28:29], v[2:3], v[204:205]
	v_fma_f64 v[22:23], v[2:3], v[202:203], -v[22:23]
	v_fmac_f64_e32 v[28:29], v[4:5], v[202:203]
	v_add_f64 v[2:3], v[10:11], v[22:23]
	v_add_f64 v[4:5], v[12:13], v[28:29]
	v_mov_b32_e32 v202, s13
	s_mov_b32 s13, s14
	s_andn2_b64 exec, exec, s[10:11]
	s_cbranch_execnz .LBB63_459
; %bb.460:
	s_or_b64 exec, exec, s[10:11]
.LBB63_461:
	s_or_b64 exec, exec, s[0:1]
	v_and_b32_e32 v6, 7, v6
	v_cmp_ne_u32_e32 vcc, 0, v6
	s_and_saveexec_b64 s[0:1], vcc
	s_cbranch_execz .LBB63_465
; %bb.462:
	v_lshlrev_b32_e32 v10, 4, v202
	v_add_u32_e32 v7, 0x400, v10
	v_add_u32_e32 v201, 0, v10
	s_mov_b64 s[10:11], 0
.LBB63_463:                             ; =>This Inner Loop Header: Depth=1
	scratch_load_dwordx4 v[202:205], v201, off
	ds_read_b128 v[206:209], v7
	v_add_u32_e32 v6, -1, v6
	v_cmp_eq_u32_e32 vcc, 0, v6
	v_add_u32_e32 v7, 16, v7
	v_add_u32_e32 v201, 16, v201
	s_or_b64 s[10:11], vcc, s[10:11]
	s_waitcnt vmcnt(0) lgkmcnt(0)
	v_mul_f64 v[10:11], v[208:209], v[204:205]
	v_mul_f64 v[12:13], v[206:207], v[204:205]
	v_fma_f64 v[10:11], v[206:207], v[202:203], -v[10:11]
	v_fmac_f64_e32 v[12:13], v[208:209], v[202:203]
	v_add_f64 v[2:3], v[2:3], v[10:11]
	v_add_f64 v[4:5], v[4:5], v[12:13]
	s_andn2_b64 exec, exec, s[10:11]
	s_cbranch_execnz .LBB63_463
; %bb.464:
	s_or_b64 exec, exec, s[10:11]
.LBB63_465:
	s_or_b64 exec, exec, s[0:1]
.LBB63_466:
	s_or_b64 exec, exec, s[8:9]
	v_mov_b32_e32 v6, 0
	ds_read_b128 v[202:205], v6 offset:464
	s_waitcnt lgkmcnt(0)
	v_mul_f64 v[6:7], v[4:5], v[204:205]
	v_mul_f64 v[206:207], v[2:3], v[204:205]
	v_fma_f64 v[204:205], v[2:3], v[202:203], -v[6:7]
	v_fmac_f64_e32 v[206:207], v[4:5], v[202:203]
	scratch_store_dwordx4 off, v[204:207], off offset:464
.LBB63_467:
	s_or_b64 exec, exec, s[4:5]
	scratch_load_dwordx4 v[2:5], v173, off
	v_cmp_lt_u32_e64 s[0:1], 28, v0
	s_waitcnt vmcnt(0)
	ds_write_b128 v9, v[2:5]
	s_waitcnt lgkmcnt(0)
	; wave barrier
	s_waitcnt lgkmcnt(0)
	s_and_saveexec_b64 s[4:5], s[0:1]
	s_cbranch_execz .LBB63_481
; %bb.468:
	ds_read_b128 v[2:5], v9
	s_andn2_b64 vcc, exec, s[6:7]
	s_cbranch_vccnz .LBB63_470
; %bb.469:
	scratch_load_dwordx4 v[202:205], v8, off
	s_waitcnt vmcnt(0) lgkmcnt(0)
	v_mul_f64 v[10:11], v[2:3], v[204:205]
	v_mul_f64 v[6:7], v[4:5], v[204:205]
	v_fmac_f64_e32 v[10:11], v[4:5], v[202:203]
	v_fma_f64 v[2:3], v[2:3], v[202:203], -v[6:7]
	v_mov_b64_e32 v[4:5], v[10:11]
.LBB63_470:
	s_and_saveexec_b64 s[8:9], s[2:3]
	s_cbranch_execz .LBB63_480
; %bb.471:
	v_subrev_u32_e32 v7, 30, v0
	v_subrev_u32_e32 v6, 29, v0
	v_cmp_lt_u32_e32 vcc, 6, v7
	v_mov_b32_e32 v202, 29
	s_and_saveexec_b64 s[2:3], vcc
	s_cbranch_execz .LBB63_475
; %bb.472:
	v_and_b32_e32 v7, -8, v6
	s_mov_b32 s12, 0
	s_mov_b64 s[10:11], 0
	v_mov_b32_e32 v201, 0
	s_mov_b32 s13, 0
.LBB63_473:                             ; =>This Inner Loop Header: Depth=1
	v_readfirstlane_b32 s14, v201
	s_add_i32 s14, s14, s12
	s_add_i32 s15, s14, 0x1d0
	v_mov_b32_e32 v28, s12
	ds_read_b128 v[202:205], v28 offset:1488
	ds_read_b128 v[206:209], v28 offset:1504
	;; [unrolled: 1-line block ×4, first 2 shown]
	scratch_load_dwordx4 v[218:221], off, s15
	s_add_i32 s15, s14, 0x1e0
	s_addk_i32 s12, 0x80
	s_waitcnt vmcnt(0) lgkmcnt(3)
	v_mul_f64 v[10:11], v[204:205], v[220:221]
	v_mul_f64 v[12:13], v[202:203], v[220:221]
	v_fma_f64 v[10:11], v[202:203], v[218:219], -v[10:11]
	v_fmac_f64_e32 v[12:13], v[204:205], v[218:219]
	v_add_f64 v[10:11], v[2:3], v[10:11]
	v_add_f64 v[12:13], v[4:5], v[12:13]
	scratch_load_dwordx4 v[2:5], off, s15
	s_add_i32 s15, s14, 0x1f0
	s_waitcnt vmcnt(0) lgkmcnt(2)
	v_mul_f64 v[22:23], v[208:209], v[4:5]
	v_mul_f64 v[4:5], v[206:207], v[4:5]
	v_fmac_f64_e32 v[4:5], v[208:209], v[2:3]
	v_fma_f64 v[22:23], v[206:207], v[2:3], -v[22:23]
	v_add_f64 v[12:13], v[12:13], v[4:5]
	scratch_load_dwordx4 v[2:5], off, s15
	v_add_f64 v[10:11], v[10:11], v[22:23]
	s_add_i32 s15, s14, 0x200
	s_waitcnt vmcnt(0) lgkmcnt(1)
	v_mul_f64 v[22:23], v[212:213], v[4:5]
	v_mul_f64 v[4:5], v[210:211], v[4:5]
	v_fmac_f64_e32 v[4:5], v[212:213], v[2:3]
	v_fma_f64 v[22:23], v[210:211], v[2:3], -v[22:23]
	v_add_f64 v[12:13], v[12:13], v[4:5]
	scratch_load_dwordx4 v[2:5], off, s15
	s_add_i32 s15, s14, 0x210
	scratch_load_dwordx4 v[202:205], off, s15
	v_add_f64 v[10:11], v[10:11], v[22:23]
	s_add_i32 s15, s14, 0x220
	s_waitcnt vmcnt(1) lgkmcnt(0)
	v_mul_f64 v[22:23], v[216:217], v[4:5]
	v_mul_f64 v[4:5], v[214:215], v[4:5]
	v_fmac_f64_e32 v[4:5], v[216:217], v[2:3]
	v_fma_f64 v[22:23], v[214:215], v[2:3], -v[22:23]
	v_add_f64 v[12:13], v[12:13], v[4:5]
	ds_read_b128 v[2:5], v28 offset:1552
	v_add_f64 v[10:11], v[10:11], v[22:23]
	s_waitcnt vmcnt(0) lgkmcnt(0)
	v_mul_f64 v[22:23], v[4:5], v[204:205]
	v_fma_f64 v[22:23], v[2:3], v[202:203], -v[22:23]
	v_mul_f64 v[2:3], v[2:3], v[204:205]
	v_fmac_f64_e32 v[2:3], v[4:5], v[202:203]
	scratch_load_dwordx4 v[202:205], off, s15
	v_add_f64 v[12:13], v[12:13], v[2:3]
	ds_read_b128 v[2:5], v28 offset:1568
	v_add_f64 v[10:11], v[10:11], v[22:23]
	s_add_i32 s15, s14, 0x230
	s_addk_i32 s14, 0x240
	s_waitcnt vmcnt(0) lgkmcnt(0)
	v_mul_f64 v[22:23], v[4:5], v[204:205]
	v_fma_f64 v[22:23], v[2:3], v[202:203], -v[22:23]
	v_mul_f64 v[2:3], v[2:3], v[204:205]
	v_fmac_f64_e32 v[2:3], v[4:5], v[202:203]
	scratch_load_dwordx4 v[202:205], off, s15
	v_add_f64 v[12:13], v[12:13], v[2:3]
	ds_read_b128 v[2:5], v28 offset:1584
	v_add_f64 v[10:11], v[10:11], v[22:23]
	s_waitcnt vmcnt(0) lgkmcnt(0)
	v_mul_f64 v[22:23], v[4:5], v[204:205]
	v_fma_f64 v[22:23], v[2:3], v[202:203], -v[22:23]
	v_mul_f64 v[2:3], v[2:3], v[204:205]
	v_fmac_f64_e32 v[2:3], v[4:5], v[202:203]
	scratch_load_dwordx4 v[202:205], off, s14
	v_add_f64 v[12:13], v[12:13], v[2:3]
	ds_read_b128 v[2:5], v28 offset:1600
	v_add_f64 v[10:11], v[10:11], v[22:23]
	s_add_i32 s14, s13, 8
	v_cmp_eq_u32_e32 vcc, s14, v7
	s_add_i32 s13, s13, 37
	s_or_b64 s[10:11], vcc, s[10:11]
	s_waitcnt vmcnt(0) lgkmcnt(0)
	v_mul_f64 v[22:23], v[4:5], v[204:205]
	v_mul_f64 v[28:29], v[2:3], v[204:205]
	v_fma_f64 v[22:23], v[2:3], v[202:203], -v[22:23]
	v_fmac_f64_e32 v[28:29], v[4:5], v[202:203]
	v_add_f64 v[2:3], v[10:11], v[22:23]
	v_add_f64 v[4:5], v[12:13], v[28:29]
	v_mov_b32_e32 v202, s13
	s_mov_b32 s13, s14
	s_andn2_b64 exec, exec, s[10:11]
	s_cbranch_execnz .LBB63_473
; %bb.474:
	s_or_b64 exec, exec, s[10:11]
.LBB63_475:
	s_or_b64 exec, exec, s[2:3]
	v_and_b32_e32 v6, 7, v6
	v_cmp_ne_u32_e32 vcc, 0, v6
	s_and_saveexec_b64 s[2:3], vcc
	s_cbranch_execz .LBB63_479
; %bb.476:
	v_lshlrev_b32_e32 v10, 4, v202
	v_add_u32_e32 v7, 0x400, v10
	v_add_u32_e32 v201, 0, v10
	s_mov_b64 s[10:11], 0
.LBB63_477:                             ; =>This Inner Loop Header: Depth=1
	scratch_load_dwordx4 v[202:205], v201, off
	ds_read_b128 v[206:209], v7
	v_add_u32_e32 v6, -1, v6
	v_cmp_eq_u32_e32 vcc, 0, v6
	v_add_u32_e32 v7, 16, v7
	v_add_u32_e32 v201, 16, v201
	s_or_b64 s[10:11], vcc, s[10:11]
	s_waitcnt vmcnt(0) lgkmcnt(0)
	v_mul_f64 v[10:11], v[208:209], v[204:205]
	v_mul_f64 v[12:13], v[206:207], v[204:205]
	v_fma_f64 v[10:11], v[206:207], v[202:203], -v[10:11]
	v_fmac_f64_e32 v[12:13], v[208:209], v[202:203]
	v_add_f64 v[2:3], v[2:3], v[10:11]
	v_add_f64 v[4:5], v[4:5], v[12:13]
	s_andn2_b64 exec, exec, s[10:11]
	s_cbranch_execnz .LBB63_477
; %bb.478:
	s_or_b64 exec, exec, s[10:11]
.LBB63_479:
	s_or_b64 exec, exec, s[2:3]
.LBB63_480:
	s_or_b64 exec, exec, s[8:9]
	v_mov_b32_e32 v6, 0
	ds_read_b128 v[202:205], v6 offset:448
	s_waitcnt lgkmcnt(0)
	v_mul_f64 v[6:7], v[4:5], v[204:205]
	v_mul_f64 v[206:207], v[2:3], v[204:205]
	v_fma_f64 v[204:205], v[2:3], v[202:203], -v[6:7]
	v_fmac_f64_e32 v[206:207], v[4:5], v[202:203]
	scratch_store_dwordx4 off, v[204:207], off offset:448
.LBB63_481:
	s_or_b64 exec, exec, s[4:5]
	scratch_load_dwordx4 v[2:5], v174, off
	v_cmp_lt_u32_e64 s[2:3], 27, v0
	s_waitcnt vmcnt(0)
	ds_write_b128 v9, v[2:5]
	s_waitcnt lgkmcnt(0)
	; wave barrier
	s_waitcnt lgkmcnt(0)
	s_and_saveexec_b64 s[4:5], s[2:3]
	s_cbranch_execz .LBB63_495
; %bb.482:
	ds_read_b128 v[2:5], v9
	s_andn2_b64 vcc, exec, s[6:7]
	s_cbranch_vccnz .LBB63_484
; %bb.483:
	scratch_load_dwordx4 v[202:205], v8, off
	s_waitcnt vmcnt(0) lgkmcnt(0)
	v_mul_f64 v[10:11], v[2:3], v[204:205]
	v_mul_f64 v[6:7], v[4:5], v[204:205]
	v_fmac_f64_e32 v[10:11], v[4:5], v[202:203]
	v_fma_f64 v[2:3], v[2:3], v[202:203], -v[6:7]
	v_mov_b64_e32 v[4:5], v[10:11]
.LBB63_484:
	s_and_saveexec_b64 s[8:9], s[0:1]
	s_cbranch_execz .LBB63_494
; %bb.485:
	v_subrev_u32_e32 v7, 29, v0
	v_subrev_u32_e32 v6, 28, v0
	v_cmp_lt_u32_e32 vcc, 6, v7
	v_mov_b32_e32 v202, 28
	s_and_saveexec_b64 s[0:1], vcc
	s_cbranch_execz .LBB63_489
; %bb.486:
	v_and_b32_e32 v7, -8, v6
	s_mov_b32 s12, 0
	s_mov_b64 s[10:11], 0
	v_mov_b32_e32 v201, 0
	s_mov_b32 s13, 0
.LBB63_487:                             ; =>This Inner Loop Header: Depth=1
	v_readfirstlane_b32 s14, v201
	s_add_i32 s14, s14, s12
	s_add_i32 s15, s14, 0x1c0
	v_mov_b32_e32 v28, s12
	ds_read_b128 v[202:205], v28 offset:1472
	ds_read_b128 v[206:209], v28 offset:1488
	ds_read_b128 v[210:213], v28 offset:1504
	ds_read_b128 v[214:217], v28 offset:1520
	scratch_load_dwordx4 v[218:221], off, s15
	s_add_i32 s15, s14, 0x1d0
	s_addk_i32 s12, 0x80
	s_waitcnt vmcnt(0) lgkmcnt(3)
	v_mul_f64 v[10:11], v[204:205], v[220:221]
	v_mul_f64 v[12:13], v[202:203], v[220:221]
	v_fma_f64 v[10:11], v[202:203], v[218:219], -v[10:11]
	v_fmac_f64_e32 v[12:13], v[204:205], v[218:219]
	v_add_f64 v[10:11], v[2:3], v[10:11]
	v_add_f64 v[12:13], v[4:5], v[12:13]
	scratch_load_dwordx4 v[2:5], off, s15
	s_add_i32 s15, s14, 0x1e0
	s_waitcnt vmcnt(0) lgkmcnt(2)
	v_mul_f64 v[22:23], v[208:209], v[4:5]
	v_mul_f64 v[4:5], v[206:207], v[4:5]
	v_fmac_f64_e32 v[4:5], v[208:209], v[2:3]
	v_fma_f64 v[22:23], v[206:207], v[2:3], -v[22:23]
	v_add_f64 v[12:13], v[12:13], v[4:5]
	scratch_load_dwordx4 v[2:5], off, s15
	v_add_f64 v[10:11], v[10:11], v[22:23]
	s_add_i32 s15, s14, 0x1f0
	s_waitcnt vmcnt(0) lgkmcnt(1)
	v_mul_f64 v[22:23], v[212:213], v[4:5]
	v_mul_f64 v[4:5], v[210:211], v[4:5]
	v_fmac_f64_e32 v[4:5], v[212:213], v[2:3]
	v_fma_f64 v[22:23], v[210:211], v[2:3], -v[22:23]
	v_add_f64 v[12:13], v[12:13], v[4:5]
	scratch_load_dwordx4 v[2:5], off, s15
	s_add_i32 s15, s14, 0x200
	scratch_load_dwordx4 v[202:205], off, s15
	v_add_f64 v[10:11], v[10:11], v[22:23]
	s_add_i32 s15, s14, 0x210
	s_waitcnt vmcnt(1) lgkmcnt(0)
	v_mul_f64 v[22:23], v[216:217], v[4:5]
	v_mul_f64 v[4:5], v[214:215], v[4:5]
	v_fmac_f64_e32 v[4:5], v[216:217], v[2:3]
	v_fma_f64 v[22:23], v[214:215], v[2:3], -v[22:23]
	v_add_f64 v[12:13], v[12:13], v[4:5]
	ds_read_b128 v[2:5], v28 offset:1536
	v_add_f64 v[10:11], v[10:11], v[22:23]
	s_waitcnt vmcnt(0) lgkmcnt(0)
	v_mul_f64 v[22:23], v[4:5], v[204:205]
	v_fma_f64 v[22:23], v[2:3], v[202:203], -v[22:23]
	v_mul_f64 v[2:3], v[2:3], v[204:205]
	v_fmac_f64_e32 v[2:3], v[4:5], v[202:203]
	scratch_load_dwordx4 v[202:205], off, s15
	v_add_f64 v[12:13], v[12:13], v[2:3]
	ds_read_b128 v[2:5], v28 offset:1552
	v_add_f64 v[10:11], v[10:11], v[22:23]
	s_add_i32 s15, s14, 0x220
	s_addk_i32 s14, 0x230
	s_waitcnt vmcnt(0) lgkmcnt(0)
	v_mul_f64 v[22:23], v[4:5], v[204:205]
	v_fma_f64 v[22:23], v[2:3], v[202:203], -v[22:23]
	v_mul_f64 v[2:3], v[2:3], v[204:205]
	v_fmac_f64_e32 v[2:3], v[4:5], v[202:203]
	scratch_load_dwordx4 v[202:205], off, s15
	v_add_f64 v[12:13], v[12:13], v[2:3]
	ds_read_b128 v[2:5], v28 offset:1568
	v_add_f64 v[10:11], v[10:11], v[22:23]
	s_waitcnt vmcnt(0) lgkmcnt(0)
	v_mul_f64 v[22:23], v[4:5], v[204:205]
	v_fma_f64 v[22:23], v[2:3], v[202:203], -v[22:23]
	v_mul_f64 v[2:3], v[2:3], v[204:205]
	v_fmac_f64_e32 v[2:3], v[4:5], v[202:203]
	scratch_load_dwordx4 v[202:205], off, s14
	v_add_f64 v[12:13], v[12:13], v[2:3]
	ds_read_b128 v[2:5], v28 offset:1584
	v_add_f64 v[10:11], v[10:11], v[22:23]
	s_add_i32 s14, s13, 8
	v_cmp_eq_u32_e32 vcc, s14, v7
	s_add_i32 s13, s13, 36
	s_or_b64 s[10:11], vcc, s[10:11]
	s_waitcnt vmcnt(0) lgkmcnt(0)
	v_mul_f64 v[22:23], v[4:5], v[204:205]
	v_mul_f64 v[28:29], v[2:3], v[204:205]
	v_fma_f64 v[22:23], v[2:3], v[202:203], -v[22:23]
	v_fmac_f64_e32 v[28:29], v[4:5], v[202:203]
	v_add_f64 v[2:3], v[10:11], v[22:23]
	v_add_f64 v[4:5], v[12:13], v[28:29]
	v_mov_b32_e32 v202, s13
	s_mov_b32 s13, s14
	s_andn2_b64 exec, exec, s[10:11]
	s_cbranch_execnz .LBB63_487
; %bb.488:
	s_or_b64 exec, exec, s[10:11]
.LBB63_489:
	s_or_b64 exec, exec, s[0:1]
	v_and_b32_e32 v6, 7, v6
	v_cmp_ne_u32_e32 vcc, 0, v6
	s_and_saveexec_b64 s[0:1], vcc
	s_cbranch_execz .LBB63_493
; %bb.490:
	v_lshlrev_b32_e32 v10, 4, v202
	v_add_u32_e32 v7, 0x400, v10
	v_add_u32_e32 v201, 0, v10
	s_mov_b64 s[10:11], 0
.LBB63_491:                             ; =>This Inner Loop Header: Depth=1
	scratch_load_dwordx4 v[202:205], v201, off
	ds_read_b128 v[206:209], v7
	v_add_u32_e32 v6, -1, v6
	v_cmp_eq_u32_e32 vcc, 0, v6
	v_add_u32_e32 v7, 16, v7
	v_add_u32_e32 v201, 16, v201
	s_or_b64 s[10:11], vcc, s[10:11]
	s_waitcnt vmcnt(0) lgkmcnt(0)
	v_mul_f64 v[10:11], v[208:209], v[204:205]
	v_mul_f64 v[12:13], v[206:207], v[204:205]
	v_fma_f64 v[10:11], v[206:207], v[202:203], -v[10:11]
	v_fmac_f64_e32 v[12:13], v[208:209], v[202:203]
	v_add_f64 v[2:3], v[2:3], v[10:11]
	v_add_f64 v[4:5], v[4:5], v[12:13]
	s_andn2_b64 exec, exec, s[10:11]
	s_cbranch_execnz .LBB63_491
; %bb.492:
	s_or_b64 exec, exec, s[10:11]
.LBB63_493:
	s_or_b64 exec, exec, s[0:1]
.LBB63_494:
	s_or_b64 exec, exec, s[8:9]
	v_mov_b32_e32 v6, 0
	ds_read_b128 v[202:205], v6 offset:432
	s_waitcnt lgkmcnt(0)
	v_mul_f64 v[6:7], v[4:5], v[204:205]
	v_mul_f64 v[206:207], v[2:3], v[204:205]
	v_fma_f64 v[204:205], v[2:3], v[202:203], -v[6:7]
	v_fmac_f64_e32 v[206:207], v[4:5], v[202:203]
	scratch_store_dwordx4 off, v[204:207], off offset:432
.LBB63_495:
	s_or_b64 exec, exec, s[4:5]
	scratch_load_dwordx4 v[2:5], v175, off
	v_cmp_lt_u32_e64 s[0:1], 26, v0
	s_waitcnt vmcnt(0)
	ds_write_b128 v9, v[2:5]
	s_waitcnt lgkmcnt(0)
	; wave barrier
	s_waitcnt lgkmcnt(0)
	s_and_saveexec_b64 s[4:5], s[0:1]
	s_cbranch_execz .LBB63_509
; %bb.496:
	ds_read_b128 v[2:5], v9
	s_andn2_b64 vcc, exec, s[6:7]
	s_cbranch_vccnz .LBB63_498
; %bb.497:
	scratch_load_dwordx4 v[202:205], v8, off
	s_waitcnt vmcnt(0) lgkmcnt(0)
	v_mul_f64 v[10:11], v[2:3], v[204:205]
	v_mul_f64 v[6:7], v[4:5], v[204:205]
	v_fmac_f64_e32 v[10:11], v[4:5], v[202:203]
	v_fma_f64 v[2:3], v[2:3], v[202:203], -v[6:7]
	v_mov_b64_e32 v[4:5], v[10:11]
.LBB63_498:
	s_and_saveexec_b64 s[8:9], s[2:3]
	s_cbranch_execz .LBB63_508
; %bb.499:
	v_subrev_u32_e32 v7, 28, v0
	v_subrev_u32_e32 v6, 27, v0
	v_cmp_lt_u32_e32 vcc, 6, v7
	v_mov_b32_e32 v202, 27
	s_and_saveexec_b64 s[2:3], vcc
	s_cbranch_execz .LBB63_503
; %bb.500:
	v_and_b32_e32 v7, -8, v6
	s_mov_b32 s12, 0
	s_mov_b64 s[10:11], 0
	v_mov_b32_e32 v201, 0
	s_mov_b32 s13, 0
.LBB63_501:                             ; =>This Inner Loop Header: Depth=1
	v_readfirstlane_b32 s14, v201
	s_add_i32 s14, s14, s12
	s_add_i32 s15, s14, 0x1b0
	v_mov_b32_e32 v28, s12
	ds_read_b128 v[202:205], v28 offset:1456
	ds_read_b128 v[206:209], v28 offset:1472
	;; [unrolled: 1-line block ×4, first 2 shown]
	scratch_load_dwordx4 v[218:221], off, s15
	s_add_i32 s15, s14, 0x1c0
	s_addk_i32 s12, 0x80
	s_waitcnt vmcnt(0) lgkmcnt(3)
	v_mul_f64 v[10:11], v[204:205], v[220:221]
	v_mul_f64 v[12:13], v[202:203], v[220:221]
	v_fma_f64 v[10:11], v[202:203], v[218:219], -v[10:11]
	v_fmac_f64_e32 v[12:13], v[204:205], v[218:219]
	v_add_f64 v[10:11], v[2:3], v[10:11]
	v_add_f64 v[12:13], v[4:5], v[12:13]
	scratch_load_dwordx4 v[2:5], off, s15
	s_add_i32 s15, s14, 0x1d0
	s_waitcnt vmcnt(0) lgkmcnt(2)
	v_mul_f64 v[22:23], v[208:209], v[4:5]
	v_mul_f64 v[4:5], v[206:207], v[4:5]
	v_fmac_f64_e32 v[4:5], v[208:209], v[2:3]
	v_fma_f64 v[22:23], v[206:207], v[2:3], -v[22:23]
	v_add_f64 v[12:13], v[12:13], v[4:5]
	scratch_load_dwordx4 v[2:5], off, s15
	v_add_f64 v[10:11], v[10:11], v[22:23]
	s_add_i32 s15, s14, 0x1e0
	s_waitcnt vmcnt(0) lgkmcnt(1)
	v_mul_f64 v[22:23], v[212:213], v[4:5]
	v_mul_f64 v[4:5], v[210:211], v[4:5]
	v_fmac_f64_e32 v[4:5], v[212:213], v[2:3]
	v_fma_f64 v[22:23], v[210:211], v[2:3], -v[22:23]
	v_add_f64 v[12:13], v[12:13], v[4:5]
	scratch_load_dwordx4 v[2:5], off, s15
	s_add_i32 s15, s14, 0x1f0
	scratch_load_dwordx4 v[202:205], off, s15
	v_add_f64 v[10:11], v[10:11], v[22:23]
	s_add_i32 s15, s14, 0x200
	s_waitcnt vmcnt(1) lgkmcnt(0)
	v_mul_f64 v[22:23], v[216:217], v[4:5]
	v_mul_f64 v[4:5], v[214:215], v[4:5]
	v_fmac_f64_e32 v[4:5], v[216:217], v[2:3]
	v_fma_f64 v[22:23], v[214:215], v[2:3], -v[22:23]
	v_add_f64 v[12:13], v[12:13], v[4:5]
	ds_read_b128 v[2:5], v28 offset:1520
	v_add_f64 v[10:11], v[10:11], v[22:23]
	s_waitcnt vmcnt(0) lgkmcnt(0)
	v_mul_f64 v[22:23], v[4:5], v[204:205]
	v_fma_f64 v[22:23], v[2:3], v[202:203], -v[22:23]
	v_mul_f64 v[2:3], v[2:3], v[204:205]
	v_fmac_f64_e32 v[2:3], v[4:5], v[202:203]
	scratch_load_dwordx4 v[202:205], off, s15
	v_add_f64 v[12:13], v[12:13], v[2:3]
	ds_read_b128 v[2:5], v28 offset:1536
	v_add_f64 v[10:11], v[10:11], v[22:23]
	s_add_i32 s15, s14, 0x210
	s_addk_i32 s14, 0x220
	s_waitcnt vmcnt(0) lgkmcnt(0)
	v_mul_f64 v[22:23], v[4:5], v[204:205]
	v_fma_f64 v[22:23], v[2:3], v[202:203], -v[22:23]
	v_mul_f64 v[2:3], v[2:3], v[204:205]
	v_fmac_f64_e32 v[2:3], v[4:5], v[202:203]
	scratch_load_dwordx4 v[202:205], off, s15
	v_add_f64 v[12:13], v[12:13], v[2:3]
	ds_read_b128 v[2:5], v28 offset:1552
	v_add_f64 v[10:11], v[10:11], v[22:23]
	s_waitcnt vmcnt(0) lgkmcnt(0)
	v_mul_f64 v[22:23], v[4:5], v[204:205]
	v_fma_f64 v[22:23], v[2:3], v[202:203], -v[22:23]
	v_mul_f64 v[2:3], v[2:3], v[204:205]
	v_fmac_f64_e32 v[2:3], v[4:5], v[202:203]
	scratch_load_dwordx4 v[202:205], off, s14
	v_add_f64 v[12:13], v[12:13], v[2:3]
	ds_read_b128 v[2:5], v28 offset:1568
	v_add_f64 v[10:11], v[10:11], v[22:23]
	s_add_i32 s14, s13, 8
	v_cmp_eq_u32_e32 vcc, s14, v7
	s_add_i32 s13, s13, 35
	s_or_b64 s[10:11], vcc, s[10:11]
	s_waitcnt vmcnt(0) lgkmcnt(0)
	v_mul_f64 v[22:23], v[4:5], v[204:205]
	v_mul_f64 v[28:29], v[2:3], v[204:205]
	v_fma_f64 v[22:23], v[2:3], v[202:203], -v[22:23]
	v_fmac_f64_e32 v[28:29], v[4:5], v[202:203]
	v_add_f64 v[2:3], v[10:11], v[22:23]
	v_add_f64 v[4:5], v[12:13], v[28:29]
	v_mov_b32_e32 v202, s13
	s_mov_b32 s13, s14
	s_andn2_b64 exec, exec, s[10:11]
	s_cbranch_execnz .LBB63_501
; %bb.502:
	s_or_b64 exec, exec, s[10:11]
.LBB63_503:
	s_or_b64 exec, exec, s[2:3]
	v_and_b32_e32 v6, 7, v6
	v_cmp_ne_u32_e32 vcc, 0, v6
	s_and_saveexec_b64 s[2:3], vcc
	s_cbranch_execz .LBB63_507
; %bb.504:
	v_lshlrev_b32_e32 v10, 4, v202
	v_add_u32_e32 v7, 0x400, v10
	v_add_u32_e32 v201, 0, v10
	s_mov_b64 s[10:11], 0
.LBB63_505:                             ; =>This Inner Loop Header: Depth=1
	scratch_load_dwordx4 v[202:205], v201, off
	ds_read_b128 v[206:209], v7
	v_add_u32_e32 v6, -1, v6
	v_cmp_eq_u32_e32 vcc, 0, v6
	v_add_u32_e32 v7, 16, v7
	v_add_u32_e32 v201, 16, v201
	s_or_b64 s[10:11], vcc, s[10:11]
	s_waitcnt vmcnt(0) lgkmcnt(0)
	v_mul_f64 v[10:11], v[208:209], v[204:205]
	v_mul_f64 v[12:13], v[206:207], v[204:205]
	v_fma_f64 v[10:11], v[206:207], v[202:203], -v[10:11]
	v_fmac_f64_e32 v[12:13], v[208:209], v[202:203]
	v_add_f64 v[2:3], v[2:3], v[10:11]
	v_add_f64 v[4:5], v[4:5], v[12:13]
	s_andn2_b64 exec, exec, s[10:11]
	s_cbranch_execnz .LBB63_505
; %bb.506:
	s_or_b64 exec, exec, s[10:11]
.LBB63_507:
	s_or_b64 exec, exec, s[2:3]
.LBB63_508:
	s_or_b64 exec, exec, s[8:9]
	v_mov_b32_e32 v6, 0
	ds_read_b128 v[202:205], v6 offset:416
	s_waitcnt lgkmcnt(0)
	v_mul_f64 v[6:7], v[4:5], v[204:205]
	v_mul_f64 v[206:207], v[2:3], v[204:205]
	v_fma_f64 v[204:205], v[2:3], v[202:203], -v[6:7]
	v_fmac_f64_e32 v[206:207], v[4:5], v[202:203]
	scratch_store_dwordx4 off, v[204:207], off offset:416
.LBB63_509:
	s_or_b64 exec, exec, s[4:5]
	scratch_load_dwordx4 v[2:5], v176, off
	v_cmp_lt_u32_e64 s[2:3], 25, v0
	s_waitcnt vmcnt(0)
	ds_write_b128 v9, v[2:5]
	s_waitcnt lgkmcnt(0)
	; wave barrier
	s_waitcnt lgkmcnt(0)
	s_and_saveexec_b64 s[4:5], s[2:3]
	s_cbranch_execz .LBB63_523
; %bb.510:
	ds_read_b128 v[2:5], v9
	s_andn2_b64 vcc, exec, s[6:7]
	s_cbranch_vccnz .LBB63_512
; %bb.511:
	scratch_load_dwordx4 v[202:205], v8, off
	s_waitcnt vmcnt(0) lgkmcnt(0)
	v_mul_f64 v[10:11], v[2:3], v[204:205]
	v_mul_f64 v[6:7], v[4:5], v[204:205]
	v_fmac_f64_e32 v[10:11], v[4:5], v[202:203]
	v_fma_f64 v[2:3], v[2:3], v[202:203], -v[6:7]
	v_mov_b64_e32 v[4:5], v[10:11]
.LBB63_512:
	s_and_saveexec_b64 s[8:9], s[0:1]
	s_cbranch_execz .LBB63_522
; %bb.513:
	v_subrev_u32_e32 v7, 27, v0
	v_subrev_u32_e32 v6, 26, v0
	v_cmp_lt_u32_e32 vcc, 6, v7
	v_mov_b32_e32 v202, 26
	s_and_saveexec_b64 s[0:1], vcc
	s_cbranch_execz .LBB63_517
; %bb.514:
	v_and_b32_e32 v7, -8, v6
	s_mov_b32 s12, 0
	s_mov_b64 s[10:11], 0
	v_mov_b32_e32 v201, 0
	s_mov_b32 s13, 0
.LBB63_515:                             ; =>This Inner Loop Header: Depth=1
	v_readfirstlane_b32 s14, v201
	s_add_i32 s14, s14, s12
	s_add_i32 s15, s14, 0x1a0
	v_mov_b32_e32 v28, s12
	ds_read_b128 v[202:205], v28 offset:1440
	ds_read_b128 v[206:209], v28 offset:1456
	;; [unrolled: 1-line block ×4, first 2 shown]
	scratch_load_dwordx4 v[218:221], off, s15
	s_add_i32 s15, s14, 0x1b0
	s_addk_i32 s12, 0x80
	s_waitcnt vmcnt(0) lgkmcnt(3)
	v_mul_f64 v[10:11], v[204:205], v[220:221]
	v_mul_f64 v[12:13], v[202:203], v[220:221]
	v_fma_f64 v[10:11], v[202:203], v[218:219], -v[10:11]
	v_fmac_f64_e32 v[12:13], v[204:205], v[218:219]
	v_add_f64 v[10:11], v[2:3], v[10:11]
	v_add_f64 v[12:13], v[4:5], v[12:13]
	scratch_load_dwordx4 v[2:5], off, s15
	s_add_i32 s15, s14, 0x1c0
	s_waitcnt vmcnt(0) lgkmcnt(2)
	v_mul_f64 v[22:23], v[208:209], v[4:5]
	v_mul_f64 v[4:5], v[206:207], v[4:5]
	v_fmac_f64_e32 v[4:5], v[208:209], v[2:3]
	v_fma_f64 v[22:23], v[206:207], v[2:3], -v[22:23]
	v_add_f64 v[12:13], v[12:13], v[4:5]
	scratch_load_dwordx4 v[2:5], off, s15
	v_add_f64 v[10:11], v[10:11], v[22:23]
	s_add_i32 s15, s14, 0x1d0
	s_waitcnt vmcnt(0) lgkmcnt(1)
	v_mul_f64 v[22:23], v[212:213], v[4:5]
	v_mul_f64 v[4:5], v[210:211], v[4:5]
	v_fmac_f64_e32 v[4:5], v[212:213], v[2:3]
	v_fma_f64 v[22:23], v[210:211], v[2:3], -v[22:23]
	v_add_f64 v[12:13], v[12:13], v[4:5]
	scratch_load_dwordx4 v[2:5], off, s15
	s_add_i32 s15, s14, 0x1e0
	scratch_load_dwordx4 v[202:205], off, s15
	v_add_f64 v[10:11], v[10:11], v[22:23]
	s_add_i32 s15, s14, 0x1f0
	s_waitcnt vmcnt(1) lgkmcnt(0)
	v_mul_f64 v[22:23], v[216:217], v[4:5]
	v_mul_f64 v[4:5], v[214:215], v[4:5]
	v_fmac_f64_e32 v[4:5], v[216:217], v[2:3]
	v_fma_f64 v[22:23], v[214:215], v[2:3], -v[22:23]
	v_add_f64 v[12:13], v[12:13], v[4:5]
	ds_read_b128 v[2:5], v28 offset:1504
	v_add_f64 v[10:11], v[10:11], v[22:23]
	s_waitcnt vmcnt(0) lgkmcnt(0)
	v_mul_f64 v[22:23], v[4:5], v[204:205]
	v_fma_f64 v[22:23], v[2:3], v[202:203], -v[22:23]
	v_mul_f64 v[2:3], v[2:3], v[204:205]
	v_fmac_f64_e32 v[2:3], v[4:5], v[202:203]
	scratch_load_dwordx4 v[202:205], off, s15
	v_add_f64 v[12:13], v[12:13], v[2:3]
	ds_read_b128 v[2:5], v28 offset:1520
	v_add_f64 v[10:11], v[10:11], v[22:23]
	s_add_i32 s15, s14, 0x200
	s_addk_i32 s14, 0x210
	s_waitcnt vmcnt(0) lgkmcnt(0)
	v_mul_f64 v[22:23], v[4:5], v[204:205]
	v_fma_f64 v[22:23], v[2:3], v[202:203], -v[22:23]
	v_mul_f64 v[2:3], v[2:3], v[204:205]
	v_fmac_f64_e32 v[2:3], v[4:5], v[202:203]
	scratch_load_dwordx4 v[202:205], off, s15
	v_add_f64 v[12:13], v[12:13], v[2:3]
	ds_read_b128 v[2:5], v28 offset:1536
	v_add_f64 v[10:11], v[10:11], v[22:23]
	s_waitcnt vmcnt(0) lgkmcnt(0)
	v_mul_f64 v[22:23], v[4:5], v[204:205]
	v_fma_f64 v[22:23], v[2:3], v[202:203], -v[22:23]
	v_mul_f64 v[2:3], v[2:3], v[204:205]
	v_fmac_f64_e32 v[2:3], v[4:5], v[202:203]
	scratch_load_dwordx4 v[202:205], off, s14
	v_add_f64 v[12:13], v[12:13], v[2:3]
	ds_read_b128 v[2:5], v28 offset:1552
	v_add_f64 v[10:11], v[10:11], v[22:23]
	s_add_i32 s14, s13, 8
	v_cmp_eq_u32_e32 vcc, s14, v7
	s_add_i32 s13, s13, 34
	s_or_b64 s[10:11], vcc, s[10:11]
	s_waitcnt vmcnt(0) lgkmcnt(0)
	v_mul_f64 v[22:23], v[4:5], v[204:205]
	v_mul_f64 v[28:29], v[2:3], v[204:205]
	v_fma_f64 v[22:23], v[2:3], v[202:203], -v[22:23]
	v_fmac_f64_e32 v[28:29], v[4:5], v[202:203]
	v_add_f64 v[2:3], v[10:11], v[22:23]
	v_add_f64 v[4:5], v[12:13], v[28:29]
	v_mov_b32_e32 v202, s13
	s_mov_b32 s13, s14
	s_andn2_b64 exec, exec, s[10:11]
	s_cbranch_execnz .LBB63_515
; %bb.516:
	s_or_b64 exec, exec, s[10:11]
.LBB63_517:
	s_or_b64 exec, exec, s[0:1]
	v_and_b32_e32 v6, 7, v6
	v_cmp_ne_u32_e32 vcc, 0, v6
	s_and_saveexec_b64 s[0:1], vcc
	s_cbranch_execz .LBB63_521
; %bb.518:
	v_lshlrev_b32_e32 v10, 4, v202
	v_add_u32_e32 v7, 0x400, v10
	v_add_u32_e32 v201, 0, v10
	s_mov_b64 s[10:11], 0
.LBB63_519:                             ; =>This Inner Loop Header: Depth=1
	scratch_load_dwordx4 v[202:205], v201, off
	ds_read_b128 v[206:209], v7
	v_add_u32_e32 v6, -1, v6
	v_cmp_eq_u32_e32 vcc, 0, v6
	v_add_u32_e32 v7, 16, v7
	v_add_u32_e32 v201, 16, v201
	s_or_b64 s[10:11], vcc, s[10:11]
	s_waitcnt vmcnt(0) lgkmcnt(0)
	v_mul_f64 v[10:11], v[208:209], v[204:205]
	v_mul_f64 v[12:13], v[206:207], v[204:205]
	v_fma_f64 v[10:11], v[206:207], v[202:203], -v[10:11]
	v_fmac_f64_e32 v[12:13], v[208:209], v[202:203]
	v_add_f64 v[2:3], v[2:3], v[10:11]
	v_add_f64 v[4:5], v[4:5], v[12:13]
	s_andn2_b64 exec, exec, s[10:11]
	s_cbranch_execnz .LBB63_519
; %bb.520:
	s_or_b64 exec, exec, s[10:11]
.LBB63_521:
	s_or_b64 exec, exec, s[0:1]
.LBB63_522:
	s_or_b64 exec, exec, s[8:9]
	v_mov_b32_e32 v6, 0
	ds_read_b128 v[202:205], v6 offset:400
	s_waitcnt lgkmcnt(0)
	v_mul_f64 v[6:7], v[4:5], v[204:205]
	v_mul_f64 v[206:207], v[2:3], v[204:205]
	v_fma_f64 v[204:205], v[2:3], v[202:203], -v[6:7]
	v_fmac_f64_e32 v[206:207], v[4:5], v[202:203]
	scratch_store_dwordx4 off, v[204:207], off offset:400
.LBB63_523:
	s_or_b64 exec, exec, s[4:5]
	scratch_load_dwordx4 v[2:5], v177, off
	v_cmp_lt_u32_e64 s[0:1], 24, v0
	s_waitcnt vmcnt(0)
	ds_write_b128 v9, v[2:5]
	s_waitcnt lgkmcnt(0)
	; wave barrier
	s_waitcnt lgkmcnt(0)
	s_and_saveexec_b64 s[4:5], s[0:1]
	s_cbranch_execz .LBB63_537
; %bb.524:
	ds_read_b128 v[2:5], v9
	s_andn2_b64 vcc, exec, s[6:7]
	s_cbranch_vccnz .LBB63_526
; %bb.525:
	scratch_load_dwordx4 v[202:205], v8, off
	s_waitcnt vmcnt(0) lgkmcnt(0)
	v_mul_f64 v[10:11], v[2:3], v[204:205]
	v_mul_f64 v[6:7], v[4:5], v[204:205]
	v_fmac_f64_e32 v[10:11], v[4:5], v[202:203]
	v_fma_f64 v[2:3], v[2:3], v[202:203], -v[6:7]
	v_mov_b64_e32 v[4:5], v[10:11]
.LBB63_526:
	s_and_saveexec_b64 s[8:9], s[2:3]
	s_cbranch_execz .LBB63_536
; %bb.527:
	v_subrev_u32_e32 v7, 26, v0
	v_subrev_u32_e32 v6, 25, v0
	v_cmp_lt_u32_e32 vcc, 6, v7
	v_mov_b32_e32 v202, 25
	s_and_saveexec_b64 s[2:3], vcc
	s_cbranch_execz .LBB63_531
; %bb.528:
	v_and_b32_e32 v7, -8, v6
	s_mov_b32 s12, 0
	s_mov_b64 s[10:11], 0
	v_mov_b32_e32 v201, 0
	s_mov_b32 s13, 0
.LBB63_529:                             ; =>This Inner Loop Header: Depth=1
	v_readfirstlane_b32 s14, v201
	s_add_i32 s14, s14, s12
	s_add_i32 s15, s14, 0x190
	v_mov_b32_e32 v28, s12
	ds_read_b128 v[202:205], v28 offset:1424
	ds_read_b128 v[206:209], v28 offset:1440
	;; [unrolled: 1-line block ×4, first 2 shown]
	scratch_load_dwordx4 v[218:221], off, s15
	s_add_i32 s15, s14, 0x1a0
	s_addk_i32 s12, 0x80
	s_waitcnt vmcnt(0) lgkmcnt(3)
	v_mul_f64 v[10:11], v[204:205], v[220:221]
	v_mul_f64 v[12:13], v[202:203], v[220:221]
	v_fma_f64 v[10:11], v[202:203], v[218:219], -v[10:11]
	v_fmac_f64_e32 v[12:13], v[204:205], v[218:219]
	v_add_f64 v[10:11], v[2:3], v[10:11]
	v_add_f64 v[12:13], v[4:5], v[12:13]
	scratch_load_dwordx4 v[2:5], off, s15
	s_add_i32 s15, s14, 0x1b0
	s_waitcnt vmcnt(0) lgkmcnt(2)
	v_mul_f64 v[22:23], v[208:209], v[4:5]
	v_mul_f64 v[4:5], v[206:207], v[4:5]
	v_fmac_f64_e32 v[4:5], v[208:209], v[2:3]
	v_fma_f64 v[22:23], v[206:207], v[2:3], -v[22:23]
	v_add_f64 v[12:13], v[12:13], v[4:5]
	scratch_load_dwordx4 v[2:5], off, s15
	v_add_f64 v[10:11], v[10:11], v[22:23]
	s_add_i32 s15, s14, 0x1c0
	s_waitcnt vmcnt(0) lgkmcnt(1)
	v_mul_f64 v[22:23], v[212:213], v[4:5]
	v_mul_f64 v[4:5], v[210:211], v[4:5]
	v_fmac_f64_e32 v[4:5], v[212:213], v[2:3]
	v_fma_f64 v[22:23], v[210:211], v[2:3], -v[22:23]
	v_add_f64 v[12:13], v[12:13], v[4:5]
	scratch_load_dwordx4 v[2:5], off, s15
	s_add_i32 s15, s14, 0x1d0
	scratch_load_dwordx4 v[202:205], off, s15
	v_add_f64 v[10:11], v[10:11], v[22:23]
	s_add_i32 s15, s14, 0x1e0
	s_waitcnt vmcnt(1) lgkmcnt(0)
	v_mul_f64 v[22:23], v[216:217], v[4:5]
	v_mul_f64 v[4:5], v[214:215], v[4:5]
	v_fmac_f64_e32 v[4:5], v[216:217], v[2:3]
	v_fma_f64 v[22:23], v[214:215], v[2:3], -v[22:23]
	v_add_f64 v[12:13], v[12:13], v[4:5]
	ds_read_b128 v[2:5], v28 offset:1488
	v_add_f64 v[10:11], v[10:11], v[22:23]
	s_waitcnt vmcnt(0) lgkmcnt(0)
	v_mul_f64 v[22:23], v[4:5], v[204:205]
	v_fma_f64 v[22:23], v[2:3], v[202:203], -v[22:23]
	v_mul_f64 v[2:3], v[2:3], v[204:205]
	v_fmac_f64_e32 v[2:3], v[4:5], v[202:203]
	scratch_load_dwordx4 v[202:205], off, s15
	v_add_f64 v[12:13], v[12:13], v[2:3]
	ds_read_b128 v[2:5], v28 offset:1504
	v_add_f64 v[10:11], v[10:11], v[22:23]
	s_add_i32 s15, s14, 0x1f0
	s_addk_i32 s14, 0x200
	s_waitcnt vmcnt(0) lgkmcnt(0)
	v_mul_f64 v[22:23], v[4:5], v[204:205]
	v_fma_f64 v[22:23], v[2:3], v[202:203], -v[22:23]
	v_mul_f64 v[2:3], v[2:3], v[204:205]
	v_fmac_f64_e32 v[2:3], v[4:5], v[202:203]
	scratch_load_dwordx4 v[202:205], off, s15
	v_add_f64 v[12:13], v[12:13], v[2:3]
	ds_read_b128 v[2:5], v28 offset:1520
	v_add_f64 v[10:11], v[10:11], v[22:23]
	s_waitcnt vmcnt(0) lgkmcnt(0)
	v_mul_f64 v[22:23], v[4:5], v[204:205]
	v_fma_f64 v[22:23], v[2:3], v[202:203], -v[22:23]
	v_mul_f64 v[2:3], v[2:3], v[204:205]
	v_fmac_f64_e32 v[2:3], v[4:5], v[202:203]
	scratch_load_dwordx4 v[202:205], off, s14
	v_add_f64 v[12:13], v[12:13], v[2:3]
	ds_read_b128 v[2:5], v28 offset:1536
	v_add_f64 v[10:11], v[10:11], v[22:23]
	s_add_i32 s14, s13, 8
	v_cmp_eq_u32_e32 vcc, s14, v7
	s_add_i32 s13, s13, 33
	s_or_b64 s[10:11], vcc, s[10:11]
	s_waitcnt vmcnt(0) lgkmcnt(0)
	v_mul_f64 v[22:23], v[4:5], v[204:205]
	v_mul_f64 v[28:29], v[2:3], v[204:205]
	v_fma_f64 v[22:23], v[2:3], v[202:203], -v[22:23]
	v_fmac_f64_e32 v[28:29], v[4:5], v[202:203]
	v_add_f64 v[2:3], v[10:11], v[22:23]
	v_add_f64 v[4:5], v[12:13], v[28:29]
	v_mov_b32_e32 v202, s13
	s_mov_b32 s13, s14
	s_andn2_b64 exec, exec, s[10:11]
	s_cbranch_execnz .LBB63_529
; %bb.530:
	s_or_b64 exec, exec, s[10:11]
.LBB63_531:
	s_or_b64 exec, exec, s[2:3]
	v_and_b32_e32 v6, 7, v6
	v_cmp_ne_u32_e32 vcc, 0, v6
	s_and_saveexec_b64 s[2:3], vcc
	s_cbranch_execz .LBB63_535
; %bb.532:
	v_lshlrev_b32_e32 v10, 4, v202
	v_add_u32_e32 v7, 0x400, v10
	v_add_u32_e32 v201, 0, v10
	s_mov_b64 s[10:11], 0
.LBB63_533:                             ; =>This Inner Loop Header: Depth=1
	scratch_load_dwordx4 v[202:205], v201, off
	ds_read_b128 v[206:209], v7
	v_add_u32_e32 v6, -1, v6
	v_cmp_eq_u32_e32 vcc, 0, v6
	v_add_u32_e32 v7, 16, v7
	v_add_u32_e32 v201, 16, v201
	s_or_b64 s[10:11], vcc, s[10:11]
	s_waitcnt vmcnt(0) lgkmcnt(0)
	v_mul_f64 v[10:11], v[208:209], v[204:205]
	v_mul_f64 v[12:13], v[206:207], v[204:205]
	v_fma_f64 v[10:11], v[206:207], v[202:203], -v[10:11]
	v_fmac_f64_e32 v[12:13], v[208:209], v[202:203]
	v_add_f64 v[2:3], v[2:3], v[10:11]
	v_add_f64 v[4:5], v[4:5], v[12:13]
	s_andn2_b64 exec, exec, s[10:11]
	s_cbranch_execnz .LBB63_533
; %bb.534:
	s_or_b64 exec, exec, s[10:11]
.LBB63_535:
	s_or_b64 exec, exec, s[2:3]
.LBB63_536:
	s_or_b64 exec, exec, s[8:9]
	v_mov_b32_e32 v6, 0
	ds_read_b128 v[202:205], v6 offset:384
	s_waitcnt lgkmcnt(0)
	v_mul_f64 v[6:7], v[4:5], v[204:205]
	v_mul_f64 v[206:207], v[2:3], v[204:205]
	v_fma_f64 v[204:205], v[2:3], v[202:203], -v[6:7]
	v_fmac_f64_e32 v[206:207], v[4:5], v[202:203]
	scratch_store_dwordx4 off, v[204:207], off offset:384
.LBB63_537:
	s_or_b64 exec, exec, s[4:5]
	scratch_load_dwordx4 v[2:5], v178, off
	v_cmp_lt_u32_e64 s[2:3], 23, v0
	s_waitcnt vmcnt(0)
	ds_write_b128 v9, v[2:5]
	s_waitcnt lgkmcnt(0)
	; wave barrier
	s_waitcnt lgkmcnt(0)
	s_and_saveexec_b64 s[4:5], s[2:3]
	s_cbranch_execz .LBB63_551
; %bb.538:
	ds_read_b128 v[2:5], v9
	s_andn2_b64 vcc, exec, s[6:7]
	s_cbranch_vccnz .LBB63_540
; %bb.539:
	scratch_load_dwordx4 v[202:205], v8, off
	s_waitcnt vmcnt(0) lgkmcnt(0)
	v_mul_f64 v[10:11], v[2:3], v[204:205]
	v_mul_f64 v[6:7], v[4:5], v[204:205]
	v_fmac_f64_e32 v[10:11], v[4:5], v[202:203]
	v_fma_f64 v[2:3], v[2:3], v[202:203], -v[6:7]
	v_mov_b64_e32 v[4:5], v[10:11]
.LBB63_540:
	s_and_saveexec_b64 s[8:9], s[0:1]
	s_cbranch_execz .LBB63_550
; %bb.541:
	v_subrev_u32_e32 v6, 25, v0
	v_cmp_lt_u32_e32 vcc, 6, v6
	v_mov_b32_e32 v6, 24
	s_and_saveexec_b64 s[0:1], vcc
	s_cbranch_execz .LBB63_545
; %bb.542:
	v_and_b32_e32 v6, 56, v0
	s_mov_b32 s12, 24
	s_mov_b32 s13, 0
	s_mov_b64 s[10:11], 0
	v_mov_b32_e32 v7, 0
.LBB63_543:                             ; =>This Inner Loop Header: Depth=1
	s_nop 0
	v_readfirstlane_b32 s14, v7
	s_add_i32 s14, s14, s13
	s_add_i32 s15, s14, 0x180
	v_mov_b32_e32 v28, s13
	ds_read_b128 v[202:205], v28 offset:1408
	ds_read_b128 v[206:209], v28 offset:1424
	;; [unrolled: 1-line block ×4, first 2 shown]
	scratch_load_dwordx4 v[218:221], off, s15
	s_add_i32 s15, s14, 0x190
	s_add_i32 s12, s12, 8
	s_addk_i32 s13, 0x80
	v_cmp_eq_u32_e32 vcc, s12, v6
	s_waitcnt vmcnt(0) lgkmcnt(3)
	v_mul_f64 v[10:11], v[204:205], v[220:221]
	v_mul_f64 v[12:13], v[202:203], v[220:221]
	v_fma_f64 v[10:11], v[202:203], v[218:219], -v[10:11]
	v_fmac_f64_e32 v[12:13], v[204:205], v[218:219]
	v_add_f64 v[10:11], v[2:3], v[10:11]
	v_add_f64 v[12:13], v[4:5], v[12:13]
	scratch_load_dwordx4 v[2:5], off, s15
	s_add_i32 s15, s14, 0x1a0
	s_waitcnt vmcnt(0) lgkmcnt(2)
	v_mul_f64 v[22:23], v[208:209], v[4:5]
	v_mul_f64 v[4:5], v[206:207], v[4:5]
	v_fmac_f64_e32 v[4:5], v[208:209], v[2:3]
	v_fma_f64 v[22:23], v[206:207], v[2:3], -v[22:23]
	v_add_f64 v[12:13], v[12:13], v[4:5]
	scratch_load_dwordx4 v[2:5], off, s15
	v_add_f64 v[10:11], v[10:11], v[22:23]
	s_add_i32 s15, s14, 0x1b0
	s_waitcnt vmcnt(0) lgkmcnt(1)
	v_mul_f64 v[22:23], v[212:213], v[4:5]
	v_mul_f64 v[4:5], v[210:211], v[4:5]
	v_fmac_f64_e32 v[4:5], v[212:213], v[2:3]
	v_fma_f64 v[22:23], v[210:211], v[2:3], -v[22:23]
	v_add_f64 v[12:13], v[12:13], v[4:5]
	scratch_load_dwordx4 v[2:5], off, s15
	s_add_i32 s15, s14, 0x1c0
	scratch_load_dwordx4 v[202:205], off, s15
	v_add_f64 v[10:11], v[10:11], v[22:23]
	s_add_i32 s15, s14, 0x1d0
	s_waitcnt vmcnt(1) lgkmcnt(0)
	v_mul_f64 v[22:23], v[216:217], v[4:5]
	v_mul_f64 v[4:5], v[214:215], v[4:5]
	v_fmac_f64_e32 v[4:5], v[216:217], v[2:3]
	v_fma_f64 v[22:23], v[214:215], v[2:3], -v[22:23]
	v_add_f64 v[12:13], v[12:13], v[4:5]
	ds_read_b128 v[2:5], v28 offset:1472
	v_add_f64 v[10:11], v[10:11], v[22:23]
	s_waitcnt vmcnt(0) lgkmcnt(0)
	v_mul_f64 v[22:23], v[4:5], v[204:205]
	v_fma_f64 v[22:23], v[2:3], v[202:203], -v[22:23]
	v_mul_f64 v[2:3], v[2:3], v[204:205]
	v_fmac_f64_e32 v[2:3], v[4:5], v[202:203]
	scratch_load_dwordx4 v[202:205], off, s15
	v_add_f64 v[12:13], v[12:13], v[2:3]
	ds_read_b128 v[2:5], v28 offset:1488
	v_add_f64 v[10:11], v[10:11], v[22:23]
	s_add_i32 s15, s14, 0x1e0
	s_addk_i32 s14, 0x1f0
	s_or_b64 s[10:11], vcc, s[10:11]
	s_waitcnt vmcnt(0) lgkmcnt(0)
	v_mul_f64 v[22:23], v[4:5], v[204:205]
	v_fma_f64 v[22:23], v[2:3], v[202:203], -v[22:23]
	v_mul_f64 v[2:3], v[2:3], v[204:205]
	v_fmac_f64_e32 v[2:3], v[4:5], v[202:203]
	scratch_load_dwordx4 v[202:205], off, s15
	v_add_f64 v[12:13], v[12:13], v[2:3]
	ds_read_b128 v[2:5], v28 offset:1504
	v_add_f64 v[10:11], v[10:11], v[22:23]
	s_waitcnt vmcnt(0) lgkmcnt(0)
	v_mul_f64 v[22:23], v[4:5], v[204:205]
	v_fma_f64 v[22:23], v[2:3], v[202:203], -v[22:23]
	v_mul_f64 v[2:3], v[2:3], v[204:205]
	v_fmac_f64_e32 v[2:3], v[4:5], v[202:203]
	scratch_load_dwordx4 v[202:205], off, s14
	v_add_f64 v[12:13], v[12:13], v[2:3]
	ds_read_b128 v[2:5], v28 offset:1520
	v_add_f64 v[10:11], v[10:11], v[22:23]
	s_waitcnt vmcnt(0) lgkmcnt(0)
	v_mul_f64 v[22:23], v[4:5], v[204:205]
	v_mul_f64 v[28:29], v[2:3], v[204:205]
	v_fma_f64 v[22:23], v[2:3], v[202:203], -v[22:23]
	v_fmac_f64_e32 v[28:29], v[4:5], v[202:203]
	v_add_f64 v[2:3], v[10:11], v[22:23]
	v_add_f64 v[4:5], v[12:13], v[28:29]
	s_andn2_b64 exec, exec, s[10:11]
	s_cbranch_execnz .LBB63_543
; %bb.544:
	s_or_b64 exec, exec, s[10:11]
.LBB63_545:
	s_or_b64 exec, exec, s[0:1]
	v_and_b32_e32 v7, 7, v0
	v_cmp_ne_u32_e32 vcc, 0, v7
	s_and_saveexec_b64 s[0:1], vcc
	s_cbranch_execz .LBB63_549
; %bb.546:
	v_lshlrev_b32_e32 v10, 4, v6
	v_or_b32_e32 v6, 0x400, v10
	v_add_u32_e32 v201, 0, v10
	s_mov_b64 s[10:11], 0
.LBB63_547:                             ; =>This Inner Loop Header: Depth=1
	scratch_load_dwordx4 v[202:205], v201, off
	ds_read_b128 v[206:209], v6
	v_add_u32_e32 v7, -1, v7
	v_cmp_eq_u32_e32 vcc, 0, v7
	v_add_u32_e32 v6, 16, v6
	v_add_u32_e32 v201, 16, v201
	s_or_b64 s[10:11], vcc, s[10:11]
	s_waitcnt vmcnt(0) lgkmcnt(0)
	v_mul_f64 v[10:11], v[208:209], v[204:205]
	v_mul_f64 v[12:13], v[206:207], v[204:205]
	v_fma_f64 v[10:11], v[206:207], v[202:203], -v[10:11]
	v_fmac_f64_e32 v[12:13], v[208:209], v[202:203]
	v_add_f64 v[2:3], v[2:3], v[10:11]
	v_add_f64 v[4:5], v[4:5], v[12:13]
	s_andn2_b64 exec, exec, s[10:11]
	s_cbranch_execnz .LBB63_547
; %bb.548:
	s_or_b64 exec, exec, s[10:11]
.LBB63_549:
	s_or_b64 exec, exec, s[0:1]
.LBB63_550:
	s_or_b64 exec, exec, s[8:9]
	v_mov_b32_e32 v6, 0
	ds_read_b128 v[202:205], v6 offset:368
	s_waitcnt lgkmcnt(0)
	v_mul_f64 v[6:7], v[4:5], v[204:205]
	v_mul_f64 v[206:207], v[2:3], v[204:205]
	v_fma_f64 v[204:205], v[2:3], v[202:203], -v[6:7]
	v_fmac_f64_e32 v[206:207], v[4:5], v[202:203]
	scratch_store_dwordx4 off, v[204:207], off offset:368
.LBB63_551:
	s_or_b64 exec, exec, s[4:5]
	scratch_load_dwordx4 v[2:5], v179, off
	v_cmp_lt_u32_e64 s[0:1], 22, v0
	s_waitcnt vmcnt(0)
	ds_write_b128 v9, v[2:5]
	s_waitcnt lgkmcnt(0)
	; wave barrier
	s_waitcnt lgkmcnt(0)
	s_and_saveexec_b64 s[4:5], s[0:1]
	s_cbranch_execz .LBB63_565
; %bb.552:
	ds_read_b128 v[2:5], v9
	s_andn2_b64 vcc, exec, s[6:7]
	s_cbranch_vccnz .LBB63_554
; %bb.553:
	scratch_load_dwordx4 v[202:205], v8, off
	s_waitcnt vmcnt(0) lgkmcnt(0)
	v_mul_f64 v[10:11], v[2:3], v[204:205]
	v_mul_f64 v[6:7], v[4:5], v[204:205]
	v_fmac_f64_e32 v[10:11], v[4:5], v[202:203]
	v_fma_f64 v[2:3], v[2:3], v[202:203], -v[6:7]
	v_mov_b64_e32 v[4:5], v[10:11]
.LBB63_554:
	s_and_saveexec_b64 s[8:9], s[2:3]
	s_cbranch_execz .LBB63_564
; %bb.555:
	v_subrev_u32_e32 v7, 24, v0
	v_subrev_u32_e32 v6, 23, v0
	v_cmp_lt_u32_e32 vcc, 6, v7
	v_mov_b32_e32 v202, 23
	s_and_saveexec_b64 s[2:3], vcc
	s_cbranch_execz .LBB63_559
; %bb.556:
	v_and_b32_e32 v7, -8, v6
	s_mov_b32 s12, 0
	s_mov_b64 s[10:11], 0
	v_mov_b32_e32 v201, 0
	s_mov_b32 s13, 0
.LBB63_557:                             ; =>This Inner Loop Header: Depth=1
	v_readfirstlane_b32 s14, v201
	s_add_i32 s14, s14, s12
	s_add_i32 s15, s14, 0x170
	v_mov_b32_e32 v28, s12
	ds_read_b128 v[202:205], v28 offset:1392
	ds_read_b128 v[206:209], v28 offset:1408
	;; [unrolled: 1-line block ×4, first 2 shown]
	scratch_load_dwordx4 v[218:221], off, s15
	s_add_i32 s15, s14, 0x180
	s_addk_i32 s12, 0x80
	s_waitcnt vmcnt(0) lgkmcnt(3)
	v_mul_f64 v[10:11], v[204:205], v[220:221]
	v_mul_f64 v[12:13], v[202:203], v[220:221]
	v_fma_f64 v[10:11], v[202:203], v[218:219], -v[10:11]
	v_fmac_f64_e32 v[12:13], v[204:205], v[218:219]
	v_add_f64 v[10:11], v[2:3], v[10:11]
	v_add_f64 v[12:13], v[4:5], v[12:13]
	scratch_load_dwordx4 v[2:5], off, s15
	s_add_i32 s15, s14, 0x190
	s_waitcnt vmcnt(0) lgkmcnt(2)
	v_mul_f64 v[22:23], v[208:209], v[4:5]
	v_mul_f64 v[4:5], v[206:207], v[4:5]
	v_fmac_f64_e32 v[4:5], v[208:209], v[2:3]
	v_fma_f64 v[22:23], v[206:207], v[2:3], -v[22:23]
	v_add_f64 v[12:13], v[12:13], v[4:5]
	scratch_load_dwordx4 v[2:5], off, s15
	v_add_f64 v[10:11], v[10:11], v[22:23]
	s_add_i32 s15, s14, 0x1a0
	s_waitcnt vmcnt(0) lgkmcnt(1)
	v_mul_f64 v[22:23], v[212:213], v[4:5]
	v_mul_f64 v[4:5], v[210:211], v[4:5]
	v_fmac_f64_e32 v[4:5], v[212:213], v[2:3]
	v_fma_f64 v[22:23], v[210:211], v[2:3], -v[22:23]
	v_add_f64 v[12:13], v[12:13], v[4:5]
	scratch_load_dwordx4 v[2:5], off, s15
	s_add_i32 s15, s14, 0x1b0
	scratch_load_dwordx4 v[202:205], off, s15
	v_add_f64 v[10:11], v[10:11], v[22:23]
	s_add_i32 s15, s14, 0x1c0
	s_waitcnt vmcnt(1) lgkmcnt(0)
	v_mul_f64 v[22:23], v[216:217], v[4:5]
	v_mul_f64 v[4:5], v[214:215], v[4:5]
	v_fmac_f64_e32 v[4:5], v[216:217], v[2:3]
	v_fma_f64 v[22:23], v[214:215], v[2:3], -v[22:23]
	v_add_f64 v[12:13], v[12:13], v[4:5]
	ds_read_b128 v[2:5], v28 offset:1456
	v_add_f64 v[10:11], v[10:11], v[22:23]
	s_waitcnt vmcnt(0) lgkmcnt(0)
	v_mul_f64 v[22:23], v[4:5], v[204:205]
	v_fma_f64 v[22:23], v[2:3], v[202:203], -v[22:23]
	v_mul_f64 v[2:3], v[2:3], v[204:205]
	v_fmac_f64_e32 v[2:3], v[4:5], v[202:203]
	scratch_load_dwordx4 v[202:205], off, s15
	v_add_f64 v[12:13], v[12:13], v[2:3]
	ds_read_b128 v[2:5], v28 offset:1472
	v_add_f64 v[10:11], v[10:11], v[22:23]
	s_add_i32 s15, s14, 0x1d0
	s_addk_i32 s14, 0x1e0
	s_waitcnt vmcnt(0) lgkmcnt(0)
	v_mul_f64 v[22:23], v[4:5], v[204:205]
	v_fma_f64 v[22:23], v[2:3], v[202:203], -v[22:23]
	v_mul_f64 v[2:3], v[2:3], v[204:205]
	v_fmac_f64_e32 v[2:3], v[4:5], v[202:203]
	scratch_load_dwordx4 v[202:205], off, s15
	v_add_f64 v[12:13], v[12:13], v[2:3]
	ds_read_b128 v[2:5], v28 offset:1488
	v_add_f64 v[10:11], v[10:11], v[22:23]
	s_waitcnt vmcnt(0) lgkmcnt(0)
	v_mul_f64 v[22:23], v[4:5], v[204:205]
	v_fma_f64 v[22:23], v[2:3], v[202:203], -v[22:23]
	v_mul_f64 v[2:3], v[2:3], v[204:205]
	v_fmac_f64_e32 v[2:3], v[4:5], v[202:203]
	scratch_load_dwordx4 v[202:205], off, s14
	v_add_f64 v[12:13], v[12:13], v[2:3]
	ds_read_b128 v[2:5], v28 offset:1504
	v_add_f64 v[10:11], v[10:11], v[22:23]
	s_add_i32 s14, s13, 8
	v_cmp_eq_u32_e32 vcc, s14, v7
	s_add_i32 s13, s13, 31
	s_or_b64 s[10:11], vcc, s[10:11]
	s_waitcnt vmcnt(0) lgkmcnt(0)
	v_mul_f64 v[22:23], v[4:5], v[204:205]
	v_mul_f64 v[28:29], v[2:3], v[204:205]
	v_fma_f64 v[22:23], v[2:3], v[202:203], -v[22:23]
	v_fmac_f64_e32 v[28:29], v[4:5], v[202:203]
	v_add_f64 v[2:3], v[10:11], v[22:23]
	v_add_f64 v[4:5], v[12:13], v[28:29]
	v_mov_b32_e32 v202, s13
	s_mov_b32 s13, s14
	s_andn2_b64 exec, exec, s[10:11]
	s_cbranch_execnz .LBB63_557
; %bb.558:
	s_or_b64 exec, exec, s[10:11]
.LBB63_559:
	s_or_b64 exec, exec, s[2:3]
	v_and_b32_e32 v6, 7, v6
	v_cmp_ne_u32_e32 vcc, 0, v6
	s_and_saveexec_b64 s[2:3], vcc
	s_cbranch_execz .LBB63_563
; %bb.560:
	v_lshlrev_b32_e32 v10, 4, v202
	v_add_u32_e32 v7, 0x400, v10
	v_add_u32_e32 v201, 0, v10
	s_mov_b64 s[10:11], 0
.LBB63_561:                             ; =>This Inner Loop Header: Depth=1
	scratch_load_dwordx4 v[202:205], v201, off
	ds_read_b128 v[206:209], v7
	v_add_u32_e32 v6, -1, v6
	v_cmp_eq_u32_e32 vcc, 0, v6
	v_add_u32_e32 v7, 16, v7
	v_add_u32_e32 v201, 16, v201
	s_or_b64 s[10:11], vcc, s[10:11]
	s_waitcnt vmcnt(0) lgkmcnt(0)
	v_mul_f64 v[10:11], v[208:209], v[204:205]
	v_mul_f64 v[12:13], v[206:207], v[204:205]
	v_fma_f64 v[10:11], v[206:207], v[202:203], -v[10:11]
	v_fmac_f64_e32 v[12:13], v[208:209], v[202:203]
	v_add_f64 v[2:3], v[2:3], v[10:11]
	v_add_f64 v[4:5], v[4:5], v[12:13]
	s_andn2_b64 exec, exec, s[10:11]
	s_cbranch_execnz .LBB63_561
; %bb.562:
	s_or_b64 exec, exec, s[10:11]
.LBB63_563:
	s_or_b64 exec, exec, s[2:3]
.LBB63_564:
	s_or_b64 exec, exec, s[8:9]
	v_mov_b32_e32 v6, 0
	ds_read_b128 v[202:205], v6 offset:352
	s_waitcnt lgkmcnt(0)
	v_mul_f64 v[6:7], v[4:5], v[204:205]
	v_mul_f64 v[206:207], v[2:3], v[204:205]
	v_fma_f64 v[204:205], v[2:3], v[202:203], -v[6:7]
	v_fmac_f64_e32 v[206:207], v[4:5], v[202:203]
	scratch_store_dwordx4 off, v[204:207], off offset:352
.LBB63_565:
	s_or_b64 exec, exec, s[4:5]
	scratch_load_dwordx4 v[2:5], v180, off
	v_cmp_lt_u32_e64 s[2:3], 21, v0
	s_waitcnt vmcnt(0)
	ds_write_b128 v9, v[2:5]
	s_waitcnt lgkmcnt(0)
	; wave barrier
	s_waitcnt lgkmcnt(0)
	s_and_saveexec_b64 s[4:5], s[2:3]
	s_cbranch_execz .LBB63_579
; %bb.566:
	ds_read_b128 v[2:5], v9
	s_andn2_b64 vcc, exec, s[6:7]
	s_cbranch_vccnz .LBB63_568
; %bb.567:
	scratch_load_dwordx4 v[202:205], v8, off
	s_waitcnt vmcnt(0) lgkmcnt(0)
	v_mul_f64 v[10:11], v[2:3], v[204:205]
	v_mul_f64 v[6:7], v[4:5], v[204:205]
	v_fmac_f64_e32 v[10:11], v[4:5], v[202:203]
	v_fma_f64 v[2:3], v[2:3], v[202:203], -v[6:7]
	v_mov_b64_e32 v[4:5], v[10:11]
.LBB63_568:
	s_and_saveexec_b64 s[8:9], s[0:1]
	s_cbranch_execz .LBB63_578
; %bb.569:
	v_subrev_u32_e32 v7, 23, v0
	v_subrev_u32_e32 v6, 22, v0
	v_cmp_lt_u32_e32 vcc, 6, v7
	v_mov_b32_e32 v202, 22
	s_and_saveexec_b64 s[0:1], vcc
	s_cbranch_execz .LBB63_573
; %bb.570:
	v_and_b32_e32 v7, -8, v6
	s_mov_b32 s12, 0
	s_mov_b64 s[10:11], 0
	v_mov_b32_e32 v201, 0
	s_mov_b32 s13, 0
.LBB63_571:                             ; =>This Inner Loop Header: Depth=1
	v_readfirstlane_b32 s14, v201
	s_add_i32 s14, s14, s12
	s_add_i32 s15, s14, 0x160
	v_mov_b32_e32 v28, s12
	ds_read_b128 v[202:205], v28 offset:1376
	ds_read_b128 v[206:209], v28 offset:1392
	ds_read_b128 v[210:213], v28 offset:1408
	ds_read_b128 v[214:217], v28 offset:1424
	scratch_load_dwordx4 v[218:221], off, s15
	s_add_i32 s15, s14, 0x170
	s_addk_i32 s12, 0x80
	s_waitcnt vmcnt(0) lgkmcnt(3)
	v_mul_f64 v[10:11], v[204:205], v[220:221]
	v_mul_f64 v[12:13], v[202:203], v[220:221]
	v_fma_f64 v[10:11], v[202:203], v[218:219], -v[10:11]
	v_fmac_f64_e32 v[12:13], v[204:205], v[218:219]
	v_add_f64 v[10:11], v[2:3], v[10:11]
	v_add_f64 v[12:13], v[4:5], v[12:13]
	scratch_load_dwordx4 v[2:5], off, s15
	s_add_i32 s15, s14, 0x180
	s_waitcnt vmcnt(0) lgkmcnt(2)
	v_mul_f64 v[22:23], v[208:209], v[4:5]
	v_mul_f64 v[4:5], v[206:207], v[4:5]
	v_fmac_f64_e32 v[4:5], v[208:209], v[2:3]
	v_fma_f64 v[22:23], v[206:207], v[2:3], -v[22:23]
	v_add_f64 v[12:13], v[12:13], v[4:5]
	scratch_load_dwordx4 v[2:5], off, s15
	v_add_f64 v[10:11], v[10:11], v[22:23]
	s_add_i32 s15, s14, 0x190
	s_waitcnt vmcnt(0) lgkmcnt(1)
	v_mul_f64 v[22:23], v[212:213], v[4:5]
	v_mul_f64 v[4:5], v[210:211], v[4:5]
	v_fmac_f64_e32 v[4:5], v[212:213], v[2:3]
	v_fma_f64 v[22:23], v[210:211], v[2:3], -v[22:23]
	v_add_f64 v[12:13], v[12:13], v[4:5]
	scratch_load_dwordx4 v[2:5], off, s15
	s_add_i32 s15, s14, 0x1a0
	scratch_load_dwordx4 v[202:205], off, s15
	v_add_f64 v[10:11], v[10:11], v[22:23]
	s_add_i32 s15, s14, 0x1b0
	s_waitcnt vmcnt(1) lgkmcnt(0)
	v_mul_f64 v[22:23], v[216:217], v[4:5]
	v_mul_f64 v[4:5], v[214:215], v[4:5]
	v_fmac_f64_e32 v[4:5], v[216:217], v[2:3]
	v_fma_f64 v[22:23], v[214:215], v[2:3], -v[22:23]
	v_add_f64 v[12:13], v[12:13], v[4:5]
	ds_read_b128 v[2:5], v28 offset:1440
	v_add_f64 v[10:11], v[10:11], v[22:23]
	s_waitcnt vmcnt(0) lgkmcnt(0)
	v_mul_f64 v[22:23], v[4:5], v[204:205]
	v_fma_f64 v[22:23], v[2:3], v[202:203], -v[22:23]
	v_mul_f64 v[2:3], v[2:3], v[204:205]
	v_fmac_f64_e32 v[2:3], v[4:5], v[202:203]
	scratch_load_dwordx4 v[202:205], off, s15
	v_add_f64 v[12:13], v[12:13], v[2:3]
	ds_read_b128 v[2:5], v28 offset:1456
	v_add_f64 v[10:11], v[10:11], v[22:23]
	s_add_i32 s15, s14, 0x1c0
	s_addk_i32 s14, 0x1d0
	s_waitcnt vmcnt(0) lgkmcnt(0)
	v_mul_f64 v[22:23], v[4:5], v[204:205]
	v_fma_f64 v[22:23], v[2:3], v[202:203], -v[22:23]
	v_mul_f64 v[2:3], v[2:3], v[204:205]
	v_fmac_f64_e32 v[2:3], v[4:5], v[202:203]
	scratch_load_dwordx4 v[202:205], off, s15
	v_add_f64 v[12:13], v[12:13], v[2:3]
	ds_read_b128 v[2:5], v28 offset:1472
	v_add_f64 v[10:11], v[10:11], v[22:23]
	s_waitcnt vmcnt(0) lgkmcnt(0)
	v_mul_f64 v[22:23], v[4:5], v[204:205]
	v_fma_f64 v[22:23], v[2:3], v[202:203], -v[22:23]
	v_mul_f64 v[2:3], v[2:3], v[204:205]
	v_fmac_f64_e32 v[2:3], v[4:5], v[202:203]
	scratch_load_dwordx4 v[202:205], off, s14
	v_add_f64 v[12:13], v[12:13], v[2:3]
	ds_read_b128 v[2:5], v28 offset:1488
	v_add_f64 v[10:11], v[10:11], v[22:23]
	s_add_i32 s14, s13, 8
	v_cmp_eq_u32_e32 vcc, s14, v7
	s_add_i32 s13, s13, 30
	s_or_b64 s[10:11], vcc, s[10:11]
	s_waitcnt vmcnt(0) lgkmcnt(0)
	v_mul_f64 v[22:23], v[4:5], v[204:205]
	v_mul_f64 v[28:29], v[2:3], v[204:205]
	v_fma_f64 v[22:23], v[2:3], v[202:203], -v[22:23]
	v_fmac_f64_e32 v[28:29], v[4:5], v[202:203]
	v_add_f64 v[2:3], v[10:11], v[22:23]
	v_add_f64 v[4:5], v[12:13], v[28:29]
	v_mov_b32_e32 v202, s13
	s_mov_b32 s13, s14
	s_andn2_b64 exec, exec, s[10:11]
	s_cbranch_execnz .LBB63_571
; %bb.572:
	s_or_b64 exec, exec, s[10:11]
.LBB63_573:
	s_or_b64 exec, exec, s[0:1]
	v_and_b32_e32 v6, 7, v6
	v_cmp_ne_u32_e32 vcc, 0, v6
	s_and_saveexec_b64 s[0:1], vcc
	s_cbranch_execz .LBB63_577
; %bb.574:
	v_lshlrev_b32_e32 v10, 4, v202
	v_add_u32_e32 v7, 0x400, v10
	v_add_u32_e32 v201, 0, v10
	s_mov_b64 s[10:11], 0
.LBB63_575:                             ; =>This Inner Loop Header: Depth=1
	scratch_load_dwordx4 v[202:205], v201, off
	ds_read_b128 v[206:209], v7
	v_add_u32_e32 v6, -1, v6
	v_cmp_eq_u32_e32 vcc, 0, v6
	v_add_u32_e32 v7, 16, v7
	v_add_u32_e32 v201, 16, v201
	s_or_b64 s[10:11], vcc, s[10:11]
	s_waitcnt vmcnt(0) lgkmcnt(0)
	v_mul_f64 v[10:11], v[208:209], v[204:205]
	v_mul_f64 v[12:13], v[206:207], v[204:205]
	v_fma_f64 v[10:11], v[206:207], v[202:203], -v[10:11]
	v_fmac_f64_e32 v[12:13], v[208:209], v[202:203]
	v_add_f64 v[2:3], v[2:3], v[10:11]
	v_add_f64 v[4:5], v[4:5], v[12:13]
	s_andn2_b64 exec, exec, s[10:11]
	s_cbranch_execnz .LBB63_575
; %bb.576:
	s_or_b64 exec, exec, s[10:11]
.LBB63_577:
	s_or_b64 exec, exec, s[0:1]
.LBB63_578:
	s_or_b64 exec, exec, s[8:9]
	v_mov_b32_e32 v6, 0
	ds_read_b128 v[202:205], v6 offset:336
	s_waitcnt lgkmcnt(0)
	v_mul_f64 v[6:7], v[4:5], v[204:205]
	v_mul_f64 v[206:207], v[2:3], v[204:205]
	v_fma_f64 v[204:205], v[2:3], v[202:203], -v[6:7]
	v_fmac_f64_e32 v[206:207], v[4:5], v[202:203]
	scratch_store_dwordx4 off, v[204:207], off offset:336
.LBB63_579:
	s_or_b64 exec, exec, s[4:5]
	scratch_load_dwordx4 v[2:5], v181, off
	v_cmp_lt_u32_e64 s[0:1], 20, v0
	s_waitcnt vmcnt(0)
	ds_write_b128 v9, v[2:5]
	s_waitcnt lgkmcnt(0)
	; wave barrier
	s_waitcnt lgkmcnt(0)
	s_and_saveexec_b64 s[4:5], s[0:1]
	s_cbranch_execz .LBB63_593
; %bb.580:
	ds_read_b128 v[2:5], v9
	s_andn2_b64 vcc, exec, s[6:7]
	s_cbranch_vccnz .LBB63_582
; %bb.581:
	scratch_load_dwordx4 v[202:205], v8, off
	s_waitcnt vmcnt(0) lgkmcnt(0)
	v_mul_f64 v[10:11], v[2:3], v[204:205]
	v_mul_f64 v[6:7], v[4:5], v[204:205]
	v_fmac_f64_e32 v[10:11], v[4:5], v[202:203]
	v_fma_f64 v[2:3], v[2:3], v[202:203], -v[6:7]
	v_mov_b64_e32 v[4:5], v[10:11]
.LBB63_582:
	s_and_saveexec_b64 s[8:9], s[2:3]
	s_cbranch_execz .LBB63_592
; %bb.583:
	v_subrev_u32_e32 v7, 22, v0
	v_subrev_u32_e32 v6, 21, v0
	v_cmp_lt_u32_e32 vcc, 6, v7
	v_mov_b32_e32 v202, 21
	s_and_saveexec_b64 s[2:3], vcc
	s_cbranch_execz .LBB63_587
; %bb.584:
	v_and_b32_e32 v7, -8, v6
	s_mov_b32 s12, 0
	s_mov_b64 s[10:11], 0
	v_mov_b32_e32 v201, 0
	s_mov_b32 s13, 0
.LBB63_585:                             ; =>This Inner Loop Header: Depth=1
	v_readfirstlane_b32 s14, v201
	s_add_i32 s14, s14, s12
	s_add_i32 s15, s14, 0x150
	v_mov_b32_e32 v28, s12
	ds_read_b128 v[202:205], v28 offset:1360
	ds_read_b128 v[206:209], v28 offset:1376
	;; [unrolled: 1-line block ×4, first 2 shown]
	scratch_load_dwordx4 v[218:221], off, s15
	s_add_i32 s15, s14, 0x160
	s_addk_i32 s12, 0x80
	s_waitcnt vmcnt(0) lgkmcnt(3)
	v_mul_f64 v[10:11], v[204:205], v[220:221]
	v_mul_f64 v[12:13], v[202:203], v[220:221]
	v_fma_f64 v[10:11], v[202:203], v[218:219], -v[10:11]
	v_fmac_f64_e32 v[12:13], v[204:205], v[218:219]
	v_add_f64 v[10:11], v[2:3], v[10:11]
	v_add_f64 v[12:13], v[4:5], v[12:13]
	scratch_load_dwordx4 v[2:5], off, s15
	s_add_i32 s15, s14, 0x170
	s_waitcnt vmcnt(0) lgkmcnt(2)
	v_mul_f64 v[22:23], v[208:209], v[4:5]
	v_mul_f64 v[4:5], v[206:207], v[4:5]
	v_fmac_f64_e32 v[4:5], v[208:209], v[2:3]
	v_fma_f64 v[22:23], v[206:207], v[2:3], -v[22:23]
	v_add_f64 v[12:13], v[12:13], v[4:5]
	scratch_load_dwordx4 v[2:5], off, s15
	v_add_f64 v[10:11], v[10:11], v[22:23]
	s_add_i32 s15, s14, 0x180
	s_waitcnt vmcnt(0) lgkmcnt(1)
	v_mul_f64 v[22:23], v[212:213], v[4:5]
	v_mul_f64 v[4:5], v[210:211], v[4:5]
	v_fmac_f64_e32 v[4:5], v[212:213], v[2:3]
	v_fma_f64 v[22:23], v[210:211], v[2:3], -v[22:23]
	v_add_f64 v[12:13], v[12:13], v[4:5]
	scratch_load_dwordx4 v[2:5], off, s15
	s_add_i32 s15, s14, 0x190
	scratch_load_dwordx4 v[202:205], off, s15
	v_add_f64 v[10:11], v[10:11], v[22:23]
	s_add_i32 s15, s14, 0x1a0
	s_waitcnt vmcnt(1) lgkmcnt(0)
	v_mul_f64 v[22:23], v[216:217], v[4:5]
	v_mul_f64 v[4:5], v[214:215], v[4:5]
	v_fmac_f64_e32 v[4:5], v[216:217], v[2:3]
	v_fma_f64 v[22:23], v[214:215], v[2:3], -v[22:23]
	v_add_f64 v[12:13], v[12:13], v[4:5]
	ds_read_b128 v[2:5], v28 offset:1424
	v_add_f64 v[10:11], v[10:11], v[22:23]
	s_waitcnt vmcnt(0) lgkmcnt(0)
	v_mul_f64 v[22:23], v[4:5], v[204:205]
	v_fma_f64 v[22:23], v[2:3], v[202:203], -v[22:23]
	v_mul_f64 v[2:3], v[2:3], v[204:205]
	v_fmac_f64_e32 v[2:3], v[4:5], v[202:203]
	scratch_load_dwordx4 v[202:205], off, s15
	v_add_f64 v[12:13], v[12:13], v[2:3]
	ds_read_b128 v[2:5], v28 offset:1440
	v_add_f64 v[10:11], v[10:11], v[22:23]
	s_add_i32 s15, s14, 0x1b0
	s_addk_i32 s14, 0x1c0
	s_waitcnt vmcnt(0) lgkmcnt(0)
	v_mul_f64 v[22:23], v[4:5], v[204:205]
	v_fma_f64 v[22:23], v[2:3], v[202:203], -v[22:23]
	v_mul_f64 v[2:3], v[2:3], v[204:205]
	v_fmac_f64_e32 v[2:3], v[4:5], v[202:203]
	scratch_load_dwordx4 v[202:205], off, s15
	v_add_f64 v[12:13], v[12:13], v[2:3]
	ds_read_b128 v[2:5], v28 offset:1456
	v_add_f64 v[10:11], v[10:11], v[22:23]
	s_waitcnt vmcnt(0) lgkmcnt(0)
	v_mul_f64 v[22:23], v[4:5], v[204:205]
	v_fma_f64 v[22:23], v[2:3], v[202:203], -v[22:23]
	v_mul_f64 v[2:3], v[2:3], v[204:205]
	v_fmac_f64_e32 v[2:3], v[4:5], v[202:203]
	scratch_load_dwordx4 v[202:205], off, s14
	v_add_f64 v[12:13], v[12:13], v[2:3]
	ds_read_b128 v[2:5], v28 offset:1472
	v_add_f64 v[10:11], v[10:11], v[22:23]
	s_add_i32 s14, s13, 8
	v_cmp_eq_u32_e32 vcc, s14, v7
	s_add_i32 s13, s13, 29
	s_or_b64 s[10:11], vcc, s[10:11]
	s_waitcnt vmcnt(0) lgkmcnt(0)
	v_mul_f64 v[22:23], v[4:5], v[204:205]
	v_mul_f64 v[28:29], v[2:3], v[204:205]
	v_fma_f64 v[22:23], v[2:3], v[202:203], -v[22:23]
	v_fmac_f64_e32 v[28:29], v[4:5], v[202:203]
	v_add_f64 v[2:3], v[10:11], v[22:23]
	v_add_f64 v[4:5], v[12:13], v[28:29]
	v_mov_b32_e32 v202, s13
	s_mov_b32 s13, s14
	s_andn2_b64 exec, exec, s[10:11]
	s_cbranch_execnz .LBB63_585
; %bb.586:
	s_or_b64 exec, exec, s[10:11]
.LBB63_587:
	s_or_b64 exec, exec, s[2:3]
	v_and_b32_e32 v6, 7, v6
	v_cmp_ne_u32_e32 vcc, 0, v6
	s_and_saveexec_b64 s[2:3], vcc
	s_cbranch_execz .LBB63_591
; %bb.588:
	v_lshlrev_b32_e32 v10, 4, v202
	v_add_u32_e32 v7, 0x400, v10
	v_add_u32_e32 v201, 0, v10
	s_mov_b64 s[10:11], 0
.LBB63_589:                             ; =>This Inner Loop Header: Depth=1
	scratch_load_dwordx4 v[202:205], v201, off
	ds_read_b128 v[206:209], v7
	v_add_u32_e32 v6, -1, v6
	v_cmp_eq_u32_e32 vcc, 0, v6
	v_add_u32_e32 v7, 16, v7
	v_add_u32_e32 v201, 16, v201
	s_or_b64 s[10:11], vcc, s[10:11]
	s_waitcnt vmcnt(0) lgkmcnt(0)
	v_mul_f64 v[10:11], v[208:209], v[204:205]
	v_mul_f64 v[12:13], v[206:207], v[204:205]
	v_fma_f64 v[10:11], v[206:207], v[202:203], -v[10:11]
	v_fmac_f64_e32 v[12:13], v[208:209], v[202:203]
	v_add_f64 v[2:3], v[2:3], v[10:11]
	v_add_f64 v[4:5], v[4:5], v[12:13]
	s_andn2_b64 exec, exec, s[10:11]
	s_cbranch_execnz .LBB63_589
; %bb.590:
	s_or_b64 exec, exec, s[10:11]
.LBB63_591:
	s_or_b64 exec, exec, s[2:3]
.LBB63_592:
	s_or_b64 exec, exec, s[8:9]
	v_mov_b32_e32 v6, 0
	ds_read_b128 v[202:205], v6 offset:320
	s_waitcnt lgkmcnt(0)
	v_mul_f64 v[6:7], v[4:5], v[204:205]
	v_mul_f64 v[206:207], v[2:3], v[204:205]
	v_fma_f64 v[204:205], v[2:3], v[202:203], -v[6:7]
	v_fmac_f64_e32 v[206:207], v[4:5], v[202:203]
	scratch_store_dwordx4 off, v[204:207], off offset:320
.LBB63_593:
	s_or_b64 exec, exec, s[4:5]
	scratch_load_dwordx4 v[2:5], v182, off
	v_cmp_lt_u32_e64 s[2:3], 19, v0
	s_waitcnt vmcnt(0)
	ds_write_b128 v9, v[2:5]
	s_waitcnt lgkmcnt(0)
	; wave barrier
	s_waitcnt lgkmcnt(0)
	s_and_saveexec_b64 s[4:5], s[2:3]
	s_cbranch_execz .LBB63_607
; %bb.594:
	ds_read_b128 v[2:5], v9
	s_andn2_b64 vcc, exec, s[6:7]
	s_cbranch_vccnz .LBB63_596
; %bb.595:
	scratch_load_dwordx4 v[202:205], v8, off
	s_waitcnt vmcnt(0) lgkmcnt(0)
	v_mul_f64 v[10:11], v[2:3], v[204:205]
	v_mul_f64 v[6:7], v[4:5], v[204:205]
	v_fmac_f64_e32 v[10:11], v[4:5], v[202:203]
	v_fma_f64 v[2:3], v[2:3], v[202:203], -v[6:7]
	v_mov_b64_e32 v[4:5], v[10:11]
.LBB63_596:
	s_and_saveexec_b64 s[8:9], s[0:1]
	s_cbranch_execz .LBB63_606
; %bb.597:
	v_subrev_u32_e32 v7, 21, v0
	v_subrev_u32_e32 v6, 20, v0
	v_cmp_lt_u32_e32 vcc, 6, v7
	v_mov_b32_e32 v202, 20
	s_and_saveexec_b64 s[0:1], vcc
	s_cbranch_execz .LBB63_601
; %bb.598:
	v_and_b32_e32 v7, -8, v6
	s_mov_b32 s12, 0
	s_mov_b64 s[10:11], 0
	v_mov_b32_e32 v201, 0
	s_mov_b32 s13, 0
.LBB63_599:                             ; =>This Inner Loop Header: Depth=1
	v_readfirstlane_b32 s14, v201
	s_add_i32 s14, s14, s12
	s_add_i32 s15, s14, 0x140
	v_mov_b32_e32 v28, s12
	ds_read_b128 v[202:205], v28 offset:1344
	ds_read_b128 v[206:209], v28 offset:1360
	;; [unrolled: 1-line block ×4, first 2 shown]
	scratch_load_dwordx4 v[218:221], off, s15
	s_add_i32 s15, s14, 0x150
	s_addk_i32 s12, 0x80
	s_waitcnt vmcnt(0) lgkmcnt(3)
	v_mul_f64 v[10:11], v[204:205], v[220:221]
	v_mul_f64 v[12:13], v[202:203], v[220:221]
	v_fma_f64 v[10:11], v[202:203], v[218:219], -v[10:11]
	v_fmac_f64_e32 v[12:13], v[204:205], v[218:219]
	v_add_f64 v[10:11], v[2:3], v[10:11]
	v_add_f64 v[12:13], v[4:5], v[12:13]
	scratch_load_dwordx4 v[2:5], off, s15
	s_add_i32 s15, s14, 0x160
	s_waitcnt vmcnt(0) lgkmcnt(2)
	v_mul_f64 v[22:23], v[208:209], v[4:5]
	v_mul_f64 v[4:5], v[206:207], v[4:5]
	v_fmac_f64_e32 v[4:5], v[208:209], v[2:3]
	v_fma_f64 v[22:23], v[206:207], v[2:3], -v[22:23]
	v_add_f64 v[12:13], v[12:13], v[4:5]
	scratch_load_dwordx4 v[2:5], off, s15
	v_add_f64 v[10:11], v[10:11], v[22:23]
	s_add_i32 s15, s14, 0x170
	s_waitcnt vmcnt(0) lgkmcnt(1)
	v_mul_f64 v[22:23], v[212:213], v[4:5]
	v_mul_f64 v[4:5], v[210:211], v[4:5]
	v_fmac_f64_e32 v[4:5], v[212:213], v[2:3]
	v_fma_f64 v[22:23], v[210:211], v[2:3], -v[22:23]
	v_add_f64 v[12:13], v[12:13], v[4:5]
	scratch_load_dwordx4 v[2:5], off, s15
	s_add_i32 s15, s14, 0x180
	scratch_load_dwordx4 v[202:205], off, s15
	v_add_f64 v[10:11], v[10:11], v[22:23]
	s_add_i32 s15, s14, 0x190
	s_waitcnt vmcnt(1) lgkmcnt(0)
	v_mul_f64 v[22:23], v[216:217], v[4:5]
	v_mul_f64 v[4:5], v[214:215], v[4:5]
	v_fmac_f64_e32 v[4:5], v[216:217], v[2:3]
	v_fma_f64 v[22:23], v[214:215], v[2:3], -v[22:23]
	v_add_f64 v[12:13], v[12:13], v[4:5]
	ds_read_b128 v[2:5], v28 offset:1408
	v_add_f64 v[10:11], v[10:11], v[22:23]
	s_waitcnt vmcnt(0) lgkmcnt(0)
	v_mul_f64 v[22:23], v[4:5], v[204:205]
	v_fma_f64 v[22:23], v[2:3], v[202:203], -v[22:23]
	v_mul_f64 v[2:3], v[2:3], v[204:205]
	v_fmac_f64_e32 v[2:3], v[4:5], v[202:203]
	scratch_load_dwordx4 v[202:205], off, s15
	v_add_f64 v[12:13], v[12:13], v[2:3]
	ds_read_b128 v[2:5], v28 offset:1424
	v_add_f64 v[10:11], v[10:11], v[22:23]
	s_add_i32 s15, s14, 0x1a0
	s_addk_i32 s14, 0x1b0
	s_waitcnt vmcnt(0) lgkmcnt(0)
	v_mul_f64 v[22:23], v[4:5], v[204:205]
	v_fma_f64 v[22:23], v[2:3], v[202:203], -v[22:23]
	v_mul_f64 v[2:3], v[2:3], v[204:205]
	v_fmac_f64_e32 v[2:3], v[4:5], v[202:203]
	scratch_load_dwordx4 v[202:205], off, s15
	v_add_f64 v[12:13], v[12:13], v[2:3]
	ds_read_b128 v[2:5], v28 offset:1440
	v_add_f64 v[10:11], v[10:11], v[22:23]
	s_waitcnt vmcnt(0) lgkmcnt(0)
	v_mul_f64 v[22:23], v[4:5], v[204:205]
	v_fma_f64 v[22:23], v[2:3], v[202:203], -v[22:23]
	v_mul_f64 v[2:3], v[2:3], v[204:205]
	v_fmac_f64_e32 v[2:3], v[4:5], v[202:203]
	scratch_load_dwordx4 v[202:205], off, s14
	v_add_f64 v[12:13], v[12:13], v[2:3]
	ds_read_b128 v[2:5], v28 offset:1456
	v_add_f64 v[10:11], v[10:11], v[22:23]
	s_add_i32 s14, s13, 8
	v_cmp_eq_u32_e32 vcc, s14, v7
	s_add_i32 s13, s13, 28
	s_or_b64 s[10:11], vcc, s[10:11]
	s_waitcnt vmcnt(0) lgkmcnt(0)
	v_mul_f64 v[22:23], v[4:5], v[204:205]
	v_mul_f64 v[28:29], v[2:3], v[204:205]
	v_fma_f64 v[22:23], v[2:3], v[202:203], -v[22:23]
	v_fmac_f64_e32 v[28:29], v[4:5], v[202:203]
	v_add_f64 v[2:3], v[10:11], v[22:23]
	v_add_f64 v[4:5], v[12:13], v[28:29]
	v_mov_b32_e32 v202, s13
	s_mov_b32 s13, s14
	s_andn2_b64 exec, exec, s[10:11]
	s_cbranch_execnz .LBB63_599
; %bb.600:
	s_or_b64 exec, exec, s[10:11]
.LBB63_601:
	s_or_b64 exec, exec, s[0:1]
	v_and_b32_e32 v6, 7, v6
	v_cmp_ne_u32_e32 vcc, 0, v6
	s_and_saveexec_b64 s[0:1], vcc
	s_cbranch_execz .LBB63_605
; %bb.602:
	v_lshlrev_b32_e32 v10, 4, v202
	v_add_u32_e32 v7, 0x400, v10
	v_add_u32_e32 v201, 0, v10
	s_mov_b64 s[10:11], 0
.LBB63_603:                             ; =>This Inner Loop Header: Depth=1
	scratch_load_dwordx4 v[202:205], v201, off
	ds_read_b128 v[206:209], v7
	v_add_u32_e32 v6, -1, v6
	v_cmp_eq_u32_e32 vcc, 0, v6
	v_add_u32_e32 v7, 16, v7
	v_add_u32_e32 v201, 16, v201
	s_or_b64 s[10:11], vcc, s[10:11]
	s_waitcnt vmcnt(0) lgkmcnt(0)
	v_mul_f64 v[10:11], v[208:209], v[204:205]
	v_mul_f64 v[12:13], v[206:207], v[204:205]
	v_fma_f64 v[10:11], v[206:207], v[202:203], -v[10:11]
	v_fmac_f64_e32 v[12:13], v[208:209], v[202:203]
	v_add_f64 v[2:3], v[2:3], v[10:11]
	v_add_f64 v[4:5], v[4:5], v[12:13]
	s_andn2_b64 exec, exec, s[10:11]
	s_cbranch_execnz .LBB63_603
; %bb.604:
	s_or_b64 exec, exec, s[10:11]
.LBB63_605:
	s_or_b64 exec, exec, s[0:1]
.LBB63_606:
	s_or_b64 exec, exec, s[8:9]
	v_mov_b32_e32 v6, 0
	ds_read_b128 v[202:205], v6 offset:304
	s_waitcnt lgkmcnt(0)
	v_mul_f64 v[6:7], v[4:5], v[204:205]
	v_mul_f64 v[206:207], v[2:3], v[204:205]
	v_fma_f64 v[204:205], v[2:3], v[202:203], -v[6:7]
	v_fmac_f64_e32 v[206:207], v[4:5], v[202:203]
	scratch_store_dwordx4 off, v[204:207], off offset:304
.LBB63_607:
	s_or_b64 exec, exec, s[4:5]
	scratch_load_dwordx4 v[2:5], v183, off
	v_cmp_lt_u32_e64 s[0:1], 18, v0
	s_waitcnt vmcnt(0)
	ds_write_b128 v9, v[2:5]
	s_waitcnt lgkmcnt(0)
	; wave barrier
	s_waitcnt lgkmcnt(0)
	s_and_saveexec_b64 s[4:5], s[0:1]
	s_cbranch_execz .LBB63_621
; %bb.608:
	ds_read_b128 v[2:5], v9
	s_andn2_b64 vcc, exec, s[6:7]
	s_cbranch_vccnz .LBB63_610
; %bb.609:
	scratch_load_dwordx4 v[202:205], v8, off
	s_waitcnt vmcnt(0) lgkmcnt(0)
	v_mul_f64 v[10:11], v[2:3], v[204:205]
	v_mul_f64 v[6:7], v[4:5], v[204:205]
	v_fmac_f64_e32 v[10:11], v[4:5], v[202:203]
	v_fma_f64 v[2:3], v[2:3], v[202:203], -v[6:7]
	v_mov_b64_e32 v[4:5], v[10:11]
.LBB63_610:
	s_and_saveexec_b64 s[8:9], s[2:3]
	s_cbranch_execz .LBB63_620
; %bb.611:
	v_subrev_u32_e32 v7, 20, v0
	v_subrev_u32_e32 v6, 19, v0
	v_cmp_lt_u32_e32 vcc, 6, v7
	v_mov_b32_e32 v202, 19
	s_and_saveexec_b64 s[2:3], vcc
	s_cbranch_execz .LBB63_615
; %bb.612:
	v_and_b32_e32 v7, -8, v6
	s_mov_b32 s12, 0
	s_mov_b64 s[10:11], 0
	v_mov_b32_e32 v201, 0
	s_mov_b32 s13, 0
.LBB63_613:                             ; =>This Inner Loop Header: Depth=1
	v_readfirstlane_b32 s14, v201
	s_add_i32 s14, s14, s12
	s_add_i32 s15, s14, 0x130
	v_mov_b32_e32 v28, s12
	ds_read_b128 v[202:205], v28 offset:1328
	ds_read_b128 v[206:209], v28 offset:1344
	;; [unrolled: 1-line block ×4, first 2 shown]
	scratch_load_dwordx4 v[218:221], off, s15
	s_add_i32 s15, s14, 0x140
	s_addk_i32 s12, 0x80
	s_waitcnt vmcnt(0) lgkmcnt(3)
	v_mul_f64 v[10:11], v[204:205], v[220:221]
	v_mul_f64 v[12:13], v[202:203], v[220:221]
	v_fma_f64 v[10:11], v[202:203], v[218:219], -v[10:11]
	v_fmac_f64_e32 v[12:13], v[204:205], v[218:219]
	v_add_f64 v[10:11], v[2:3], v[10:11]
	v_add_f64 v[12:13], v[4:5], v[12:13]
	scratch_load_dwordx4 v[2:5], off, s15
	s_add_i32 s15, s14, 0x150
	s_waitcnt vmcnt(0) lgkmcnt(2)
	v_mul_f64 v[22:23], v[208:209], v[4:5]
	v_mul_f64 v[4:5], v[206:207], v[4:5]
	v_fmac_f64_e32 v[4:5], v[208:209], v[2:3]
	v_fma_f64 v[22:23], v[206:207], v[2:3], -v[22:23]
	v_add_f64 v[12:13], v[12:13], v[4:5]
	scratch_load_dwordx4 v[2:5], off, s15
	v_add_f64 v[10:11], v[10:11], v[22:23]
	s_add_i32 s15, s14, 0x160
	s_waitcnt vmcnt(0) lgkmcnt(1)
	v_mul_f64 v[22:23], v[212:213], v[4:5]
	v_mul_f64 v[4:5], v[210:211], v[4:5]
	v_fmac_f64_e32 v[4:5], v[212:213], v[2:3]
	v_fma_f64 v[22:23], v[210:211], v[2:3], -v[22:23]
	v_add_f64 v[12:13], v[12:13], v[4:5]
	scratch_load_dwordx4 v[2:5], off, s15
	s_add_i32 s15, s14, 0x170
	scratch_load_dwordx4 v[202:205], off, s15
	v_add_f64 v[10:11], v[10:11], v[22:23]
	s_add_i32 s15, s14, 0x180
	s_waitcnt vmcnt(1) lgkmcnt(0)
	v_mul_f64 v[22:23], v[216:217], v[4:5]
	v_mul_f64 v[4:5], v[214:215], v[4:5]
	v_fmac_f64_e32 v[4:5], v[216:217], v[2:3]
	v_fma_f64 v[22:23], v[214:215], v[2:3], -v[22:23]
	v_add_f64 v[12:13], v[12:13], v[4:5]
	ds_read_b128 v[2:5], v28 offset:1392
	v_add_f64 v[10:11], v[10:11], v[22:23]
	s_waitcnt vmcnt(0) lgkmcnt(0)
	v_mul_f64 v[22:23], v[4:5], v[204:205]
	v_fma_f64 v[22:23], v[2:3], v[202:203], -v[22:23]
	v_mul_f64 v[2:3], v[2:3], v[204:205]
	v_fmac_f64_e32 v[2:3], v[4:5], v[202:203]
	scratch_load_dwordx4 v[202:205], off, s15
	v_add_f64 v[12:13], v[12:13], v[2:3]
	ds_read_b128 v[2:5], v28 offset:1408
	v_add_f64 v[10:11], v[10:11], v[22:23]
	s_add_i32 s15, s14, 0x190
	s_addk_i32 s14, 0x1a0
	s_waitcnt vmcnt(0) lgkmcnt(0)
	v_mul_f64 v[22:23], v[4:5], v[204:205]
	v_fma_f64 v[22:23], v[2:3], v[202:203], -v[22:23]
	v_mul_f64 v[2:3], v[2:3], v[204:205]
	v_fmac_f64_e32 v[2:3], v[4:5], v[202:203]
	scratch_load_dwordx4 v[202:205], off, s15
	v_add_f64 v[12:13], v[12:13], v[2:3]
	ds_read_b128 v[2:5], v28 offset:1424
	v_add_f64 v[10:11], v[10:11], v[22:23]
	s_waitcnt vmcnt(0) lgkmcnt(0)
	v_mul_f64 v[22:23], v[4:5], v[204:205]
	v_fma_f64 v[22:23], v[2:3], v[202:203], -v[22:23]
	v_mul_f64 v[2:3], v[2:3], v[204:205]
	v_fmac_f64_e32 v[2:3], v[4:5], v[202:203]
	scratch_load_dwordx4 v[202:205], off, s14
	v_add_f64 v[12:13], v[12:13], v[2:3]
	ds_read_b128 v[2:5], v28 offset:1440
	v_add_f64 v[10:11], v[10:11], v[22:23]
	s_add_i32 s14, s13, 8
	v_cmp_eq_u32_e32 vcc, s14, v7
	s_add_i32 s13, s13, 27
	s_or_b64 s[10:11], vcc, s[10:11]
	s_waitcnt vmcnt(0) lgkmcnt(0)
	v_mul_f64 v[22:23], v[4:5], v[204:205]
	v_mul_f64 v[28:29], v[2:3], v[204:205]
	v_fma_f64 v[22:23], v[2:3], v[202:203], -v[22:23]
	v_fmac_f64_e32 v[28:29], v[4:5], v[202:203]
	v_add_f64 v[2:3], v[10:11], v[22:23]
	v_add_f64 v[4:5], v[12:13], v[28:29]
	v_mov_b32_e32 v202, s13
	s_mov_b32 s13, s14
	s_andn2_b64 exec, exec, s[10:11]
	s_cbranch_execnz .LBB63_613
; %bb.614:
	s_or_b64 exec, exec, s[10:11]
.LBB63_615:
	s_or_b64 exec, exec, s[2:3]
	v_and_b32_e32 v6, 7, v6
	v_cmp_ne_u32_e32 vcc, 0, v6
	s_and_saveexec_b64 s[2:3], vcc
	s_cbranch_execz .LBB63_619
; %bb.616:
	v_lshlrev_b32_e32 v10, 4, v202
	v_add_u32_e32 v7, 0x400, v10
	v_add_u32_e32 v201, 0, v10
	s_mov_b64 s[10:11], 0
.LBB63_617:                             ; =>This Inner Loop Header: Depth=1
	scratch_load_dwordx4 v[202:205], v201, off
	ds_read_b128 v[206:209], v7
	v_add_u32_e32 v6, -1, v6
	v_cmp_eq_u32_e32 vcc, 0, v6
	v_add_u32_e32 v7, 16, v7
	v_add_u32_e32 v201, 16, v201
	s_or_b64 s[10:11], vcc, s[10:11]
	s_waitcnt vmcnt(0) lgkmcnt(0)
	v_mul_f64 v[10:11], v[208:209], v[204:205]
	v_mul_f64 v[12:13], v[206:207], v[204:205]
	v_fma_f64 v[10:11], v[206:207], v[202:203], -v[10:11]
	v_fmac_f64_e32 v[12:13], v[208:209], v[202:203]
	v_add_f64 v[2:3], v[2:3], v[10:11]
	v_add_f64 v[4:5], v[4:5], v[12:13]
	s_andn2_b64 exec, exec, s[10:11]
	s_cbranch_execnz .LBB63_617
; %bb.618:
	s_or_b64 exec, exec, s[10:11]
.LBB63_619:
	s_or_b64 exec, exec, s[2:3]
.LBB63_620:
	s_or_b64 exec, exec, s[8:9]
	v_mov_b32_e32 v6, 0
	ds_read_b128 v[202:205], v6 offset:288
	s_waitcnt lgkmcnt(0)
	v_mul_f64 v[6:7], v[4:5], v[204:205]
	v_mul_f64 v[206:207], v[2:3], v[204:205]
	v_fma_f64 v[204:205], v[2:3], v[202:203], -v[6:7]
	v_fmac_f64_e32 v[206:207], v[4:5], v[202:203]
	scratch_store_dwordx4 off, v[204:207], off offset:288
.LBB63_621:
	s_or_b64 exec, exec, s[4:5]
	scratch_load_dwordx4 v[2:5], v184, off
	v_cmp_lt_u32_e64 s[2:3], 17, v0
	s_waitcnt vmcnt(0)
	ds_write_b128 v9, v[2:5]
	s_waitcnt lgkmcnt(0)
	; wave barrier
	s_waitcnt lgkmcnt(0)
	s_and_saveexec_b64 s[4:5], s[2:3]
	s_cbranch_execz .LBB63_635
; %bb.622:
	ds_read_b128 v[2:5], v9
	s_andn2_b64 vcc, exec, s[6:7]
	s_cbranch_vccnz .LBB63_624
; %bb.623:
	scratch_load_dwordx4 v[202:205], v8, off
	s_waitcnt vmcnt(0) lgkmcnt(0)
	v_mul_f64 v[10:11], v[2:3], v[204:205]
	v_mul_f64 v[6:7], v[4:5], v[204:205]
	v_fmac_f64_e32 v[10:11], v[4:5], v[202:203]
	v_fma_f64 v[2:3], v[2:3], v[202:203], -v[6:7]
	v_mov_b64_e32 v[4:5], v[10:11]
.LBB63_624:
	s_and_saveexec_b64 s[8:9], s[0:1]
	s_cbranch_execz .LBB63_634
; %bb.625:
	v_subrev_u32_e32 v7, 19, v0
	v_subrev_u32_e32 v6, 18, v0
	v_cmp_lt_u32_e32 vcc, 6, v7
	v_mov_b32_e32 v202, 18
	s_and_saveexec_b64 s[0:1], vcc
	s_cbranch_execz .LBB63_629
; %bb.626:
	v_and_b32_e32 v7, -8, v6
	s_mov_b32 s12, 0
	s_mov_b64 s[10:11], 0
	v_mov_b32_e32 v201, 0
	s_mov_b32 s13, 0
.LBB63_627:                             ; =>This Inner Loop Header: Depth=1
	v_readfirstlane_b32 s14, v201
	s_add_i32 s14, s14, s12
	s_add_i32 s15, s14, 0x120
	v_mov_b32_e32 v28, s12
	ds_read_b128 v[202:205], v28 offset:1312
	ds_read_b128 v[206:209], v28 offset:1328
	;; [unrolled: 1-line block ×4, first 2 shown]
	scratch_load_dwordx4 v[218:221], off, s15
	s_add_i32 s15, s14, 0x130
	s_addk_i32 s12, 0x80
	s_waitcnt vmcnt(0) lgkmcnt(3)
	v_mul_f64 v[10:11], v[204:205], v[220:221]
	v_mul_f64 v[12:13], v[202:203], v[220:221]
	v_fma_f64 v[10:11], v[202:203], v[218:219], -v[10:11]
	v_fmac_f64_e32 v[12:13], v[204:205], v[218:219]
	v_add_f64 v[10:11], v[2:3], v[10:11]
	v_add_f64 v[12:13], v[4:5], v[12:13]
	scratch_load_dwordx4 v[2:5], off, s15
	s_add_i32 s15, s14, 0x140
	s_waitcnt vmcnt(0) lgkmcnt(2)
	v_mul_f64 v[22:23], v[208:209], v[4:5]
	v_mul_f64 v[4:5], v[206:207], v[4:5]
	v_fmac_f64_e32 v[4:5], v[208:209], v[2:3]
	v_fma_f64 v[22:23], v[206:207], v[2:3], -v[22:23]
	v_add_f64 v[12:13], v[12:13], v[4:5]
	scratch_load_dwordx4 v[2:5], off, s15
	v_add_f64 v[10:11], v[10:11], v[22:23]
	s_add_i32 s15, s14, 0x150
	s_waitcnt vmcnt(0) lgkmcnt(1)
	v_mul_f64 v[22:23], v[212:213], v[4:5]
	v_mul_f64 v[4:5], v[210:211], v[4:5]
	v_fmac_f64_e32 v[4:5], v[212:213], v[2:3]
	v_fma_f64 v[22:23], v[210:211], v[2:3], -v[22:23]
	v_add_f64 v[12:13], v[12:13], v[4:5]
	scratch_load_dwordx4 v[2:5], off, s15
	s_add_i32 s15, s14, 0x160
	scratch_load_dwordx4 v[202:205], off, s15
	v_add_f64 v[10:11], v[10:11], v[22:23]
	s_add_i32 s15, s14, 0x170
	s_waitcnt vmcnt(1) lgkmcnt(0)
	v_mul_f64 v[22:23], v[216:217], v[4:5]
	v_mul_f64 v[4:5], v[214:215], v[4:5]
	v_fmac_f64_e32 v[4:5], v[216:217], v[2:3]
	v_fma_f64 v[22:23], v[214:215], v[2:3], -v[22:23]
	v_add_f64 v[12:13], v[12:13], v[4:5]
	ds_read_b128 v[2:5], v28 offset:1376
	v_add_f64 v[10:11], v[10:11], v[22:23]
	s_waitcnt vmcnt(0) lgkmcnt(0)
	v_mul_f64 v[22:23], v[4:5], v[204:205]
	v_fma_f64 v[22:23], v[2:3], v[202:203], -v[22:23]
	v_mul_f64 v[2:3], v[2:3], v[204:205]
	v_fmac_f64_e32 v[2:3], v[4:5], v[202:203]
	scratch_load_dwordx4 v[202:205], off, s15
	v_add_f64 v[12:13], v[12:13], v[2:3]
	ds_read_b128 v[2:5], v28 offset:1392
	v_add_f64 v[10:11], v[10:11], v[22:23]
	s_add_i32 s15, s14, 0x180
	s_addk_i32 s14, 0x190
	s_waitcnt vmcnt(0) lgkmcnt(0)
	v_mul_f64 v[22:23], v[4:5], v[204:205]
	v_fma_f64 v[22:23], v[2:3], v[202:203], -v[22:23]
	v_mul_f64 v[2:3], v[2:3], v[204:205]
	v_fmac_f64_e32 v[2:3], v[4:5], v[202:203]
	scratch_load_dwordx4 v[202:205], off, s15
	v_add_f64 v[12:13], v[12:13], v[2:3]
	ds_read_b128 v[2:5], v28 offset:1408
	v_add_f64 v[10:11], v[10:11], v[22:23]
	s_waitcnt vmcnt(0) lgkmcnt(0)
	v_mul_f64 v[22:23], v[4:5], v[204:205]
	v_fma_f64 v[22:23], v[2:3], v[202:203], -v[22:23]
	v_mul_f64 v[2:3], v[2:3], v[204:205]
	v_fmac_f64_e32 v[2:3], v[4:5], v[202:203]
	scratch_load_dwordx4 v[202:205], off, s14
	v_add_f64 v[12:13], v[12:13], v[2:3]
	ds_read_b128 v[2:5], v28 offset:1424
	v_add_f64 v[10:11], v[10:11], v[22:23]
	s_add_i32 s14, s13, 8
	v_cmp_eq_u32_e32 vcc, s14, v7
	s_add_i32 s13, s13, 26
	s_or_b64 s[10:11], vcc, s[10:11]
	s_waitcnt vmcnt(0) lgkmcnt(0)
	v_mul_f64 v[22:23], v[4:5], v[204:205]
	v_mul_f64 v[28:29], v[2:3], v[204:205]
	v_fma_f64 v[22:23], v[2:3], v[202:203], -v[22:23]
	v_fmac_f64_e32 v[28:29], v[4:5], v[202:203]
	v_add_f64 v[2:3], v[10:11], v[22:23]
	v_add_f64 v[4:5], v[12:13], v[28:29]
	v_mov_b32_e32 v202, s13
	s_mov_b32 s13, s14
	s_andn2_b64 exec, exec, s[10:11]
	s_cbranch_execnz .LBB63_627
; %bb.628:
	s_or_b64 exec, exec, s[10:11]
.LBB63_629:
	s_or_b64 exec, exec, s[0:1]
	v_and_b32_e32 v6, 7, v6
	v_cmp_ne_u32_e32 vcc, 0, v6
	s_and_saveexec_b64 s[0:1], vcc
	s_cbranch_execz .LBB63_633
; %bb.630:
	v_lshlrev_b32_e32 v10, 4, v202
	v_add_u32_e32 v7, 0x400, v10
	v_add_u32_e32 v201, 0, v10
	s_mov_b64 s[10:11], 0
.LBB63_631:                             ; =>This Inner Loop Header: Depth=1
	scratch_load_dwordx4 v[202:205], v201, off
	ds_read_b128 v[206:209], v7
	v_add_u32_e32 v6, -1, v6
	v_cmp_eq_u32_e32 vcc, 0, v6
	v_add_u32_e32 v7, 16, v7
	v_add_u32_e32 v201, 16, v201
	s_or_b64 s[10:11], vcc, s[10:11]
	s_waitcnt vmcnt(0) lgkmcnt(0)
	v_mul_f64 v[10:11], v[208:209], v[204:205]
	v_mul_f64 v[12:13], v[206:207], v[204:205]
	v_fma_f64 v[10:11], v[206:207], v[202:203], -v[10:11]
	v_fmac_f64_e32 v[12:13], v[208:209], v[202:203]
	v_add_f64 v[2:3], v[2:3], v[10:11]
	v_add_f64 v[4:5], v[4:5], v[12:13]
	s_andn2_b64 exec, exec, s[10:11]
	s_cbranch_execnz .LBB63_631
; %bb.632:
	s_or_b64 exec, exec, s[10:11]
.LBB63_633:
	s_or_b64 exec, exec, s[0:1]
.LBB63_634:
	s_or_b64 exec, exec, s[8:9]
	v_mov_b32_e32 v6, 0
	ds_read_b128 v[202:205], v6 offset:272
	s_waitcnt lgkmcnt(0)
	v_mul_f64 v[6:7], v[4:5], v[204:205]
	v_mul_f64 v[206:207], v[2:3], v[204:205]
	v_fma_f64 v[204:205], v[2:3], v[202:203], -v[6:7]
	v_fmac_f64_e32 v[206:207], v[4:5], v[202:203]
	scratch_store_dwordx4 off, v[204:207], off offset:272
.LBB63_635:
	s_or_b64 exec, exec, s[4:5]
	scratch_load_dwordx4 v[2:5], v185, off
	v_cmp_lt_u32_e64 s[0:1], 16, v0
	s_waitcnt vmcnt(0)
	ds_write_b128 v9, v[2:5]
	s_waitcnt lgkmcnt(0)
	; wave barrier
	s_waitcnt lgkmcnt(0)
	s_and_saveexec_b64 s[4:5], s[0:1]
	s_cbranch_execz .LBB63_649
; %bb.636:
	ds_read_b128 v[2:5], v9
	s_andn2_b64 vcc, exec, s[6:7]
	s_cbranch_vccnz .LBB63_638
; %bb.637:
	scratch_load_dwordx4 v[202:205], v8, off
	s_waitcnt vmcnt(0) lgkmcnt(0)
	v_mul_f64 v[10:11], v[2:3], v[204:205]
	v_mul_f64 v[6:7], v[4:5], v[204:205]
	v_fmac_f64_e32 v[10:11], v[4:5], v[202:203]
	v_fma_f64 v[2:3], v[2:3], v[202:203], -v[6:7]
	v_mov_b64_e32 v[4:5], v[10:11]
.LBB63_638:
	s_and_saveexec_b64 s[8:9], s[2:3]
	s_cbranch_execz .LBB63_648
; %bb.639:
	v_subrev_u32_e32 v7, 18, v0
	v_subrev_u32_e32 v6, 17, v0
	v_cmp_lt_u32_e32 vcc, 6, v7
	v_mov_b32_e32 v202, 17
	s_and_saveexec_b64 s[2:3], vcc
	s_cbranch_execz .LBB63_643
; %bb.640:
	v_and_b32_e32 v7, -8, v6
	s_mov_b32 s12, 0
	s_mov_b64 s[10:11], 0
	v_mov_b32_e32 v201, 0
	s_mov_b32 s13, 0
.LBB63_641:                             ; =>This Inner Loop Header: Depth=1
	v_readfirstlane_b32 s14, v201
	s_add_i32 s14, s14, s12
	s_add_i32 s15, s14, 0x110
	v_mov_b32_e32 v28, s12
	ds_read_b128 v[202:205], v28 offset:1296
	ds_read_b128 v[206:209], v28 offset:1312
	;; [unrolled: 1-line block ×4, first 2 shown]
	scratch_load_dwordx4 v[218:221], off, s15
	s_add_i32 s15, s14, 0x120
	s_addk_i32 s12, 0x80
	s_waitcnt vmcnt(0) lgkmcnt(3)
	v_mul_f64 v[10:11], v[204:205], v[220:221]
	v_mul_f64 v[12:13], v[202:203], v[220:221]
	v_fma_f64 v[10:11], v[202:203], v[218:219], -v[10:11]
	v_fmac_f64_e32 v[12:13], v[204:205], v[218:219]
	v_add_f64 v[10:11], v[2:3], v[10:11]
	v_add_f64 v[12:13], v[4:5], v[12:13]
	scratch_load_dwordx4 v[2:5], off, s15
	s_add_i32 s15, s14, 0x130
	s_waitcnt vmcnt(0) lgkmcnt(2)
	v_mul_f64 v[22:23], v[208:209], v[4:5]
	v_mul_f64 v[4:5], v[206:207], v[4:5]
	v_fmac_f64_e32 v[4:5], v[208:209], v[2:3]
	v_fma_f64 v[22:23], v[206:207], v[2:3], -v[22:23]
	v_add_f64 v[12:13], v[12:13], v[4:5]
	scratch_load_dwordx4 v[2:5], off, s15
	v_add_f64 v[10:11], v[10:11], v[22:23]
	s_add_i32 s15, s14, 0x140
	s_waitcnt vmcnt(0) lgkmcnt(1)
	v_mul_f64 v[22:23], v[212:213], v[4:5]
	v_mul_f64 v[4:5], v[210:211], v[4:5]
	v_fmac_f64_e32 v[4:5], v[212:213], v[2:3]
	v_fma_f64 v[22:23], v[210:211], v[2:3], -v[22:23]
	v_add_f64 v[12:13], v[12:13], v[4:5]
	scratch_load_dwordx4 v[2:5], off, s15
	s_add_i32 s15, s14, 0x150
	scratch_load_dwordx4 v[202:205], off, s15
	v_add_f64 v[10:11], v[10:11], v[22:23]
	s_add_i32 s15, s14, 0x160
	s_waitcnt vmcnt(1) lgkmcnt(0)
	v_mul_f64 v[22:23], v[216:217], v[4:5]
	v_mul_f64 v[4:5], v[214:215], v[4:5]
	v_fmac_f64_e32 v[4:5], v[216:217], v[2:3]
	v_fma_f64 v[22:23], v[214:215], v[2:3], -v[22:23]
	v_add_f64 v[12:13], v[12:13], v[4:5]
	ds_read_b128 v[2:5], v28 offset:1360
	v_add_f64 v[10:11], v[10:11], v[22:23]
	s_waitcnt vmcnt(0) lgkmcnt(0)
	v_mul_f64 v[22:23], v[4:5], v[204:205]
	v_fma_f64 v[22:23], v[2:3], v[202:203], -v[22:23]
	v_mul_f64 v[2:3], v[2:3], v[204:205]
	v_fmac_f64_e32 v[2:3], v[4:5], v[202:203]
	scratch_load_dwordx4 v[202:205], off, s15
	v_add_f64 v[12:13], v[12:13], v[2:3]
	ds_read_b128 v[2:5], v28 offset:1376
	v_add_f64 v[10:11], v[10:11], v[22:23]
	s_add_i32 s15, s14, 0x170
	s_addk_i32 s14, 0x180
	s_waitcnt vmcnt(0) lgkmcnt(0)
	v_mul_f64 v[22:23], v[4:5], v[204:205]
	v_fma_f64 v[22:23], v[2:3], v[202:203], -v[22:23]
	v_mul_f64 v[2:3], v[2:3], v[204:205]
	v_fmac_f64_e32 v[2:3], v[4:5], v[202:203]
	scratch_load_dwordx4 v[202:205], off, s15
	v_add_f64 v[12:13], v[12:13], v[2:3]
	ds_read_b128 v[2:5], v28 offset:1392
	v_add_f64 v[10:11], v[10:11], v[22:23]
	s_waitcnt vmcnt(0) lgkmcnt(0)
	v_mul_f64 v[22:23], v[4:5], v[204:205]
	v_fma_f64 v[22:23], v[2:3], v[202:203], -v[22:23]
	v_mul_f64 v[2:3], v[2:3], v[204:205]
	v_fmac_f64_e32 v[2:3], v[4:5], v[202:203]
	scratch_load_dwordx4 v[202:205], off, s14
	v_add_f64 v[12:13], v[12:13], v[2:3]
	ds_read_b128 v[2:5], v28 offset:1408
	v_add_f64 v[10:11], v[10:11], v[22:23]
	s_add_i32 s14, s13, 8
	v_cmp_eq_u32_e32 vcc, s14, v7
	s_add_i32 s13, s13, 25
	s_or_b64 s[10:11], vcc, s[10:11]
	s_waitcnt vmcnt(0) lgkmcnt(0)
	v_mul_f64 v[22:23], v[4:5], v[204:205]
	v_mul_f64 v[28:29], v[2:3], v[204:205]
	v_fma_f64 v[22:23], v[2:3], v[202:203], -v[22:23]
	v_fmac_f64_e32 v[28:29], v[4:5], v[202:203]
	v_add_f64 v[2:3], v[10:11], v[22:23]
	v_add_f64 v[4:5], v[12:13], v[28:29]
	v_mov_b32_e32 v202, s13
	s_mov_b32 s13, s14
	s_andn2_b64 exec, exec, s[10:11]
	s_cbranch_execnz .LBB63_641
; %bb.642:
	s_or_b64 exec, exec, s[10:11]
.LBB63_643:
	s_or_b64 exec, exec, s[2:3]
	v_and_b32_e32 v6, 7, v6
	v_cmp_ne_u32_e32 vcc, 0, v6
	s_and_saveexec_b64 s[2:3], vcc
	s_cbranch_execz .LBB63_647
; %bb.644:
	v_lshlrev_b32_e32 v10, 4, v202
	v_add_u32_e32 v7, 0x400, v10
	v_add_u32_e32 v201, 0, v10
	s_mov_b64 s[10:11], 0
.LBB63_645:                             ; =>This Inner Loop Header: Depth=1
	scratch_load_dwordx4 v[202:205], v201, off
	ds_read_b128 v[206:209], v7
	v_add_u32_e32 v6, -1, v6
	v_cmp_eq_u32_e32 vcc, 0, v6
	v_add_u32_e32 v7, 16, v7
	v_add_u32_e32 v201, 16, v201
	s_or_b64 s[10:11], vcc, s[10:11]
	s_waitcnt vmcnt(0) lgkmcnt(0)
	v_mul_f64 v[10:11], v[208:209], v[204:205]
	v_mul_f64 v[12:13], v[206:207], v[204:205]
	v_fma_f64 v[10:11], v[206:207], v[202:203], -v[10:11]
	v_fmac_f64_e32 v[12:13], v[208:209], v[202:203]
	v_add_f64 v[2:3], v[2:3], v[10:11]
	v_add_f64 v[4:5], v[4:5], v[12:13]
	s_andn2_b64 exec, exec, s[10:11]
	s_cbranch_execnz .LBB63_645
; %bb.646:
	s_or_b64 exec, exec, s[10:11]
.LBB63_647:
	s_or_b64 exec, exec, s[2:3]
.LBB63_648:
	s_or_b64 exec, exec, s[8:9]
	v_mov_b32_e32 v6, 0
	ds_read_b128 v[202:205], v6 offset:256
	s_waitcnt lgkmcnt(0)
	v_mul_f64 v[6:7], v[4:5], v[204:205]
	v_mul_f64 v[206:207], v[2:3], v[204:205]
	v_fma_f64 v[204:205], v[2:3], v[202:203], -v[6:7]
	v_fmac_f64_e32 v[206:207], v[4:5], v[202:203]
	scratch_store_dwordx4 off, v[204:207], off offset:256
.LBB63_649:
	s_or_b64 exec, exec, s[4:5]
	scratch_load_dwordx4 v[2:5], v186, off
	v_cmp_lt_u32_e64 s[2:3], 15, v0
	s_waitcnt vmcnt(0)
	ds_write_b128 v9, v[2:5]
	s_waitcnt lgkmcnt(0)
	; wave barrier
	s_waitcnt lgkmcnt(0)
	s_and_saveexec_b64 s[4:5], s[2:3]
	s_cbranch_execz .LBB63_663
; %bb.650:
	ds_read_b128 v[2:5], v9
	s_andn2_b64 vcc, exec, s[6:7]
	s_cbranch_vccnz .LBB63_652
; %bb.651:
	scratch_load_dwordx4 v[202:205], v8, off
	s_waitcnt vmcnt(0) lgkmcnt(0)
	v_mul_f64 v[10:11], v[2:3], v[204:205]
	v_mul_f64 v[6:7], v[4:5], v[204:205]
	v_fmac_f64_e32 v[10:11], v[4:5], v[202:203]
	v_fma_f64 v[2:3], v[2:3], v[202:203], -v[6:7]
	v_mov_b64_e32 v[4:5], v[10:11]
.LBB63_652:
	s_and_saveexec_b64 s[8:9], s[0:1]
	s_cbranch_execz .LBB63_662
; %bb.653:
	v_subrev_u32_e32 v6, 17, v0
	v_cmp_lt_u32_e32 vcc, 6, v6
	v_mov_b32_e32 v6, 16
	s_and_saveexec_b64 s[0:1], vcc
	s_cbranch_execz .LBB63_657
; %bb.654:
	v_and_b32_e32 v6, 56, v0
	s_mov_b32 s12, 16
	s_mov_b32 s13, 0
	s_mov_b64 s[10:11], 0
	v_mov_b32_e32 v7, 0
.LBB63_655:                             ; =>This Inner Loop Header: Depth=1
	s_nop 0
	v_readfirstlane_b32 s14, v7
	s_add_i32 s14, s14, s13
	s_add_i32 s15, s14, 0x100
	v_mov_b32_e32 v28, s13
	ds_read_b128 v[202:205], v28 offset:1280
	ds_read_b128 v[206:209], v28 offset:1296
	;; [unrolled: 1-line block ×4, first 2 shown]
	scratch_load_dwordx4 v[218:221], off, s15
	s_add_i32 s15, s14, 0x110
	s_add_i32 s12, s12, 8
	s_addk_i32 s13, 0x80
	v_cmp_eq_u32_e32 vcc, s12, v6
	s_waitcnt vmcnt(0) lgkmcnt(3)
	v_mul_f64 v[10:11], v[204:205], v[220:221]
	v_mul_f64 v[12:13], v[202:203], v[220:221]
	v_fma_f64 v[10:11], v[202:203], v[218:219], -v[10:11]
	v_fmac_f64_e32 v[12:13], v[204:205], v[218:219]
	v_add_f64 v[10:11], v[2:3], v[10:11]
	v_add_f64 v[12:13], v[4:5], v[12:13]
	scratch_load_dwordx4 v[2:5], off, s15
	s_add_i32 s15, s14, 0x120
	s_waitcnt vmcnt(0) lgkmcnt(2)
	v_mul_f64 v[22:23], v[208:209], v[4:5]
	v_mul_f64 v[4:5], v[206:207], v[4:5]
	v_fmac_f64_e32 v[4:5], v[208:209], v[2:3]
	v_fma_f64 v[22:23], v[206:207], v[2:3], -v[22:23]
	v_add_f64 v[12:13], v[12:13], v[4:5]
	scratch_load_dwordx4 v[2:5], off, s15
	v_add_f64 v[10:11], v[10:11], v[22:23]
	s_add_i32 s15, s14, 0x130
	s_waitcnt vmcnt(0) lgkmcnt(1)
	v_mul_f64 v[22:23], v[212:213], v[4:5]
	v_mul_f64 v[4:5], v[210:211], v[4:5]
	v_fmac_f64_e32 v[4:5], v[212:213], v[2:3]
	v_fma_f64 v[22:23], v[210:211], v[2:3], -v[22:23]
	v_add_f64 v[12:13], v[12:13], v[4:5]
	scratch_load_dwordx4 v[2:5], off, s15
	s_add_i32 s15, s14, 0x140
	scratch_load_dwordx4 v[202:205], off, s15
	v_add_f64 v[10:11], v[10:11], v[22:23]
	s_add_i32 s15, s14, 0x150
	s_waitcnt vmcnt(1) lgkmcnt(0)
	v_mul_f64 v[22:23], v[216:217], v[4:5]
	v_mul_f64 v[4:5], v[214:215], v[4:5]
	v_fmac_f64_e32 v[4:5], v[216:217], v[2:3]
	v_fma_f64 v[22:23], v[214:215], v[2:3], -v[22:23]
	v_add_f64 v[12:13], v[12:13], v[4:5]
	ds_read_b128 v[2:5], v28 offset:1344
	v_add_f64 v[10:11], v[10:11], v[22:23]
	s_waitcnt vmcnt(0) lgkmcnt(0)
	v_mul_f64 v[22:23], v[4:5], v[204:205]
	v_fma_f64 v[22:23], v[2:3], v[202:203], -v[22:23]
	v_mul_f64 v[2:3], v[2:3], v[204:205]
	v_fmac_f64_e32 v[2:3], v[4:5], v[202:203]
	scratch_load_dwordx4 v[202:205], off, s15
	v_add_f64 v[12:13], v[12:13], v[2:3]
	ds_read_b128 v[2:5], v28 offset:1360
	v_add_f64 v[10:11], v[10:11], v[22:23]
	s_add_i32 s15, s14, 0x160
	s_addk_i32 s14, 0x170
	s_or_b64 s[10:11], vcc, s[10:11]
	s_waitcnt vmcnt(0) lgkmcnt(0)
	v_mul_f64 v[22:23], v[4:5], v[204:205]
	v_fma_f64 v[22:23], v[2:3], v[202:203], -v[22:23]
	v_mul_f64 v[2:3], v[2:3], v[204:205]
	v_fmac_f64_e32 v[2:3], v[4:5], v[202:203]
	scratch_load_dwordx4 v[202:205], off, s15
	v_add_f64 v[12:13], v[12:13], v[2:3]
	ds_read_b128 v[2:5], v28 offset:1376
	v_add_f64 v[10:11], v[10:11], v[22:23]
	s_waitcnt vmcnt(0) lgkmcnt(0)
	v_mul_f64 v[22:23], v[4:5], v[204:205]
	v_fma_f64 v[22:23], v[2:3], v[202:203], -v[22:23]
	v_mul_f64 v[2:3], v[2:3], v[204:205]
	v_fmac_f64_e32 v[2:3], v[4:5], v[202:203]
	scratch_load_dwordx4 v[202:205], off, s14
	v_add_f64 v[12:13], v[12:13], v[2:3]
	ds_read_b128 v[2:5], v28 offset:1392
	v_add_f64 v[10:11], v[10:11], v[22:23]
	s_waitcnt vmcnt(0) lgkmcnt(0)
	v_mul_f64 v[22:23], v[4:5], v[204:205]
	v_mul_f64 v[28:29], v[2:3], v[204:205]
	v_fma_f64 v[22:23], v[2:3], v[202:203], -v[22:23]
	v_fmac_f64_e32 v[28:29], v[4:5], v[202:203]
	v_add_f64 v[2:3], v[10:11], v[22:23]
	v_add_f64 v[4:5], v[12:13], v[28:29]
	s_andn2_b64 exec, exec, s[10:11]
	s_cbranch_execnz .LBB63_655
; %bb.656:
	s_or_b64 exec, exec, s[10:11]
.LBB63_657:
	s_or_b64 exec, exec, s[0:1]
	v_and_b32_e32 v7, 7, v0
	v_cmp_ne_u32_e32 vcc, 0, v7
	s_and_saveexec_b64 s[0:1], vcc
	s_cbranch_execz .LBB63_661
; %bb.658:
	v_lshlrev_b32_e32 v10, 4, v6
	v_or_b32_e32 v6, 0x400, v10
	v_add_u32_e32 v201, 0, v10
	s_mov_b64 s[10:11], 0
.LBB63_659:                             ; =>This Inner Loop Header: Depth=1
	scratch_load_dwordx4 v[202:205], v201, off
	ds_read_b128 v[206:209], v6
	v_add_u32_e32 v7, -1, v7
	v_cmp_eq_u32_e32 vcc, 0, v7
	v_add_u32_e32 v6, 16, v6
	v_add_u32_e32 v201, 16, v201
	s_or_b64 s[10:11], vcc, s[10:11]
	s_waitcnt vmcnt(0) lgkmcnt(0)
	v_mul_f64 v[10:11], v[208:209], v[204:205]
	v_mul_f64 v[12:13], v[206:207], v[204:205]
	v_fma_f64 v[10:11], v[206:207], v[202:203], -v[10:11]
	v_fmac_f64_e32 v[12:13], v[208:209], v[202:203]
	v_add_f64 v[2:3], v[2:3], v[10:11]
	v_add_f64 v[4:5], v[4:5], v[12:13]
	s_andn2_b64 exec, exec, s[10:11]
	s_cbranch_execnz .LBB63_659
; %bb.660:
	s_or_b64 exec, exec, s[10:11]
.LBB63_661:
	s_or_b64 exec, exec, s[0:1]
.LBB63_662:
	s_or_b64 exec, exec, s[8:9]
	v_mov_b32_e32 v6, 0
	ds_read_b128 v[202:205], v6 offset:240
	s_waitcnt lgkmcnt(0)
	v_mul_f64 v[6:7], v[4:5], v[204:205]
	v_mul_f64 v[206:207], v[2:3], v[204:205]
	v_fma_f64 v[204:205], v[2:3], v[202:203], -v[6:7]
	v_fmac_f64_e32 v[206:207], v[4:5], v[202:203]
	scratch_store_dwordx4 off, v[204:207], off offset:240
.LBB63_663:
	s_or_b64 exec, exec, s[4:5]
	scratch_load_dwordx4 v[2:5], v187, off
	v_cmp_lt_u32_e64 s[0:1], 14, v0
	s_waitcnt vmcnt(0)
	ds_write_b128 v9, v[2:5]
	s_waitcnt lgkmcnt(0)
	; wave barrier
	s_waitcnt lgkmcnt(0)
	s_and_saveexec_b64 s[4:5], s[0:1]
	s_cbranch_execz .LBB63_677
; %bb.664:
	ds_read_b128 v[2:5], v9
	s_andn2_b64 vcc, exec, s[6:7]
	s_cbranch_vccnz .LBB63_666
; %bb.665:
	scratch_load_dwordx4 v[202:205], v8, off
	s_waitcnt vmcnt(0) lgkmcnt(0)
	v_mul_f64 v[10:11], v[2:3], v[204:205]
	v_mul_f64 v[6:7], v[4:5], v[204:205]
	v_fmac_f64_e32 v[10:11], v[4:5], v[202:203]
	v_fma_f64 v[2:3], v[2:3], v[202:203], -v[6:7]
	v_mov_b64_e32 v[4:5], v[10:11]
.LBB63_666:
	s_and_saveexec_b64 s[8:9], s[2:3]
	s_cbranch_execz .LBB63_676
; %bb.667:
	v_add_u32_e32 v7, -16, v0
	v_add_u32_e32 v6, -15, v0
	v_cmp_lt_u32_e32 vcc, 6, v7
	v_mov_b32_e32 v202, 15
	s_and_saveexec_b64 s[2:3], vcc
	s_cbranch_execz .LBB63_671
; %bb.668:
	v_and_b32_e32 v7, -8, v6
	s_mov_b32 s12, 0
	s_mov_b64 s[10:11], 0
	v_mov_b32_e32 v201, 0
	s_mov_b32 s13, 0
.LBB63_669:                             ; =>This Inner Loop Header: Depth=1
	v_readfirstlane_b32 s14, v201
	s_add_i32 s14, s14, s12
	s_add_i32 s15, s14, 0xf0
	v_mov_b32_e32 v28, s12
	ds_read_b128 v[202:205], v28 offset:1264
	ds_read_b128 v[206:209], v28 offset:1280
	;; [unrolled: 1-line block ×4, first 2 shown]
	scratch_load_dwordx4 v[218:221], off, s15
	s_add_i32 s15, s14, 0x100
	s_addk_i32 s12, 0x80
	s_waitcnt vmcnt(0) lgkmcnt(3)
	v_mul_f64 v[10:11], v[204:205], v[220:221]
	v_mul_f64 v[12:13], v[202:203], v[220:221]
	v_fma_f64 v[10:11], v[202:203], v[218:219], -v[10:11]
	v_fmac_f64_e32 v[12:13], v[204:205], v[218:219]
	v_add_f64 v[10:11], v[2:3], v[10:11]
	v_add_f64 v[12:13], v[4:5], v[12:13]
	scratch_load_dwordx4 v[2:5], off, s15
	s_add_i32 s15, s14, 0x110
	s_waitcnt vmcnt(0) lgkmcnt(2)
	v_mul_f64 v[22:23], v[208:209], v[4:5]
	v_mul_f64 v[4:5], v[206:207], v[4:5]
	v_fmac_f64_e32 v[4:5], v[208:209], v[2:3]
	v_fma_f64 v[22:23], v[206:207], v[2:3], -v[22:23]
	v_add_f64 v[12:13], v[12:13], v[4:5]
	scratch_load_dwordx4 v[2:5], off, s15
	v_add_f64 v[10:11], v[10:11], v[22:23]
	s_add_i32 s15, s14, 0x120
	s_waitcnt vmcnt(0) lgkmcnt(1)
	v_mul_f64 v[22:23], v[212:213], v[4:5]
	v_mul_f64 v[4:5], v[210:211], v[4:5]
	v_fmac_f64_e32 v[4:5], v[212:213], v[2:3]
	v_fma_f64 v[22:23], v[210:211], v[2:3], -v[22:23]
	v_add_f64 v[12:13], v[12:13], v[4:5]
	scratch_load_dwordx4 v[2:5], off, s15
	s_add_i32 s15, s14, 0x130
	scratch_load_dwordx4 v[202:205], off, s15
	v_add_f64 v[10:11], v[10:11], v[22:23]
	s_add_i32 s15, s14, 0x140
	s_waitcnt vmcnt(1) lgkmcnt(0)
	v_mul_f64 v[22:23], v[216:217], v[4:5]
	v_mul_f64 v[4:5], v[214:215], v[4:5]
	v_fmac_f64_e32 v[4:5], v[216:217], v[2:3]
	v_fma_f64 v[22:23], v[214:215], v[2:3], -v[22:23]
	v_add_f64 v[12:13], v[12:13], v[4:5]
	ds_read_b128 v[2:5], v28 offset:1328
	v_add_f64 v[10:11], v[10:11], v[22:23]
	s_waitcnt vmcnt(0) lgkmcnt(0)
	v_mul_f64 v[22:23], v[4:5], v[204:205]
	v_fma_f64 v[22:23], v[2:3], v[202:203], -v[22:23]
	v_mul_f64 v[2:3], v[2:3], v[204:205]
	v_fmac_f64_e32 v[2:3], v[4:5], v[202:203]
	scratch_load_dwordx4 v[202:205], off, s15
	v_add_f64 v[12:13], v[12:13], v[2:3]
	ds_read_b128 v[2:5], v28 offset:1344
	v_add_f64 v[10:11], v[10:11], v[22:23]
	s_add_i32 s15, s14, 0x150
	s_addk_i32 s14, 0x160
	s_waitcnt vmcnt(0) lgkmcnt(0)
	v_mul_f64 v[22:23], v[4:5], v[204:205]
	v_fma_f64 v[22:23], v[2:3], v[202:203], -v[22:23]
	v_mul_f64 v[2:3], v[2:3], v[204:205]
	v_fmac_f64_e32 v[2:3], v[4:5], v[202:203]
	scratch_load_dwordx4 v[202:205], off, s15
	v_add_f64 v[12:13], v[12:13], v[2:3]
	ds_read_b128 v[2:5], v28 offset:1360
	v_add_f64 v[10:11], v[10:11], v[22:23]
	s_waitcnt vmcnt(0) lgkmcnt(0)
	v_mul_f64 v[22:23], v[4:5], v[204:205]
	v_fma_f64 v[22:23], v[2:3], v[202:203], -v[22:23]
	v_mul_f64 v[2:3], v[2:3], v[204:205]
	v_fmac_f64_e32 v[2:3], v[4:5], v[202:203]
	scratch_load_dwordx4 v[202:205], off, s14
	v_add_f64 v[12:13], v[12:13], v[2:3]
	ds_read_b128 v[2:5], v28 offset:1376
	v_add_f64 v[10:11], v[10:11], v[22:23]
	s_add_i32 s14, s13, 8
	v_cmp_eq_u32_e32 vcc, s14, v7
	s_add_i32 s13, s13, 23
	s_or_b64 s[10:11], vcc, s[10:11]
	s_waitcnt vmcnt(0) lgkmcnt(0)
	v_mul_f64 v[22:23], v[4:5], v[204:205]
	v_mul_f64 v[28:29], v[2:3], v[204:205]
	v_fma_f64 v[22:23], v[2:3], v[202:203], -v[22:23]
	v_fmac_f64_e32 v[28:29], v[4:5], v[202:203]
	v_add_f64 v[2:3], v[10:11], v[22:23]
	v_add_f64 v[4:5], v[12:13], v[28:29]
	v_mov_b32_e32 v202, s13
	s_mov_b32 s13, s14
	s_andn2_b64 exec, exec, s[10:11]
	s_cbranch_execnz .LBB63_669
; %bb.670:
	s_or_b64 exec, exec, s[10:11]
.LBB63_671:
	s_or_b64 exec, exec, s[2:3]
	v_and_b32_e32 v6, 7, v6
	v_cmp_ne_u32_e32 vcc, 0, v6
	s_and_saveexec_b64 s[2:3], vcc
	s_cbranch_execz .LBB63_675
; %bb.672:
	v_lshlrev_b32_e32 v10, 4, v202
	v_add_u32_e32 v7, 0x400, v10
	v_add_u32_e32 v201, 0, v10
	s_mov_b64 s[10:11], 0
.LBB63_673:                             ; =>This Inner Loop Header: Depth=1
	scratch_load_dwordx4 v[202:205], v201, off
	ds_read_b128 v[206:209], v7
	v_add_u32_e32 v6, -1, v6
	v_cmp_eq_u32_e32 vcc, 0, v6
	v_add_u32_e32 v7, 16, v7
	v_add_u32_e32 v201, 16, v201
	s_or_b64 s[10:11], vcc, s[10:11]
	s_waitcnt vmcnt(0) lgkmcnt(0)
	v_mul_f64 v[10:11], v[208:209], v[204:205]
	v_mul_f64 v[12:13], v[206:207], v[204:205]
	v_fma_f64 v[10:11], v[206:207], v[202:203], -v[10:11]
	v_fmac_f64_e32 v[12:13], v[208:209], v[202:203]
	v_add_f64 v[2:3], v[2:3], v[10:11]
	v_add_f64 v[4:5], v[4:5], v[12:13]
	s_andn2_b64 exec, exec, s[10:11]
	s_cbranch_execnz .LBB63_673
; %bb.674:
	s_or_b64 exec, exec, s[10:11]
.LBB63_675:
	s_or_b64 exec, exec, s[2:3]
.LBB63_676:
	s_or_b64 exec, exec, s[8:9]
	v_mov_b32_e32 v6, 0
	ds_read_b128 v[202:205], v6 offset:224
	s_waitcnt lgkmcnt(0)
	v_mul_f64 v[6:7], v[4:5], v[204:205]
	v_mul_f64 v[206:207], v[2:3], v[204:205]
	v_fma_f64 v[204:205], v[2:3], v[202:203], -v[6:7]
	v_fmac_f64_e32 v[206:207], v[4:5], v[202:203]
	scratch_store_dwordx4 off, v[204:207], off offset:224
.LBB63_677:
	s_or_b64 exec, exec, s[4:5]
	scratch_load_dwordx4 v[2:5], v188, off
	v_cmp_lt_u32_e64 s[2:3], 13, v0
	s_waitcnt vmcnt(0)
	ds_write_b128 v9, v[2:5]
	s_waitcnt lgkmcnt(0)
	; wave barrier
	s_waitcnt lgkmcnt(0)
	s_and_saveexec_b64 s[4:5], s[2:3]
	s_cbranch_execz .LBB63_691
; %bb.678:
	ds_read_b128 v[2:5], v9
	s_andn2_b64 vcc, exec, s[6:7]
	s_cbranch_vccnz .LBB63_680
; %bb.679:
	scratch_load_dwordx4 v[202:205], v8, off
	s_waitcnt vmcnt(0) lgkmcnt(0)
	v_mul_f64 v[10:11], v[2:3], v[204:205]
	v_mul_f64 v[6:7], v[4:5], v[204:205]
	v_fmac_f64_e32 v[10:11], v[4:5], v[202:203]
	v_fma_f64 v[2:3], v[2:3], v[202:203], -v[6:7]
	v_mov_b64_e32 v[4:5], v[10:11]
.LBB63_680:
	s_and_saveexec_b64 s[8:9], s[0:1]
	s_cbranch_execz .LBB63_690
; %bb.681:
	v_add_u32_e32 v7, -15, v0
	v_add_u32_e32 v6, -14, v0
	v_cmp_lt_u32_e32 vcc, 6, v7
	v_mov_b32_e32 v202, 14
	s_and_saveexec_b64 s[0:1], vcc
	s_cbranch_execz .LBB63_685
; %bb.682:
	v_and_b32_e32 v7, -8, v6
	s_mov_b32 s12, 0
	s_mov_b64 s[10:11], 0
	v_mov_b32_e32 v201, 0
	s_mov_b32 s13, 0
.LBB63_683:                             ; =>This Inner Loop Header: Depth=1
	v_readfirstlane_b32 s14, v201
	s_add_i32 s14, s14, s12
	s_add_i32 s15, s14, 0xe0
	v_mov_b32_e32 v28, s12
	ds_read_b128 v[202:205], v28 offset:1248
	ds_read_b128 v[206:209], v28 offset:1264
	;; [unrolled: 1-line block ×4, first 2 shown]
	scratch_load_dwordx4 v[218:221], off, s15
	s_add_i32 s15, s14, 0xf0
	s_addk_i32 s12, 0x80
	s_waitcnt vmcnt(0) lgkmcnt(3)
	v_mul_f64 v[10:11], v[204:205], v[220:221]
	v_mul_f64 v[12:13], v[202:203], v[220:221]
	v_fma_f64 v[10:11], v[202:203], v[218:219], -v[10:11]
	v_fmac_f64_e32 v[12:13], v[204:205], v[218:219]
	v_add_f64 v[10:11], v[2:3], v[10:11]
	v_add_f64 v[12:13], v[4:5], v[12:13]
	scratch_load_dwordx4 v[2:5], off, s15
	s_add_i32 s15, s14, 0x100
	s_waitcnt vmcnt(0) lgkmcnt(2)
	v_mul_f64 v[22:23], v[208:209], v[4:5]
	v_mul_f64 v[4:5], v[206:207], v[4:5]
	v_fmac_f64_e32 v[4:5], v[208:209], v[2:3]
	v_fma_f64 v[22:23], v[206:207], v[2:3], -v[22:23]
	v_add_f64 v[12:13], v[12:13], v[4:5]
	scratch_load_dwordx4 v[2:5], off, s15
	v_add_f64 v[10:11], v[10:11], v[22:23]
	s_add_i32 s15, s14, 0x110
	s_waitcnt vmcnt(0) lgkmcnt(1)
	v_mul_f64 v[22:23], v[212:213], v[4:5]
	v_mul_f64 v[4:5], v[210:211], v[4:5]
	v_fmac_f64_e32 v[4:5], v[212:213], v[2:3]
	v_fma_f64 v[22:23], v[210:211], v[2:3], -v[22:23]
	v_add_f64 v[12:13], v[12:13], v[4:5]
	scratch_load_dwordx4 v[2:5], off, s15
	s_add_i32 s15, s14, 0x120
	scratch_load_dwordx4 v[202:205], off, s15
	v_add_f64 v[10:11], v[10:11], v[22:23]
	s_add_i32 s15, s14, 0x130
	s_waitcnt vmcnt(1) lgkmcnt(0)
	v_mul_f64 v[22:23], v[216:217], v[4:5]
	v_mul_f64 v[4:5], v[214:215], v[4:5]
	v_fmac_f64_e32 v[4:5], v[216:217], v[2:3]
	v_fma_f64 v[22:23], v[214:215], v[2:3], -v[22:23]
	v_add_f64 v[12:13], v[12:13], v[4:5]
	ds_read_b128 v[2:5], v28 offset:1312
	v_add_f64 v[10:11], v[10:11], v[22:23]
	s_waitcnt vmcnt(0) lgkmcnt(0)
	v_mul_f64 v[22:23], v[4:5], v[204:205]
	v_fma_f64 v[22:23], v[2:3], v[202:203], -v[22:23]
	v_mul_f64 v[2:3], v[2:3], v[204:205]
	v_fmac_f64_e32 v[2:3], v[4:5], v[202:203]
	scratch_load_dwordx4 v[202:205], off, s15
	v_add_f64 v[12:13], v[12:13], v[2:3]
	ds_read_b128 v[2:5], v28 offset:1328
	v_add_f64 v[10:11], v[10:11], v[22:23]
	s_add_i32 s15, s14, 0x140
	s_addk_i32 s14, 0x150
	s_waitcnt vmcnt(0) lgkmcnt(0)
	v_mul_f64 v[22:23], v[4:5], v[204:205]
	v_fma_f64 v[22:23], v[2:3], v[202:203], -v[22:23]
	v_mul_f64 v[2:3], v[2:3], v[204:205]
	v_fmac_f64_e32 v[2:3], v[4:5], v[202:203]
	scratch_load_dwordx4 v[202:205], off, s15
	v_add_f64 v[12:13], v[12:13], v[2:3]
	ds_read_b128 v[2:5], v28 offset:1344
	v_add_f64 v[10:11], v[10:11], v[22:23]
	s_waitcnt vmcnt(0) lgkmcnt(0)
	v_mul_f64 v[22:23], v[4:5], v[204:205]
	v_fma_f64 v[22:23], v[2:3], v[202:203], -v[22:23]
	v_mul_f64 v[2:3], v[2:3], v[204:205]
	v_fmac_f64_e32 v[2:3], v[4:5], v[202:203]
	scratch_load_dwordx4 v[202:205], off, s14
	v_add_f64 v[12:13], v[12:13], v[2:3]
	ds_read_b128 v[2:5], v28 offset:1360
	v_add_f64 v[10:11], v[10:11], v[22:23]
	s_add_i32 s14, s13, 8
	v_cmp_eq_u32_e32 vcc, s14, v7
	s_add_i32 s13, s13, 22
	s_or_b64 s[10:11], vcc, s[10:11]
	s_waitcnt vmcnt(0) lgkmcnt(0)
	v_mul_f64 v[22:23], v[4:5], v[204:205]
	v_mul_f64 v[28:29], v[2:3], v[204:205]
	v_fma_f64 v[22:23], v[2:3], v[202:203], -v[22:23]
	v_fmac_f64_e32 v[28:29], v[4:5], v[202:203]
	v_add_f64 v[2:3], v[10:11], v[22:23]
	v_add_f64 v[4:5], v[12:13], v[28:29]
	v_mov_b32_e32 v202, s13
	s_mov_b32 s13, s14
	s_andn2_b64 exec, exec, s[10:11]
	s_cbranch_execnz .LBB63_683
; %bb.684:
	s_or_b64 exec, exec, s[10:11]
.LBB63_685:
	s_or_b64 exec, exec, s[0:1]
	v_and_b32_e32 v6, 7, v6
	v_cmp_ne_u32_e32 vcc, 0, v6
	s_and_saveexec_b64 s[0:1], vcc
	s_cbranch_execz .LBB63_689
; %bb.686:
	v_lshlrev_b32_e32 v10, 4, v202
	v_add_u32_e32 v7, 0x400, v10
	v_add_u32_e32 v201, 0, v10
	s_mov_b64 s[10:11], 0
.LBB63_687:                             ; =>This Inner Loop Header: Depth=1
	scratch_load_dwordx4 v[202:205], v201, off
	ds_read_b128 v[206:209], v7
	v_add_u32_e32 v6, -1, v6
	v_cmp_eq_u32_e32 vcc, 0, v6
	v_add_u32_e32 v7, 16, v7
	v_add_u32_e32 v201, 16, v201
	s_or_b64 s[10:11], vcc, s[10:11]
	s_waitcnt vmcnt(0) lgkmcnt(0)
	v_mul_f64 v[10:11], v[208:209], v[204:205]
	v_mul_f64 v[12:13], v[206:207], v[204:205]
	v_fma_f64 v[10:11], v[206:207], v[202:203], -v[10:11]
	v_fmac_f64_e32 v[12:13], v[208:209], v[202:203]
	v_add_f64 v[2:3], v[2:3], v[10:11]
	v_add_f64 v[4:5], v[4:5], v[12:13]
	s_andn2_b64 exec, exec, s[10:11]
	s_cbranch_execnz .LBB63_687
; %bb.688:
	s_or_b64 exec, exec, s[10:11]
.LBB63_689:
	s_or_b64 exec, exec, s[0:1]
.LBB63_690:
	s_or_b64 exec, exec, s[8:9]
	v_mov_b32_e32 v6, 0
	ds_read_b128 v[202:205], v6 offset:208
	s_waitcnt lgkmcnt(0)
	v_mul_f64 v[6:7], v[4:5], v[204:205]
	v_mul_f64 v[206:207], v[2:3], v[204:205]
	v_fma_f64 v[204:205], v[2:3], v[202:203], -v[6:7]
	v_fmac_f64_e32 v[206:207], v[4:5], v[202:203]
	scratch_store_dwordx4 off, v[204:207], off offset:208
.LBB63_691:
	s_or_b64 exec, exec, s[4:5]
	scratch_load_dwordx4 v[2:5], v189, off
	v_cmp_lt_u32_e64 s[0:1], 12, v0
	s_waitcnt vmcnt(0)
	ds_write_b128 v9, v[2:5]
	s_waitcnt lgkmcnt(0)
	; wave barrier
	s_waitcnt lgkmcnt(0)
	s_and_saveexec_b64 s[4:5], s[0:1]
	s_cbranch_execz .LBB63_705
; %bb.692:
	ds_read_b128 v[2:5], v9
	s_andn2_b64 vcc, exec, s[6:7]
	s_cbranch_vccnz .LBB63_694
; %bb.693:
	scratch_load_dwordx4 v[202:205], v8, off
	s_waitcnt vmcnt(0) lgkmcnt(0)
	v_mul_f64 v[10:11], v[2:3], v[204:205]
	v_mul_f64 v[6:7], v[4:5], v[204:205]
	v_fmac_f64_e32 v[10:11], v[4:5], v[202:203]
	v_fma_f64 v[2:3], v[2:3], v[202:203], -v[6:7]
	v_mov_b64_e32 v[4:5], v[10:11]
.LBB63_694:
	s_and_saveexec_b64 s[8:9], s[2:3]
	s_cbranch_execz .LBB63_704
; %bb.695:
	v_add_u32_e32 v7, -14, v0
	v_add_u32_e32 v6, -13, v0
	v_cmp_lt_u32_e32 vcc, 6, v7
	v_mov_b32_e32 v202, 13
	s_and_saveexec_b64 s[2:3], vcc
	s_cbranch_execz .LBB63_699
; %bb.696:
	v_and_b32_e32 v7, -8, v6
	s_mov_b32 s12, 0
	s_mov_b64 s[10:11], 0
	v_mov_b32_e32 v201, 0
	s_mov_b32 s13, 0
.LBB63_697:                             ; =>This Inner Loop Header: Depth=1
	v_readfirstlane_b32 s14, v201
	s_add_i32 s14, s14, s12
	s_add_i32 s15, s14, 0xd0
	v_mov_b32_e32 v28, s12
	ds_read_b128 v[202:205], v28 offset:1232
	ds_read_b128 v[206:209], v28 offset:1248
	;; [unrolled: 1-line block ×4, first 2 shown]
	scratch_load_dwordx4 v[218:221], off, s15
	s_add_i32 s15, s14, 0xe0
	s_addk_i32 s12, 0x80
	s_waitcnt vmcnt(0) lgkmcnt(3)
	v_mul_f64 v[10:11], v[204:205], v[220:221]
	v_mul_f64 v[12:13], v[202:203], v[220:221]
	v_fma_f64 v[10:11], v[202:203], v[218:219], -v[10:11]
	v_fmac_f64_e32 v[12:13], v[204:205], v[218:219]
	v_add_f64 v[10:11], v[2:3], v[10:11]
	v_add_f64 v[12:13], v[4:5], v[12:13]
	scratch_load_dwordx4 v[2:5], off, s15
	s_add_i32 s15, s14, 0xf0
	s_waitcnt vmcnt(0) lgkmcnt(2)
	v_mul_f64 v[22:23], v[208:209], v[4:5]
	v_mul_f64 v[4:5], v[206:207], v[4:5]
	v_fmac_f64_e32 v[4:5], v[208:209], v[2:3]
	v_fma_f64 v[22:23], v[206:207], v[2:3], -v[22:23]
	v_add_f64 v[12:13], v[12:13], v[4:5]
	scratch_load_dwordx4 v[2:5], off, s15
	v_add_f64 v[10:11], v[10:11], v[22:23]
	s_add_i32 s15, s14, 0x100
	s_waitcnt vmcnt(0) lgkmcnt(1)
	v_mul_f64 v[22:23], v[212:213], v[4:5]
	v_mul_f64 v[4:5], v[210:211], v[4:5]
	v_fmac_f64_e32 v[4:5], v[212:213], v[2:3]
	v_fma_f64 v[22:23], v[210:211], v[2:3], -v[22:23]
	v_add_f64 v[12:13], v[12:13], v[4:5]
	scratch_load_dwordx4 v[2:5], off, s15
	s_add_i32 s15, s14, 0x110
	scratch_load_dwordx4 v[202:205], off, s15
	v_add_f64 v[10:11], v[10:11], v[22:23]
	s_add_i32 s15, s14, 0x120
	s_waitcnt vmcnt(1) lgkmcnt(0)
	v_mul_f64 v[22:23], v[216:217], v[4:5]
	v_mul_f64 v[4:5], v[214:215], v[4:5]
	v_fmac_f64_e32 v[4:5], v[216:217], v[2:3]
	v_fma_f64 v[22:23], v[214:215], v[2:3], -v[22:23]
	v_add_f64 v[12:13], v[12:13], v[4:5]
	ds_read_b128 v[2:5], v28 offset:1296
	v_add_f64 v[10:11], v[10:11], v[22:23]
	s_waitcnt vmcnt(0) lgkmcnt(0)
	v_mul_f64 v[22:23], v[4:5], v[204:205]
	v_fma_f64 v[22:23], v[2:3], v[202:203], -v[22:23]
	v_mul_f64 v[2:3], v[2:3], v[204:205]
	v_fmac_f64_e32 v[2:3], v[4:5], v[202:203]
	scratch_load_dwordx4 v[202:205], off, s15
	v_add_f64 v[12:13], v[12:13], v[2:3]
	ds_read_b128 v[2:5], v28 offset:1312
	v_add_f64 v[10:11], v[10:11], v[22:23]
	s_add_i32 s15, s14, 0x130
	s_addk_i32 s14, 0x140
	s_waitcnt vmcnt(0) lgkmcnt(0)
	v_mul_f64 v[22:23], v[4:5], v[204:205]
	v_fma_f64 v[22:23], v[2:3], v[202:203], -v[22:23]
	v_mul_f64 v[2:3], v[2:3], v[204:205]
	v_fmac_f64_e32 v[2:3], v[4:5], v[202:203]
	scratch_load_dwordx4 v[202:205], off, s15
	v_add_f64 v[12:13], v[12:13], v[2:3]
	ds_read_b128 v[2:5], v28 offset:1328
	v_add_f64 v[10:11], v[10:11], v[22:23]
	s_waitcnt vmcnt(0) lgkmcnt(0)
	v_mul_f64 v[22:23], v[4:5], v[204:205]
	v_fma_f64 v[22:23], v[2:3], v[202:203], -v[22:23]
	v_mul_f64 v[2:3], v[2:3], v[204:205]
	v_fmac_f64_e32 v[2:3], v[4:5], v[202:203]
	scratch_load_dwordx4 v[202:205], off, s14
	v_add_f64 v[12:13], v[12:13], v[2:3]
	ds_read_b128 v[2:5], v28 offset:1344
	v_add_f64 v[10:11], v[10:11], v[22:23]
	s_add_i32 s14, s13, 8
	v_cmp_eq_u32_e32 vcc, s14, v7
	s_add_i32 s13, s13, 21
	s_or_b64 s[10:11], vcc, s[10:11]
	s_waitcnt vmcnt(0) lgkmcnt(0)
	v_mul_f64 v[22:23], v[4:5], v[204:205]
	v_mul_f64 v[28:29], v[2:3], v[204:205]
	v_fma_f64 v[22:23], v[2:3], v[202:203], -v[22:23]
	v_fmac_f64_e32 v[28:29], v[4:5], v[202:203]
	v_add_f64 v[2:3], v[10:11], v[22:23]
	v_add_f64 v[4:5], v[12:13], v[28:29]
	v_mov_b32_e32 v202, s13
	s_mov_b32 s13, s14
	s_andn2_b64 exec, exec, s[10:11]
	s_cbranch_execnz .LBB63_697
; %bb.698:
	s_or_b64 exec, exec, s[10:11]
.LBB63_699:
	s_or_b64 exec, exec, s[2:3]
	v_and_b32_e32 v6, 7, v6
	v_cmp_ne_u32_e32 vcc, 0, v6
	s_and_saveexec_b64 s[2:3], vcc
	s_cbranch_execz .LBB63_703
; %bb.700:
	v_lshlrev_b32_e32 v10, 4, v202
	v_add_u32_e32 v7, 0x400, v10
	v_add_u32_e32 v201, 0, v10
	s_mov_b64 s[10:11], 0
.LBB63_701:                             ; =>This Inner Loop Header: Depth=1
	scratch_load_dwordx4 v[202:205], v201, off
	ds_read_b128 v[206:209], v7
	v_add_u32_e32 v6, -1, v6
	v_cmp_eq_u32_e32 vcc, 0, v6
	v_add_u32_e32 v7, 16, v7
	v_add_u32_e32 v201, 16, v201
	s_or_b64 s[10:11], vcc, s[10:11]
	s_waitcnt vmcnt(0) lgkmcnt(0)
	v_mul_f64 v[10:11], v[208:209], v[204:205]
	v_mul_f64 v[12:13], v[206:207], v[204:205]
	v_fma_f64 v[10:11], v[206:207], v[202:203], -v[10:11]
	v_fmac_f64_e32 v[12:13], v[208:209], v[202:203]
	v_add_f64 v[2:3], v[2:3], v[10:11]
	v_add_f64 v[4:5], v[4:5], v[12:13]
	s_andn2_b64 exec, exec, s[10:11]
	s_cbranch_execnz .LBB63_701
; %bb.702:
	s_or_b64 exec, exec, s[10:11]
.LBB63_703:
	s_or_b64 exec, exec, s[2:3]
.LBB63_704:
	s_or_b64 exec, exec, s[8:9]
	v_mov_b32_e32 v6, 0
	ds_read_b128 v[202:205], v6 offset:192
	s_waitcnt lgkmcnt(0)
	v_mul_f64 v[6:7], v[4:5], v[204:205]
	v_mul_f64 v[206:207], v[2:3], v[204:205]
	v_fma_f64 v[204:205], v[2:3], v[202:203], -v[6:7]
	v_fmac_f64_e32 v[206:207], v[4:5], v[202:203]
	scratch_store_dwordx4 off, v[204:207], off offset:192
.LBB63_705:
	s_or_b64 exec, exec, s[4:5]
	scratch_load_dwordx4 v[2:5], v190, off
	v_cmp_lt_u32_e64 s[2:3], 11, v0
	s_waitcnt vmcnt(0)
	ds_write_b128 v9, v[2:5]
	s_waitcnt lgkmcnt(0)
	; wave barrier
	s_waitcnt lgkmcnt(0)
	s_and_saveexec_b64 s[4:5], s[2:3]
	s_cbranch_execz .LBB63_719
; %bb.706:
	ds_read_b128 v[2:5], v9
	s_andn2_b64 vcc, exec, s[6:7]
	s_cbranch_vccnz .LBB63_708
; %bb.707:
	scratch_load_dwordx4 v[202:205], v8, off
	s_waitcnt vmcnt(0) lgkmcnt(0)
	v_mul_f64 v[10:11], v[2:3], v[204:205]
	v_mul_f64 v[6:7], v[4:5], v[204:205]
	v_fmac_f64_e32 v[10:11], v[4:5], v[202:203]
	v_fma_f64 v[2:3], v[2:3], v[202:203], -v[6:7]
	v_mov_b64_e32 v[4:5], v[10:11]
.LBB63_708:
	s_and_saveexec_b64 s[8:9], s[0:1]
	s_cbranch_execz .LBB63_718
; %bb.709:
	v_add_u32_e32 v7, -13, v0
	v_add_u32_e32 v6, -12, v0
	v_cmp_lt_u32_e32 vcc, 6, v7
	v_mov_b32_e32 v202, 12
	s_and_saveexec_b64 s[0:1], vcc
	s_cbranch_execz .LBB63_713
; %bb.710:
	v_and_b32_e32 v7, -8, v6
	s_mov_b32 s12, 0
	s_mov_b64 s[10:11], 0
	v_mov_b32_e32 v201, 0
	s_mov_b32 s13, 0
.LBB63_711:                             ; =>This Inner Loop Header: Depth=1
	v_readfirstlane_b32 s14, v201
	s_add_i32 s14, s14, s12
	s_add_i32 s15, s14, 0xc0
	v_mov_b32_e32 v28, s12
	ds_read_b128 v[202:205], v28 offset:1216
	ds_read_b128 v[206:209], v28 offset:1232
	;; [unrolled: 1-line block ×4, first 2 shown]
	scratch_load_dwordx4 v[218:221], off, s15
	s_add_i32 s15, s14, 0xd0
	s_addk_i32 s12, 0x80
	s_waitcnt vmcnt(0) lgkmcnt(3)
	v_mul_f64 v[10:11], v[204:205], v[220:221]
	v_mul_f64 v[12:13], v[202:203], v[220:221]
	v_fma_f64 v[10:11], v[202:203], v[218:219], -v[10:11]
	v_fmac_f64_e32 v[12:13], v[204:205], v[218:219]
	v_add_f64 v[10:11], v[2:3], v[10:11]
	v_add_f64 v[12:13], v[4:5], v[12:13]
	scratch_load_dwordx4 v[2:5], off, s15
	s_add_i32 s15, s14, 0xe0
	s_waitcnt vmcnt(0) lgkmcnt(2)
	v_mul_f64 v[22:23], v[208:209], v[4:5]
	v_mul_f64 v[4:5], v[206:207], v[4:5]
	v_fmac_f64_e32 v[4:5], v[208:209], v[2:3]
	v_fma_f64 v[22:23], v[206:207], v[2:3], -v[22:23]
	v_add_f64 v[12:13], v[12:13], v[4:5]
	scratch_load_dwordx4 v[2:5], off, s15
	v_add_f64 v[10:11], v[10:11], v[22:23]
	s_add_i32 s15, s14, 0xf0
	s_waitcnt vmcnt(0) lgkmcnt(1)
	v_mul_f64 v[22:23], v[212:213], v[4:5]
	v_mul_f64 v[4:5], v[210:211], v[4:5]
	v_fmac_f64_e32 v[4:5], v[212:213], v[2:3]
	v_fma_f64 v[22:23], v[210:211], v[2:3], -v[22:23]
	v_add_f64 v[12:13], v[12:13], v[4:5]
	scratch_load_dwordx4 v[2:5], off, s15
	s_add_i32 s15, s14, 0x100
	scratch_load_dwordx4 v[202:205], off, s15
	v_add_f64 v[10:11], v[10:11], v[22:23]
	s_add_i32 s15, s14, 0x110
	s_waitcnt vmcnt(1) lgkmcnt(0)
	v_mul_f64 v[22:23], v[216:217], v[4:5]
	v_mul_f64 v[4:5], v[214:215], v[4:5]
	v_fmac_f64_e32 v[4:5], v[216:217], v[2:3]
	v_fma_f64 v[22:23], v[214:215], v[2:3], -v[22:23]
	v_add_f64 v[12:13], v[12:13], v[4:5]
	ds_read_b128 v[2:5], v28 offset:1280
	v_add_f64 v[10:11], v[10:11], v[22:23]
	s_waitcnt vmcnt(0) lgkmcnt(0)
	v_mul_f64 v[22:23], v[4:5], v[204:205]
	v_fma_f64 v[22:23], v[2:3], v[202:203], -v[22:23]
	v_mul_f64 v[2:3], v[2:3], v[204:205]
	v_fmac_f64_e32 v[2:3], v[4:5], v[202:203]
	scratch_load_dwordx4 v[202:205], off, s15
	v_add_f64 v[12:13], v[12:13], v[2:3]
	ds_read_b128 v[2:5], v28 offset:1296
	v_add_f64 v[10:11], v[10:11], v[22:23]
	s_add_i32 s15, s14, 0x120
	s_addk_i32 s14, 0x130
	s_waitcnt vmcnt(0) lgkmcnt(0)
	v_mul_f64 v[22:23], v[4:5], v[204:205]
	v_fma_f64 v[22:23], v[2:3], v[202:203], -v[22:23]
	v_mul_f64 v[2:3], v[2:3], v[204:205]
	v_fmac_f64_e32 v[2:3], v[4:5], v[202:203]
	scratch_load_dwordx4 v[202:205], off, s15
	v_add_f64 v[12:13], v[12:13], v[2:3]
	ds_read_b128 v[2:5], v28 offset:1312
	v_add_f64 v[10:11], v[10:11], v[22:23]
	s_waitcnt vmcnt(0) lgkmcnt(0)
	v_mul_f64 v[22:23], v[4:5], v[204:205]
	v_fma_f64 v[22:23], v[2:3], v[202:203], -v[22:23]
	v_mul_f64 v[2:3], v[2:3], v[204:205]
	v_fmac_f64_e32 v[2:3], v[4:5], v[202:203]
	scratch_load_dwordx4 v[202:205], off, s14
	v_add_f64 v[12:13], v[12:13], v[2:3]
	ds_read_b128 v[2:5], v28 offset:1328
	v_add_f64 v[10:11], v[10:11], v[22:23]
	s_add_i32 s14, s13, 8
	v_cmp_eq_u32_e32 vcc, s14, v7
	s_add_i32 s13, s13, 20
	s_or_b64 s[10:11], vcc, s[10:11]
	s_waitcnt vmcnt(0) lgkmcnt(0)
	v_mul_f64 v[22:23], v[4:5], v[204:205]
	v_mul_f64 v[28:29], v[2:3], v[204:205]
	v_fma_f64 v[22:23], v[2:3], v[202:203], -v[22:23]
	v_fmac_f64_e32 v[28:29], v[4:5], v[202:203]
	v_add_f64 v[2:3], v[10:11], v[22:23]
	v_add_f64 v[4:5], v[12:13], v[28:29]
	v_mov_b32_e32 v202, s13
	s_mov_b32 s13, s14
	s_andn2_b64 exec, exec, s[10:11]
	s_cbranch_execnz .LBB63_711
; %bb.712:
	s_or_b64 exec, exec, s[10:11]
.LBB63_713:
	s_or_b64 exec, exec, s[0:1]
	v_and_b32_e32 v6, 7, v6
	v_cmp_ne_u32_e32 vcc, 0, v6
	s_and_saveexec_b64 s[0:1], vcc
	s_cbranch_execz .LBB63_717
; %bb.714:
	v_lshlrev_b32_e32 v10, 4, v202
	v_add_u32_e32 v7, 0x400, v10
	v_add_u32_e32 v201, 0, v10
	s_mov_b64 s[10:11], 0
.LBB63_715:                             ; =>This Inner Loop Header: Depth=1
	scratch_load_dwordx4 v[202:205], v201, off
	ds_read_b128 v[206:209], v7
	v_add_u32_e32 v6, -1, v6
	v_cmp_eq_u32_e32 vcc, 0, v6
	v_add_u32_e32 v7, 16, v7
	v_add_u32_e32 v201, 16, v201
	s_or_b64 s[10:11], vcc, s[10:11]
	s_waitcnt vmcnt(0) lgkmcnt(0)
	v_mul_f64 v[10:11], v[208:209], v[204:205]
	v_mul_f64 v[12:13], v[206:207], v[204:205]
	v_fma_f64 v[10:11], v[206:207], v[202:203], -v[10:11]
	v_fmac_f64_e32 v[12:13], v[208:209], v[202:203]
	v_add_f64 v[2:3], v[2:3], v[10:11]
	v_add_f64 v[4:5], v[4:5], v[12:13]
	s_andn2_b64 exec, exec, s[10:11]
	s_cbranch_execnz .LBB63_715
; %bb.716:
	s_or_b64 exec, exec, s[10:11]
.LBB63_717:
	s_or_b64 exec, exec, s[0:1]
.LBB63_718:
	s_or_b64 exec, exec, s[8:9]
	v_mov_b32_e32 v6, 0
	ds_read_b128 v[202:205], v6 offset:176
	s_waitcnt lgkmcnt(0)
	v_mul_f64 v[6:7], v[4:5], v[204:205]
	v_mul_f64 v[206:207], v[2:3], v[204:205]
	v_fma_f64 v[204:205], v[2:3], v[202:203], -v[6:7]
	v_fmac_f64_e32 v[206:207], v[4:5], v[202:203]
	scratch_store_dwordx4 off, v[204:207], off offset:176
.LBB63_719:
	s_or_b64 exec, exec, s[4:5]
	scratch_load_dwordx4 v[2:5], v191, off
	v_cmp_lt_u32_e64 s[0:1], 10, v0
	s_waitcnt vmcnt(0)
	ds_write_b128 v9, v[2:5]
	s_waitcnt lgkmcnt(0)
	; wave barrier
	s_waitcnt lgkmcnt(0)
	s_and_saveexec_b64 s[4:5], s[0:1]
	s_cbranch_execz .LBB63_733
; %bb.720:
	ds_read_b128 v[2:5], v9
	s_andn2_b64 vcc, exec, s[6:7]
	s_cbranch_vccnz .LBB63_722
; %bb.721:
	scratch_load_dwordx4 v[202:205], v8, off
	s_waitcnt vmcnt(0) lgkmcnt(0)
	v_mul_f64 v[10:11], v[2:3], v[204:205]
	v_mul_f64 v[6:7], v[4:5], v[204:205]
	v_fmac_f64_e32 v[10:11], v[4:5], v[202:203]
	v_fma_f64 v[2:3], v[2:3], v[202:203], -v[6:7]
	v_mov_b64_e32 v[4:5], v[10:11]
.LBB63_722:
	s_and_saveexec_b64 s[8:9], s[2:3]
	s_cbranch_execz .LBB63_732
; %bb.723:
	v_add_u32_e32 v7, -12, v0
	v_add_u32_e32 v6, -11, v0
	v_cmp_lt_u32_e32 vcc, 6, v7
	v_mov_b32_e32 v202, 11
	s_and_saveexec_b64 s[2:3], vcc
	s_cbranch_execz .LBB63_727
; %bb.724:
	v_and_b32_e32 v7, -8, v6
	s_mov_b32 s12, 0
	s_mov_b64 s[10:11], 0
	v_mov_b32_e32 v201, 0
	s_mov_b32 s13, 0
.LBB63_725:                             ; =>This Inner Loop Header: Depth=1
	v_readfirstlane_b32 s14, v201
	s_add_i32 s14, s14, s12
	s_add_i32 s15, s14, 0xb0
	v_mov_b32_e32 v28, s12
	ds_read_b128 v[202:205], v28 offset:1200
	ds_read_b128 v[206:209], v28 offset:1216
	;; [unrolled: 1-line block ×4, first 2 shown]
	scratch_load_dwordx4 v[218:221], off, s15
	s_add_i32 s15, s14, 0xc0
	s_addk_i32 s12, 0x80
	s_waitcnt vmcnt(0) lgkmcnt(3)
	v_mul_f64 v[10:11], v[204:205], v[220:221]
	v_mul_f64 v[12:13], v[202:203], v[220:221]
	v_fma_f64 v[10:11], v[202:203], v[218:219], -v[10:11]
	v_fmac_f64_e32 v[12:13], v[204:205], v[218:219]
	v_add_f64 v[10:11], v[2:3], v[10:11]
	v_add_f64 v[12:13], v[4:5], v[12:13]
	scratch_load_dwordx4 v[2:5], off, s15
	s_add_i32 s15, s14, 0xd0
	s_waitcnt vmcnt(0) lgkmcnt(2)
	v_mul_f64 v[22:23], v[208:209], v[4:5]
	v_mul_f64 v[4:5], v[206:207], v[4:5]
	v_fmac_f64_e32 v[4:5], v[208:209], v[2:3]
	v_fma_f64 v[22:23], v[206:207], v[2:3], -v[22:23]
	v_add_f64 v[12:13], v[12:13], v[4:5]
	scratch_load_dwordx4 v[2:5], off, s15
	v_add_f64 v[10:11], v[10:11], v[22:23]
	s_add_i32 s15, s14, 0xe0
	s_waitcnt vmcnt(0) lgkmcnt(1)
	v_mul_f64 v[22:23], v[212:213], v[4:5]
	v_mul_f64 v[4:5], v[210:211], v[4:5]
	v_fmac_f64_e32 v[4:5], v[212:213], v[2:3]
	v_fma_f64 v[22:23], v[210:211], v[2:3], -v[22:23]
	v_add_f64 v[12:13], v[12:13], v[4:5]
	scratch_load_dwordx4 v[2:5], off, s15
	s_add_i32 s15, s14, 0xf0
	scratch_load_dwordx4 v[202:205], off, s15
	v_add_f64 v[10:11], v[10:11], v[22:23]
	s_add_i32 s15, s14, 0x100
	s_waitcnt vmcnt(1) lgkmcnt(0)
	v_mul_f64 v[22:23], v[216:217], v[4:5]
	v_mul_f64 v[4:5], v[214:215], v[4:5]
	v_fmac_f64_e32 v[4:5], v[216:217], v[2:3]
	v_fma_f64 v[22:23], v[214:215], v[2:3], -v[22:23]
	v_add_f64 v[12:13], v[12:13], v[4:5]
	ds_read_b128 v[2:5], v28 offset:1264
	v_add_f64 v[10:11], v[10:11], v[22:23]
	s_waitcnt vmcnt(0) lgkmcnt(0)
	v_mul_f64 v[22:23], v[4:5], v[204:205]
	v_fma_f64 v[22:23], v[2:3], v[202:203], -v[22:23]
	v_mul_f64 v[2:3], v[2:3], v[204:205]
	v_fmac_f64_e32 v[2:3], v[4:5], v[202:203]
	scratch_load_dwordx4 v[202:205], off, s15
	v_add_f64 v[12:13], v[12:13], v[2:3]
	ds_read_b128 v[2:5], v28 offset:1280
	v_add_f64 v[10:11], v[10:11], v[22:23]
	s_add_i32 s15, s14, 0x110
	s_addk_i32 s14, 0x120
	s_waitcnt vmcnt(0) lgkmcnt(0)
	v_mul_f64 v[22:23], v[4:5], v[204:205]
	v_fma_f64 v[22:23], v[2:3], v[202:203], -v[22:23]
	v_mul_f64 v[2:3], v[2:3], v[204:205]
	v_fmac_f64_e32 v[2:3], v[4:5], v[202:203]
	scratch_load_dwordx4 v[202:205], off, s15
	v_add_f64 v[12:13], v[12:13], v[2:3]
	ds_read_b128 v[2:5], v28 offset:1296
	v_add_f64 v[10:11], v[10:11], v[22:23]
	s_waitcnt vmcnt(0) lgkmcnt(0)
	v_mul_f64 v[22:23], v[4:5], v[204:205]
	v_fma_f64 v[22:23], v[2:3], v[202:203], -v[22:23]
	v_mul_f64 v[2:3], v[2:3], v[204:205]
	v_fmac_f64_e32 v[2:3], v[4:5], v[202:203]
	scratch_load_dwordx4 v[202:205], off, s14
	v_add_f64 v[12:13], v[12:13], v[2:3]
	ds_read_b128 v[2:5], v28 offset:1312
	v_add_f64 v[10:11], v[10:11], v[22:23]
	s_add_i32 s14, s13, 8
	v_cmp_eq_u32_e32 vcc, s14, v7
	s_add_i32 s13, s13, 19
	s_or_b64 s[10:11], vcc, s[10:11]
	s_waitcnt vmcnt(0) lgkmcnt(0)
	v_mul_f64 v[22:23], v[4:5], v[204:205]
	v_mul_f64 v[28:29], v[2:3], v[204:205]
	v_fma_f64 v[22:23], v[2:3], v[202:203], -v[22:23]
	v_fmac_f64_e32 v[28:29], v[4:5], v[202:203]
	v_add_f64 v[2:3], v[10:11], v[22:23]
	v_add_f64 v[4:5], v[12:13], v[28:29]
	v_mov_b32_e32 v202, s13
	s_mov_b32 s13, s14
	s_andn2_b64 exec, exec, s[10:11]
	s_cbranch_execnz .LBB63_725
; %bb.726:
	s_or_b64 exec, exec, s[10:11]
.LBB63_727:
	s_or_b64 exec, exec, s[2:3]
	v_and_b32_e32 v6, 7, v6
	v_cmp_ne_u32_e32 vcc, 0, v6
	s_and_saveexec_b64 s[2:3], vcc
	s_cbranch_execz .LBB63_731
; %bb.728:
	v_lshlrev_b32_e32 v10, 4, v202
	v_add_u32_e32 v7, 0x400, v10
	v_add_u32_e32 v201, 0, v10
	s_mov_b64 s[10:11], 0
.LBB63_729:                             ; =>This Inner Loop Header: Depth=1
	scratch_load_dwordx4 v[202:205], v201, off
	ds_read_b128 v[206:209], v7
	v_add_u32_e32 v6, -1, v6
	v_cmp_eq_u32_e32 vcc, 0, v6
	v_add_u32_e32 v7, 16, v7
	v_add_u32_e32 v201, 16, v201
	s_or_b64 s[10:11], vcc, s[10:11]
	s_waitcnt vmcnt(0) lgkmcnt(0)
	v_mul_f64 v[10:11], v[208:209], v[204:205]
	v_mul_f64 v[12:13], v[206:207], v[204:205]
	v_fma_f64 v[10:11], v[206:207], v[202:203], -v[10:11]
	v_fmac_f64_e32 v[12:13], v[208:209], v[202:203]
	v_add_f64 v[2:3], v[2:3], v[10:11]
	v_add_f64 v[4:5], v[4:5], v[12:13]
	s_andn2_b64 exec, exec, s[10:11]
	s_cbranch_execnz .LBB63_729
; %bb.730:
	s_or_b64 exec, exec, s[10:11]
.LBB63_731:
	s_or_b64 exec, exec, s[2:3]
.LBB63_732:
	s_or_b64 exec, exec, s[8:9]
	v_mov_b32_e32 v6, 0
	ds_read_b128 v[202:205], v6 offset:160
	s_waitcnt lgkmcnt(0)
	v_mul_f64 v[6:7], v[4:5], v[204:205]
	v_mul_f64 v[206:207], v[2:3], v[204:205]
	v_fma_f64 v[204:205], v[2:3], v[202:203], -v[6:7]
	v_fmac_f64_e32 v[206:207], v[4:5], v[202:203]
	scratch_store_dwordx4 off, v[204:207], off offset:160
.LBB63_733:
	s_or_b64 exec, exec, s[4:5]
	scratch_load_dwordx4 v[2:5], v192, off
	v_cmp_lt_u32_e64 s[2:3], 9, v0
	s_waitcnt vmcnt(0)
	ds_write_b128 v9, v[2:5]
	s_waitcnt lgkmcnt(0)
	; wave barrier
	s_waitcnt lgkmcnt(0)
	s_and_saveexec_b64 s[4:5], s[2:3]
	s_cbranch_execz .LBB63_747
; %bb.734:
	ds_read_b128 v[2:5], v9
	s_andn2_b64 vcc, exec, s[6:7]
	s_cbranch_vccnz .LBB63_736
; %bb.735:
	scratch_load_dwordx4 v[202:205], v8, off
	s_waitcnt vmcnt(0) lgkmcnt(0)
	v_mul_f64 v[10:11], v[2:3], v[204:205]
	v_mul_f64 v[6:7], v[4:5], v[204:205]
	v_fmac_f64_e32 v[10:11], v[4:5], v[202:203]
	v_fma_f64 v[2:3], v[2:3], v[202:203], -v[6:7]
	v_mov_b64_e32 v[4:5], v[10:11]
.LBB63_736:
	s_and_saveexec_b64 s[8:9], s[0:1]
	s_cbranch_execz .LBB63_746
; %bb.737:
	v_add_u32_e32 v7, -11, v0
	v_add_u32_e32 v6, -10, v0
	v_cmp_lt_u32_e32 vcc, 6, v7
	v_mov_b32_e32 v202, 10
	s_and_saveexec_b64 s[0:1], vcc
	s_cbranch_execz .LBB63_741
; %bb.738:
	v_and_b32_e32 v7, -8, v6
	s_mov_b32 s12, 0
	s_mov_b64 s[10:11], 0
	v_mov_b32_e32 v201, 0
	s_mov_b32 s13, 0
.LBB63_739:                             ; =>This Inner Loop Header: Depth=1
	v_readfirstlane_b32 s14, v201
	s_add_i32 s14, s14, s12
	s_add_i32 s15, s14, 0xa0
	v_mov_b32_e32 v28, s12
	ds_read_b128 v[202:205], v28 offset:1184
	ds_read_b128 v[206:209], v28 offset:1200
	;; [unrolled: 1-line block ×4, first 2 shown]
	scratch_load_dwordx4 v[218:221], off, s15
	s_add_i32 s15, s14, 0xb0
	s_addk_i32 s12, 0x80
	s_waitcnt vmcnt(0) lgkmcnt(3)
	v_mul_f64 v[10:11], v[204:205], v[220:221]
	v_mul_f64 v[12:13], v[202:203], v[220:221]
	v_fma_f64 v[10:11], v[202:203], v[218:219], -v[10:11]
	v_fmac_f64_e32 v[12:13], v[204:205], v[218:219]
	v_add_f64 v[10:11], v[2:3], v[10:11]
	v_add_f64 v[12:13], v[4:5], v[12:13]
	scratch_load_dwordx4 v[2:5], off, s15
	s_add_i32 s15, s14, 0xc0
	s_waitcnt vmcnt(0) lgkmcnt(2)
	v_mul_f64 v[22:23], v[208:209], v[4:5]
	v_mul_f64 v[4:5], v[206:207], v[4:5]
	v_fmac_f64_e32 v[4:5], v[208:209], v[2:3]
	v_fma_f64 v[22:23], v[206:207], v[2:3], -v[22:23]
	v_add_f64 v[12:13], v[12:13], v[4:5]
	scratch_load_dwordx4 v[2:5], off, s15
	v_add_f64 v[10:11], v[10:11], v[22:23]
	s_add_i32 s15, s14, 0xd0
	s_waitcnt vmcnt(0) lgkmcnt(1)
	v_mul_f64 v[22:23], v[212:213], v[4:5]
	v_mul_f64 v[4:5], v[210:211], v[4:5]
	v_fmac_f64_e32 v[4:5], v[212:213], v[2:3]
	v_fma_f64 v[22:23], v[210:211], v[2:3], -v[22:23]
	v_add_f64 v[12:13], v[12:13], v[4:5]
	scratch_load_dwordx4 v[2:5], off, s15
	s_add_i32 s15, s14, 0xe0
	scratch_load_dwordx4 v[202:205], off, s15
	v_add_f64 v[10:11], v[10:11], v[22:23]
	s_add_i32 s15, s14, 0xf0
	s_waitcnt vmcnt(1) lgkmcnt(0)
	v_mul_f64 v[22:23], v[216:217], v[4:5]
	v_mul_f64 v[4:5], v[214:215], v[4:5]
	v_fmac_f64_e32 v[4:5], v[216:217], v[2:3]
	v_fma_f64 v[22:23], v[214:215], v[2:3], -v[22:23]
	v_add_f64 v[12:13], v[12:13], v[4:5]
	ds_read_b128 v[2:5], v28 offset:1248
	v_add_f64 v[10:11], v[10:11], v[22:23]
	s_waitcnt vmcnt(0) lgkmcnt(0)
	v_mul_f64 v[22:23], v[4:5], v[204:205]
	v_fma_f64 v[22:23], v[2:3], v[202:203], -v[22:23]
	v_mul_f64 v[2:3], v[2:3], v[204:205]
	v_fmac_f64_e32 v[2:3], v[4:5], v[202:203]
	scratch_load_dwordx4 v[202:205], off, s15
	v_add_f64 v[12:13], v[12:13], v[2:3]
	ds_read_b128 v[2:5], v28 offset:1264
	v_add_f64 v[10:11], v[10:11], v[22:23]
	s_add_i32 s15, s14, 0x100
	s_addk_i32 s14, 0x110
	s_waitcnt vmcnt(0) lgkmcnt(0)
	v_mul_f64 v[22:23], v[4:5], v[204:205]
	v_fma_f64 v[22:23], v[2:3], v[202:203], -v[22:23]
	v_mul_f64 v[2:3], v[2:3], v[204:205]
	v_fmac_f64_e32 v[2:3], v[4:5], v[202:203]
	scratch_load_dwordx4 v[202:205], off, s15
	v_add_f64 v[12:13], v[12:13], v[2:3]
	ds_read_b128 v[2:5], v28 offset:1280
	v_add_f64 v[10:11], v[10:11], v[22:23]
	s_waitcnt vmcnt(0) lgkmcnt(0)
	v_mul_f64 v[22:23], v[4:5], v[204:205]
	v_fma_f64 v[22:23], v[2:3], v[202:203], -v[22:23]
	v_mul_f64 v[2:3], v[2:3], v[204:205]
	v_fmac_f64_e32 v[2:3], v[4:5], v[202:203]
	scratch_load_dwordx4 v[202:205], off, s14
	v_add_f64 v[12:13], v[12:13], v[2:3]
	ds_read_b128 v[2:5], v28 offset:1296
	v_add_f64 v[10:11], v[10:11], v[22:23]
	s_add_i32 s14, s13, 8
	v_cmp_eq_u32_e32 vcc, s14, v7
	s_add_i32 s13, s13, 18
	s_or_b64 s[10:11], vcc, s[10:11]
	s_waitcnt vmcnt(0) lgkmcnt(0)
	v_mul_f64 v[22:23], v[4:5], v[204:205]
	v_mul_f64 v[28:29], v[2:3], v[204:205]
	v_fma_f64 v[22:23], v[2:3], v[202:203], -v[22:23]
	v_fmac_f64_e32 v[28:29], v[4:5], v[202:203]
	v_add_f64 v[2:3], v[10:11], v[22:23]
	v_add_f64 v[4:5], v[12:13], v[28:29]
	v_mov_b32_e32 v202, s13
	s_mov_b32 s13, s14
	s_andn2_b64 exec, exec, s[10:11]
	s_cbranch_execnz .LBB63_739
; %bb.740:
	s_or_b64 exec, exec, s[10:11]
.LBB63_741:
	s_or_b64 exec, exec, s[0:1]
	v_and_b32_e32 v6, 7, v6
	v_cmp_ne_u32_e32 vcc, 0, v6
	s_and_saveexec_b64 s[0:1], vcc
	s_cbranch_execz .LBB63_745
; %bb.742:
	v_lshlrev_b32_e32 v10, 4, v202
	v_add_u32_e32 v7, 0x400, v10
	v_add_u32_e32 v201, 0, v10
	s_mov_b64 s[10:11], 0
.LBB63_743:                             ; =>This Inner Loop Header: Depth=1
	scratch_load_dwordx4 v[202:205], v201, off
	ds_read_b128 v[206:209], v7
	v_add_u32_e32 v6, -1, v6
	v_cmp_eq_u32_e32 vcc, 0, v6
	v_add_u32_e32 v7, 16, v7
	v_add_u32_e32 v201, 16, v201
	s_or_b64 s[10:11], vcc, s[10:11]
	s_waitcnt vmcnt(0) lgkmcnt(0)
	v_mul_f64 v[10:11], v[208:209], v[204:205]
	v_mul_f64 v[12:13], v[206:207], v[204:205]
	v_fma_f64 v[10:11], v[206:207], v[202:203], -v[10:11]
	v_fmac_f64_e32 v[12:13], v[208:209], v[202:203]
	v_add_f64 v[2:3], v[2:3], v[10:11]
	v_add_f64 v[4:5], v[4:5], v[12:13]
	s_andn2_b64 exec, exec, s[10:11]
	s_cbranch_execnz .LBB63_743
; %bb.744:
	s_or_b64 exec, exec, s[10:11]
.LBB63_745:
	s_or_b64 exec, exec, s[0:1]
.LBB63_746:
	s_or_b64 exec, exec, s[8:9]
	v_mov_b32_e32 v6, 0
	ds_read_b128 v[202:205], v6 offset:144
	s_waitcnt lgkmcnt(0)
	v_mul_f64 v[6:7], v[4:5], v[204:205]
	v_mul_f64 v[206:207], v[2:3], v[204:205]
	v_fma_f64 v[204:205], v[2:3], v[202:203], -v[6:7]
	v_fmac_f64_e32 v[206:207], v[4:5], v[202:203]
	scratch_store_dwordx4 off, v[204:207], off offset:144
.LBB63_747:
	s_or_b64 exec, exec, s[4:5]
	scratch_load_dwordx4 v[2:5], v193, off
	v_cmp_lt_u32_e64 s[0:1], 8, v0
	s_waitcnt vmcnt(0)
	ds_write_b128 v9, v[2:5]
	s_waitcnt lgkmcnt(0)
	; wave barrier
	s_waitcnt lgkmcnt(0)
	s_and_saveexec_b64 s[4:5], s[0:1]
	s_cbranch_execz .LBB63_761
; %bb.748:
	ds_read_b128 v[2:5], v9
	s_andn2_b64 vcc, exec, s[6:7]
	s_cbranch_vccnz .LBB63_750
; %bb.749:
	scratch_load_dwordx4 v[202:205], v8, off
	s_waitcnt vmcnt(0) lgkmcnt(0)
	v_mul_f64 v[10:11], v[2:3], v[204:205]
	v_mul_f64 v[6:7], v[4:5], v[204:205]
	v_fmac_f64_e32 v[10:11], v[4:5], v[202:203]
	v_fma_f64 v[2:3], v[2:3], v[202:203], -v[6:7]
	v_mov_b64_e32 v[4:5], v[10:11]
.LBB63_750:
	s_and_saveexec_b64 s[8:9], s[2:3]
	s_cbranch_execz .LBB63_760
; %bb.751:
	v_add_u32_e32 v7, -10, v0
	v_add_u32_e32 v6, -9, v0
	v_cmp_lt_u32_e32 vcc, 6, v7
	v_mov_b32_e32 v202, 9
	s_and_saveexec_b64 s[2:3], vcc
	s_cbranch_execz .LBB63_755
; %bb.752:
	v_and_b32_e32 v7, -8, v6
	s_mov_b32 s12, 0
	s_mov_b64 s[10:11], 0
	v_mov_b32_e32 v201, 0
	s_mov_b32 s13, 0
.LBB63_753:                             ; =>This Inner Loop Header: Depth=1
	v_readfirstlane_b32 s14, v201
	s_add_i32 s14, s14, s12
	s_add_i32 s15, s14, 0x90
	v_mov_b32_e32 v28, s12
	ds_read_b128 v[202:205], v28 offset:1168
	ds_read_b128 v[206:209], v28 offset:1184
	;; [unrolled: 1-line block ×4, first 2 shown]
	scratch_load_dwordx4 v[218:221], off, s15
	s_add_i32 s15, s14, 0xa0
	s_addk_i32 s12, 0x80
	s_waitcnt vmcnt(0) lgkmcnt(3)
	v_mul_f64 v[10:11], v[204:205], v[220:221]
	v_mul_f64 v[12:13], v[202:203], v[220:221]
	v_fma_f64 v[10:11], v[202:203], v[218:219], -v[10:11]
	v_fmac_f64_e32 v[12:13], v[204:205], v[218:219]
	v_add_f64 v[10:11], v[2:3], v[10:11]
	v_add_f64 v[12:13], v[4:5], v[12:13]
	scratch_load_dwordx4 v[2:5], off, s15
	s_add_i32 s15, s14, 0xb0
	s_waitcnt vmcnt(0) lgkmcnt(2)
	v_mul_f64 v[22:23], v[208:209], v[4:5]
	v_mul_f64 v[4:5], v[206:207], v[4:5]
	v_fmac_f64_e32 v[4:5], v[208:209], v[2:3]
	v_fma_f64 v[22:23], v[206:207], v[2:3], -v[22:23]
	v_add_f64 v[12:13], v[12:13], v[4:5]
	scratch_load_dwordx4 v[2:5], off, s15
	v_add_f64 v[10:11], v[10:11], v[22:23]
	s_add_i32 s15, s14, 0xc0
	s_waitcnt vmcnt(0) lgkmcnt(1)
	v_mul_f64 v[22:23], v[212:213], v[4:5]
	v_mul_f64 v[4:5], v[210:211], v[4:5]
	v_fmac_f64_e32 v[4:5], v[212:213], v[2:3]
	v_fma_f64 v[22:23], v[210:211], v[2:3], -v[22:23]
	v_add_f64 v[12:13], v[12:13], v[4:5]
	scratch_load_dwordx4 v[2:5], off, s15
	s_add_i32 s15, s14, 0xd0
	scratch_load_dwordx4 v[202:205], off, s15
	v_add_f64 v[10:11], v[10:11], v[22:23]
	s_add_i32 s15, s14, 0xe0
	s_waitcnt vmcnt(1) lgkmcnt(0)
	v_mul_f64 v[22:23], v[216:217], v[4:5]
	v_mul_f64 v[4:5], v[214:215], v[4:5]
	v_fmac_f64_e32 v[4:5], v[216:217], v[2:3]
	v_fma_f64 v[22:23], v[214:215], v[2:3], -v[22:23]
	v_add_f64 v[12:13], v[12:13], v[4:5]
	ds_read_b128 v[2:5], v28 offset:1232
	v_add_f64 v[10:11], v[10:11], v[22:23]
	s_waitcnt vmcnt(0) lgkmcnt(0)
	v_mul_f64 v[22:23], v[4:5], v[204:205]
	v_fma_f64 v[22:23], v[2:3], v[202:203], -v[22:23]
	v_mul_f64 v[2:3], v[2:3], v[204:205]
	v_fmac_f64_e32 v[2:3], v[4:5], v[202:203]
	scratch_load_dwordx4 v[202:205], off, s15
	v_add_f64 v[12:13], v[12:13], v[2:3]
	ds_read_b128 v[2:5], v28 offset:1248
	v_add_f64 v[10:11], v[10:11], v[22:23]
	s_add_i32 s15, s14, 0xf0
	s_addk_i32 s14, 0x100
	s_waitcnt vmcnt(0) lgkmcnt(0)
	v_mul_f64 v[22:23], v[4:5], v[204:205]
	v_fma_f64 v[22:23], v[2:3], v[202:203], -v[22:23]
	v_mul_f64 v[2:3], v[2:3], v[204:205]
	v_fmac_f64_e32 v[2:3], v[4:5], v[202:203]
	scratch_load_dwordx4 v[202:205], off, s15
	v_add_f64 v[12:13], v[12:13], v[2:3]
	ds_read_b128 v[2:5], v28 offset:1264
	v_add_f64 v[10:11], v[10:11], v[22:23]
	s_waitcnt vmcnt(0) lgkmcnt(0)
	v_mul_f64 v[22:23], v[4:5], v[204:205]
	v_fma_f64 v[22:23], v[2:3], v[202:203], -v[22:23]
	v_mul_f64 v[2:3], v[2:3], v[204:205]
	v_fmac_f64_e32 v[2:3], v[4:5], v[202:203]
	scratch_load_dwordx4 v[202:205], off, s14
	v_add_f64 v[12:13], v[12:13], v[2:3]
	ds_read_b128 v[2:5], v28 offset:1280
	v_add_f64 v[10:11], v[10:11], v[22:23]
	s_add_i32 s14, s13, 8
	v_cmp_eq_u32_e32 vcc, s14, v7
	s_add_i32 s13, s13, 17
	s_or_b64 s[10:11], vcc, s[10:11]
	s_waitcnt vmcnt(0) lgkmcnt(0)
	v_mul_f64 v[22:23], v[4:5], v[204:205]
	v_mul_f64 v[28:29], v[2:3], v[204:205]
	v_fma_f64 v[22:23], v[2:3], v[202:203], -v[22:23]
	v_fmac_f64_e32 v[28:29], v[4:5], v[202:203]
	v_add_f64 v[2:3], v[10:11], v[22:23]
	v_add_f64 v[4:5], v[12:13], v[28:29]
	v_mov_b32_e32 v202, s13
	s_mov_b32 s13, s14
	s_andn2_b64 exec, exec, s[10:11]
	s_cbranch_execnz .LBB63_753
; %bb.754:
	s_or_b64 exec, exec, s[10:11]
.LBB63_755:
	s_or_b64 exec, exec, s[2:3]
	v_and_b32_e32 v6, 7, v6
	v_cmp_ne_u32_e32 vcc, 0, v6
	s_and_saveexec_b64 s[2:3], vcc
	s_cbranch_execz .LBB63_759
; %bb.756:
	v_lshlrev_b32_e32 v10, 4, v202
	v_add_u32_e32 v7, 0x400, v10
	v_add_u32_e32 v201, 0, v10
	s_mov_b64 s[10:11], 0
.LBB63_757:                             ; =>This Inner Loop Header: Depth=1
	scratch_load_dwordx4 v[202:205], v201, off
	ds_read_b128 v[206:209], v7
	v_add_u32_e32 v6, -1, v6
	v_cmp_eq_u32_e32 vcc, 0, v6
	v_add_u32_e32 v7, 16, v7
	v_add_u32_e32 v201, 16, v201
	s_or_b64 s[10:11], vcc, s[10:11]
	s_waitcnt vmcnt(0) lgkmcnt(0)
	v_mul_f64 v[10:11], v[208:209], v[204:205]
	v_mul_f64 v[12:13], v[206:207], v[204:205]
	v_fma_f64 v[10:11], v[206:207], v[202:203], -v[10:11]
	v_fmac_f64_e32 v[12:13], v[208:209], v[202:203]
	v_add_f64 v[2:3], v[2:3], v[10:11]
	v_add_f64 v[4:5], v[4:5], v[12:13]
	s_andn2_b64 exec, exec, s[10:11]
	s_cbranch_execnz .LBB63_757
; %bb.758:
	s_or_b64 exec, exec, s[10:11]
.LBB63_759:
	s_or_b64 exec, exec, s[2:3]
.LBB63_760:
	s_or_b64 exec, exec, s[8:9]
	v_mov_b32_e32 v6, 0
	ds_read_b128 v[202:205], v6 offset:128
	s_waitcnt lgkmcnt(0)
	v_mul_f64 v[6:7], v[4:5], v[204:205]
	v_mul_f64 v[206:207], v[2:3], v[204:205]
	v_fma_f64 v[204:205], v[2:3], v[202:203], -v[6:7]
	v_fmac_f64_e32 v[206:207], v[4:5], v[202:203]
	scratch_store_dwordx4 off, v[204:207], off offset:128
.LBB63_761:
	s_or_b64 exec, exec, s[4:5]
	scratch_load_dwordx4 v[2:5], v194, off
	v_cmp_lt_u32_e64 s[2:3], 7, v0
	s_waitcnt vmcnt(0)
	ds_write_b128 v9, v[2:5]
	s_waitcnt lgkmcnt(0)
	; wave barrier
	s_waitcnt lgkmcnt(0)
	s_and_saveexec_b64 s[4:5], s[2:3]
	s_cbranch_execz .LBB63_775
; %bb.762:
	ds_read_b128 v[2:5], v9
	s_andn2_b64 vcc, exec, s[6:7]
	s_cbranch_vccnz .LBB63_764
; %bb.763:
	scratch_load_dwordx4 v[202:205], v8, off
	s_waitcnt vmcnt(0) lgkmcnt(0)
	v_mul_f64 v[10:11], v[2:3], v[204:205]
	v_mul_f64 v[6:7], v[4:5], v[204:205]
	v_fmac_f64_e32 v[10:11], v[4:5], v[202:203]
	v_fma_f64 v[2:3], v[2:3], v[202:203], -v[6:7]
	v_mov_b64_e32 v[4:5], v[10:11]
.LBB63_764:
	s_and_saveexec_b64 s[8:9], s[0:1]
	s_cbranch_execz .LBB63_774
; %bb.765:
	v_add_u32_e32 v6, -9, v0
	v_cmp_lt_u32_e32 vcc, 6, v6
	v_mov_b32_e32 v6, 8
	s_and_saveexec_b64 s[0:1], vcc
	s_cbranch_execz .LBB63_769
; %bb.766:
	v_and_b32_e32 v6, 56, v0
	s_mov_b32 s12, 8
	s_mov_b32 s13, 0
	s_mov_b64 s[10:11], 0
	v_mov_b32_e32 v7, 0
.LBB63_767:                             ; =>This Inner Loop Header: Depth=1
	s_nop 0
	v_readfirstlane_b32 s14, v7
	s_add_i32 s14, s14, s13
	s_add_i32 s15, s14, 0x80
	v_mov_b32_e32 v28, s13
	ds_read_b128 v[202:205], v28 offset:1152
	ds_read_b128 v[206:209], v28 offset:1168
	;; [unrolled: 1-line block ×4, first 2 shown]
	scratch_load_dwordx4 v[218:221], off, s15
	s_add_i32 s15, s14, 0x90
	s_add_i32 s12, s12, 8
	s_addk_i32 s13, 0x80
	v_cmp_eq_u32_e32 vcc, s12, v6
	s_waitcnt vmcnt(0) lgkmcnt(3)
	v_mul_f64 v[10:11], v[204:205], v[220:221]
	v_mul_f64 v[12:13], v[202:203], v[220:221]
	v_fma_f64 v[10:11], v[202:203], v[218:219], -v[10:11]
	v_fmac_f64_e32 v[12:13], v[204:205], v[218:219]
	v_add_f64 v[10:11], v[2:3], v[10:11]
	v_add_f64 v[12:13], v[4:5], v[12:13]
	scratch_load_dwordx4 v[2:5], off, s15
	s_add_i32 s15, s14, 0xa0
	s_waitcnt vmcnt(0) lgkmcnt(2)
	v_mul_f64 v[22:23], v[208:209], v[4:5]
	v_mul_f64 v[4:5], v[206:207], v[4:5]
	v_fmac_f64_e32 v[4:5], v[208:209], v[2:3]
	v_fma_f64 v[22:23], v[206:207], v[2:3], -v[22:23]
	v_add_f64 v[12:13], v[12:13], v[4:5]
	scratch_load_dwordx4 v[2:5], off, s15
	v_add_f64 v[10:11], v[10:11], v[22:23]
	s_add_i32 s15, s14, 0xb0
	s_waitcnt vmcnt(0) lgkmcnt(1)
	v_mul_f64 v[22:23], v[212:213], v[4:5]
	v_mul_f64 v[4:5], v[210:211], v[4:5]
	v_fmac_f64_e32 v[4:5], v[212:213], v[2:3]
	v_fma_f64 v[22:23], v[210:211], v[2:3], -v[22:23]
	v_add_f64 v[12:13], v[12:13], v[4:5]
	scratch_load_dwordx4 v[2:5], off, s15
	s_add_i32 s15, s14, 0xc0
	scratch_load_dwordx4 v[202:205], off, s15
	v_add_f64 v[10:11], v[10:11], v[22:23]
	s_add_i32 s15, s14, 0xd0
	s_waitcnt vmcnt(1) lgkmcnt(0)
	v_mul_f64 v[22:23], v[216:217], v[4:5]
	v_mul_f64 v[4:5], v[214:215], v[4:5]
	v_fmac_f64_e32 v[4:5], v[216:217], v[2:3]
	v_fma_f64 v[22:23], v[214:215], v[2:3], -v[22:23]
	v_add_f64 v[12:13], v[12:13], v[4:5]
	ds_read_b128 v[2:5], v28 offset:1216
	v_add_f64 v[10:11], v[10:11], v[22:23]
	s_waitcnt vmcnt(0) lgkmcnt(0)
	v_mul_f64 v[22:23], v[4:5], v[204:205]
	v_fma_f64 v[22:23], v[2:3], v[202:203], -v[22:23]
	v_mul_f64 v[2:3], v[2:3], v[204:205]
	v_fmac_f64_e32 v[2:3], v[4:5], v[202:203]
	scratch_load_dwordx4 v[202:205], off, s15
	v_add_f64 v[12:13], v[12:13], v[2:3]
	ds_read_b128 v[2:5], v28 offset:1232
	v_add_f64 v[10:11], v[10:11], v[22:23]
	s_add_i32 s15, s14, 0xe0
	s_addk_i32 s14, 0xf0
	s_or_b64 s[10:11], vcc, s[10:11]
	s_waitcnt vmcnt(0) lgkmcnt(0)
	v_mul_f64 v[22:23], v[4:5], v[204:205]
	v_fma_f64 v[22:23], v[2:3], v[202:203], -v[22:23]
	v_mul_f64 v[2:3], v[2:3], v[204:205]
	v_fmac_f64_e32 v[2:3], v[4:5], v[202:203]
	scratch_load_dwordx4 v[202:205], off, s15
	v_add_f64 v[12:13], v[12:13], v[2:3]
	ds_read_b128 v[2:5], v28 offset:1248
	v_add_f64 v[10:11], v[10:11], v[22:23]
	s_waitcnt vmcnt(0) lgkmcnt(0)
	v_mul_f64 v[22:23], v[4:5], v[204:205]
	v_fma_f64 v[22:23], v[2:3], v[202:203], -v[22:23]
	v_mul_f64 v[2:3], v[2:3], v[204:205]
	v_fmac_f64_e32 v[2:3], v[4:5], v[202:203]
	scratch_load_dwordx4 v[202:205], off, s14
	v_add_f64 v[12:13], v[12:13], v[2:3]
	ds_read_b128 v[2:5], v28 offset:1264
	v_add_f64 v[10:11], v[10:11], v[22:23]
	s_waitcnt vmcnt(0) lgkmcnt(0)
	v_mul_f64 v[22:23], v[4:5], v[204:205]
	v_mul_f64 v[28:29], v[2:3], v[204:205]
	v_fma_f64 v[22:23], v[2:3], v[202:203], -v[22:23]
	v_fmac_f64_e32 v[28:29], v[4:5], v[202:203]
	v_add_f64 v[2:3], v[10:11], v[22:23]
	v_add_f64 v[4:5], v[12:13], v[28:29]
	s_andn2_b64 exec, exec, s[10:11]
	s_cbranch_execnz .LBB63_767
; %bb.768:
	s_or_b64 exec, exec, s[10:11]
.LBB63_769:
	s_or_b64 exec, exec, s[0:1]
	v_and_b32_e32 v7, 7, v0
	v_cmp_ne_u32_e32 vcc, 0, v7
	s_and_saveexec_b64 s[0:1], vcc
	s_cbranch_execz .LBB63_773
; %bb.770:
	v_lshlrev_b32_e32 v10, 4, v6
	v_or_b32_e32 v6, 0x400, v10
	v_add_u32_e32 v201, 0, v10
	s_mov_b64 s[10:11], 0
.LBB63_771:                             ; =>This Inner Loop Header: Depth=1
	scratch_load_dwordx4 v[202:205], v201, off
	ds_read_b128 v[206:209], v6
	v_add_u32_e32 v7, -1, v7
	v_cmp_eq_u32_e32 vcc, 0, v7
	v_add_u32_e32 v6, 16, v6
	v_add_u32_e32 v201, 16, v201
	s_or_b64 s[10:11], vcc, s[10:11]
	s_waitcnt vmcnt(0) lgkmcnt(0)
	v_mul_f64 v[10:11], v[208:209], v[204:205]
	v_mul_f64 v[12:13], v[206:207], v[204:205]
	v_fma_f64 v[10:11], v[206:207], v[202:203], -v[10:11]
	v_fmac_f64_e32 v[12:13], v[208:209], v[202:203]
	v_add_f64 v[2:3], v[2:3], v[10:11]
	v_add_f64 v[4:5], v[4:5], v[12:13]
	s_andn2_b64 exec, exec, s[10:11]
	s_cbranch_execnz .LBB63_771
; %bb.772:
	s_or_b64 exec, exec, s[10:11]
.LBB63_773:
	s_or_b64 exec, exec, s[0:1]
.LBB63_774:
	s_or_b64 exec, exec, s[8:9]
	v_mov_b32_e32 v6, 0
	ds_read_b128 v[202:205], v6 offset:112
	s_waitcnt lgkmcnt(0)
	v_mul_f64 v[6:7], v[4:5], v[204:205]
	v_mul_f64 v[206:207], v[2:3], v[204:205]
	v_fma_f64 v[204:205], v[2:3], v[202:203], -v[6:7]
	v_fmac_f64_e32 v[206:207], v[4:5], v[202:203]
	scratch_store_dwordx4 off, v[204:207], off offset:112
.LBB63_775:
	s_or_b64 exec, exec, s[4:5]
	scratch_load_dwordx4 v[2:5], v195, off
	v_cmp_lt_u32_e64 s[0:1], 6, v0
	s_waitcnt vmcnt(0)
	ds_write_b128 v9, v[2:5]
	s_waitcnt lgkmcnt(0)
	; wave barrier
	s_waitcnt lgkmcnt(0)
	s_and_saveexec_b64 s[4:5], s[0:1]
	s_cbranch_execz .LBB63_789
; %bb.776:
	ds_read_b128 v[2:5], v9
	s_andn2_b64 vcc, exec, s[6:7]
	s_cbranch_vccnz .LBB63_778
; %bb.777:
	scratch_load_dwordx4 v[202:205], v8, off
	s_waitcnt vmcnt(0) lgkmcnt(0)
	v_mul_f64 v[10:11], v[2:3], v[204:205]
	v_mul_f64 v[6:7], v[4:5], v[204:205]
	v_fmac_f64_e32 v[10:11], v[4:5], v[202:203]
	v_fma_f64 v[2:3], v[2:3], v[202:203], -v[6:7]
	v_mov_b64_e32 v[4:5], v[10:11]
.LBB63_778:
	s_and_saveexec_b64 s[8:9], s[2:3]
	s_cbranch_execz .LBB63_788
; %bb.779:
	v_add_u32_e32 v7, -8, v0
	v_add_u32_e32 v6, -7, v0
	v_cmp_lt_u32_e32 vcc, 6, v7
	v_mov_b32_e32 v202, 7
	s_and_saveexec_b64 s[2:3], vcc
	s_cbranch_execz .LBB63_783
; %bb.780:
	v_and_b32_e32 v7, -8, v6
	s_mov_b32 s12, 0
	s_mov_b64 s[10:11], 0
	v_mov_b32_e32 v201, 0
	s_mov_b32 s13, 0
.LBB63_781:                             ; =>This Inner Loop Header: Depth=1
	v_readfirstlane_b32 s14, v201
	s_add_i32 s14, s14, s12
	s_add_i32 s15, s14, 0x70
	v_mov_b32_e32 v28, s12
	ds_read_b128 v[202:205], v28 offset:1136
	ds_read_b128 v[206:209], v28 offset:1152
	;; [unrolled: 1-line block ×4, first 2 shown]
	scratch_load_dwordx4 v[218:221], off, s15
	s_add_i32 s15, s14, 0x80
	s_addk_i32 s12, 0x80
	s_waitcnt vmcnt(0) lgkmcnt(3)
	v_mul_f64 v[10:11], v[204:205], v[220:221]
	v_mul_f64 v[12:13], v[202:203], v[220:221]
	v_fma_f64 v[10:11], v[202:203], v[218:219], -v[10:11]
	v_fmac_f64_e32 v[12:13], v[204:205], v[218:219]
	v_add_f64 v[10:11], v[2:3], v[10:11]
	v_add_f64 v[12:13], v[4:5], v[12:13]
	scratch_load_dwordx4 v[2:5], off, s15
	s_add_i32 s15, s14, 0x90
	s_waitcnt vmcnt(0) lgkmcnt(2)
	v_mul_f64 v[22:23], v[208:209], v[4:5]
	v_mul_f64 v[4:5], v[206:207], v[4:5]
	v_fmac_f64_e32 v[4:5], v[208:209], v[2:3]
	v_fma_f64 v[22:23], v[206:207], v[2:3], -v[22:23]
	v_add_f64 v[12:13], v[12:13], v[4:5]
	scratch_load_dwordx4 v[2:5], off, s15
	v_add_f64 v[10:11], v[10:11], v[22:23]
	s_add_i32 s15, s14, 0xa0
	s_waitcnt vmcnt(0) lgkmcnt(1)
	v_mul_f64 v[22:23], v[212:213], v[4:5]
	v_mul_f64 v[4:5], v[210:211], v[4:5]
	v_fmac_f64_e32 v[4:5], v[212:213], v[2:3]
	v_fma_f64 v[22:23], v[210:211], v[2:3], -v[22:23]
	v_add_f64 v[12:13], v[12:13], v[4:5]
	scratch_load_dwordx4 v[2:5], off, s15
	s_add_i32 s15, s14, 0xb0
	scratch_load_dwordx4 v[202:205], off, s15
	v_add_f64 v[10:11], v[10:11], v[22:23]
	s_add_i32 s15, s14, 0xc0
	s_waitcnt vmcnt(1) lgkmcnt(0)
	v_mul_f64 v[22:23], v[216:217], v[4:5]
	v_mul_f64 v[4:5], v[214:215], v[4:5]
	v_fmac_f64_e32 v[4:5], v[216:217], v[2:3]
	v_fma_f64 v[22:23], v[214:215], v[2:3], -v[22:23]
	v_add_f64 v[12:13], v[12:13], v[4:5]
	ds_read_b128 v[2:5], v28 offset:1200
	v_add_f64 v[10:11], v[10:11], v[22:23]
	s_waitcnt vmcnt(0) lgkmcnt(0)
	v_mul_f64 v[22:23], v[4:5], v[204:205]
	v_fma_f64 v[22:23], v[2:3], v[202:203], -v[22:23]
	v_mul_f64 v[2:3], v[2:3], v[204:205]
	v_fmac_f64_e32 v[2:3], v[4:5], v[202:203]
	scratch_load_dwordx4 v[202:205], off, s15
	v_add_f64 v[12:13], v[12:13], v[2:3]
	ds_read_b128 v[2:5], v28 offset:1216
	v_add_f64 v[10:11], v[10:11], v[22:23]
	s_add_i32 s15, s14, 0xd0
	s_addk_i32 s14, 0xe0
	s_waitcnt vmcnt(0) lgkmcnt(0)
	v_mul_f64 v[22:23], v[4:5], v[204:205]
	v_fma_f64 v[22:23], v[2:3], v[202:203], -v[22:23]
	v_mul_f64 v[2:3], v[2:3], v[204:205]
	v_fmac_f64_e32 v[2:3], v[4:5], v[202:203]
	scratch_load_dwordx4 v[202:205], off, s15
	v_add_f64 v[12:13], v[12:13], v[2:3]
	ds_read_b128 v[2:5], v28 offset:1232
	v_add_f64 v[10:11], v[10:11], v[22:23]
	s_waitcnt vmcnt(0) lgkmcnt(0)
	v_mul_f64 v[22:23], v[4:5], v[204:205]
	v_fma_f64 v[22:23], v[2:3], v[202:203], -v[22:23]
	v_mul_f64 v[2:3], v[2:3], v[204:205]
	v_fmac_f64_e32 v[2:3], v[4:5], v[202:203]
	scratch_load_dwordx4 v[202:205], off, s14
	v_add_f64 v[12:13], v[12:13], v[2:3]
	ds_read_b128 v[2:5], v28 offset:1248
	v_add_f64 v[10:11], v[10:11], v[22:23]
	s_add_i32 s14, s13, 8
	v_cmp_eq_u32_e32 vcc, s14, v7
	s_add_i32 s13, s13, 15
	s_or_b64 s[10:11], vcc, s[10:11]
	s_waitcnt vmcnt(0) lgkmcnt(0)
	v_mul_f64 v[22:23], v[4:5], v[204:205]
	v_mul_f64 v[28:29], v[2:3], v[204:205]
	v_fma_f64 v[22:23], v[2:3], v[202:203], -v[22:23]
	v_fmac_f64_e32 v[28:29], v[4:5], v[202:203]
	v_add_f64 v[2:3], v[10:11], v[22:23]
	v_add_f64 v[4:5], v[12:13], v[28:29]
	v_mov_b32_e32 v202, s13
	s_mov_b32 s13, s14
	s_andn2_b64 exec, exec, s[10:11]
	s_cbranch_execnz .LBB63_781
; %bb.782:
	s_or_b64 exec, exec, s[10:11]
.LBB63_783:
	s_or_b64 exec, exec, s[2:3]
	v_and_b32_e32 v6, 7, v6
	v_cmp_ne_u32_e32 vcc, 0, v6
	s_and_saveexec_b64 s[2:3], vcc
	s_cbranch_execz .LBB63_787
; %bb.784:
	v_lshlrev_b32_e32 v10, 4, v202
	v_add_u32_e32 v7, 0x400, v10
	v_add_u32_e32 v201, 0, v10
	s_mov_b64 s[10:11], 0
.LBB63_785:                             ; =>This Inner Loop Header: Depth=1
	scratch_load_dwordx4 v[202:205], v201, off
	ds_read_b128 v[206:209], v7
	v_add_u32_e32 v6, -1, v6
	v_cmp_eq_u32_e32 vcc, 0, v6
	v_add_u32_e32 v7, 16, v7
	v_add_u32_e32 v201, 16, v201
	s_or_b64 s[10:11], vcc, s[10:11]
	s_waitcnt vmcnt(0) lgkmcnt(0)
	v_mul_f64 v[10:11], v[208:209], v[204:205]
	v_mul_f64 v[12:13], v[206:207], v[204:205]
	v_fma_f64 v[10:11], v[206:207], v[202:203], -v[10:11]
	v_fmac_f64_e32 v[12:13], v[208:209], v[202:203]
	v_add_f64 v[2:3], v[2:3], v[10:11]
	v_add_f64 v[4:5], v[4:5], v[12:13]
	s_andn2_b64 exec, exec, s[10:11]
	s_cbranch_execnz .LBB63_785
; %bb.786:
	s_or_b64 exec, exec, s[10:11]
.LBB63_787:
	s_or_b64 exec, exec, s[2:3]
.LBB63_788:
	s_or_b64 exec, exec, s[8:9]
	v_mov_b32_e32 v6, 0
	ds_read_b128 v[202:205], v6 offset:96
	s_waitcnt lgkmcnt(0)
	v_mul_f64 v[6:7], v[4:5], v[204:205]
	v_mul_f64 v[206:207], v[2:3], v[204:205]
	v_fma_f64 v[204:205], v[2:3], v[202:203], -v[6:7]
	v_fmac_f64_e32 v[206:207], v[4:5], v[202:203]
	scratch_store_dwordx4 off, v[204:207], off offset:96
.LBB63_789:
	s_or_b64 exec, exec, s[4:5]
	scratch_load_dwordx4 v[2:5], v196, off
	v_cmp_lt_u32_e64 s[2:3], 5, v0
	s_waitcnt vmcnt(0)
	ds_write_b128 v9, v[2:5]
	s_waitcnt lgkmcnt(0)
	; wave barrier
	s_waitcnt lgkmcnt(0)
	s_and_saveexec_b64 s[4:5], s[2:3]
	s_cbranch_execz .LBB63_803
; %bb.790:
	ds_read_b128 v[2:5], v9
	s_andn2_b64 vcc, exec, s[6:7]
	s_cbranch_vccnz .LBB63_792
; %bb.791:
	scratch_load_dwordx4 v[202:205], v8, off
	s_waitcnt vmcnt(0) lgkmcnt(0)
	v_mul_f64 v[10:11], v[2:3], v[204:205]
	v_mul_f64 v[6:7], v[4:5], v[204:205]
	v_fmac_f64_e32 v[10:11], v[4:5], v[202:203]
	v_fma_f64 v[2:3], v[2:3], v[202:203], -v[6:7]
	v_mov_b64_e32 v[4:5], v[10:11]
.LBB63_792:
	s_and_saveexec_b64 s[8:9], s[0:1]
	s_cbranch_execz .LBB63_802
; %bb.793:
	v_add_u32_e32 v7, -7, v0
	v_add_u32_e32 v6, -6, v0
	v_cmp_lt_u32_e32 vcc, 6, v7
	v_mov_b32_e32 v202, 6
	s_and_saveexec_b64 s[0:1], vcc
	s_cbranch_execz .LBB63_797
; %bb.794:
	v_and_b32_e32 v7, -8, v6
	s_mov_b32 s12, 0
	s_mov_b64 s[10:11], 0
	v_mov_b32_e32 v201, 0
	s_mov_b32 s13, 0
.LBB63_795:                             ; =>This Inner Loop Header: Depth=1
	v_readfirstlane_b32 s14, v201
	s_add_i32 s14, s14, s12
	s_add_i32 s15, s14, 0x60
	v_mov_b32_e32 v28, s12
	ds_read_b128 v[202:205], v28 offset:1120
	ds_read_b128 v[206:209], v28 offset:1136
	;; [unrolled: 1-line block ×4, first 2 shown]
	scratch_load_dwordx4 v[218:221], off, s15
	s_add_i32 s15, s14, 0x70
	s_addk_i32 s12, 0x80
	s_waitcnt vmcnt(0) lgkmcnt(3)
	v_mul_f64 v[10:11], v[204:205], v[220:221]
	v_mul_f64 v[12:13], v[202:203], v[220:221]
	v_fma_f64 v[10:11], v[202:203], v[218:219], -v[10:11]
	v_fmac_f64_e32 v[12:13], v[204:205], v[218:219]
	v_add_f64 v[10:11], v[2:3], v[10:11]
	v_add_f64 v[12:13], v[4:5], v[12:13]
	scratch_load_dwordx4 v[2:5], off, s15
	s_add_i32 s15, s14, 0x80
	s_waitcnt vmcnt(0) lgkmcnt(2)
	v_mul_f64 v[22:23], v[208:209], v[4:5]
	v_mul_f64 v[4:5], v[206:207], v[4:5]
	v_fmac_f64_e32 v[4:5], v[208:209], v[2:3]
	v_fma_f64 v[22:23], v[206:207], v[2:3], -v[22:23]
	v_add_f64 v[12:13], v[12:13], v[4:5]
	scratch_load_dwordx4 v[2:5], off, s15
	v_add_f64 v[10:11], v[10:11], v[22:23]
	s_add_i32 s15, s14, 0x90
	s_waitcnt vmcnt(0) lgkmcnt(1)
	v_mul_f64 v[22:23], v[212:213], v[4:5]
	v_mul_f64 v[4:5], v[210:211], v[4:5]
	v_fmac_f64_e32 v[4:5], v[212:213], v[2:3]
	v_fma_f64 v[22:23], v[210:211], v[2:3], -v[22:23]
	v_add_f64 v[12:13], v[12:13], v[4:5]
	scratch_load_dwordx4 v[2:5], off, s15
	s_add_i32 s15, s14, 0xa0
	scratch_load_dwordx4 v[202:205], off, s15
	v_add_f64 v[10:11], v[10:11], v[22:23]
	s_add_i32 s15, s14, 0xb0
	s_waitcnt vmcnt(1) lgkmcnt(0)
	v_mul_f64 v[22:23], v[216:217], v[4:5]
	v_mul_f64 v[4:5], v[214:215], v[4:5]
	v_fmac_f64_e32 v[4:5], v[216:217], v[2:3]
	v_fma_f64 v[22:23], v[214:215], v[2:3], -v[22:23]
	v_add_f64 v[12:13], v[12:13], v[4:5]
	ds_read_b128 v[2:5], v28 offset:1184
	v_add_f64 v[10:11], v[10:11], v[22:23]
	s_waitcnt vmcnt(0) lgkmcnt(0)
	v_mul_f64 v[22:23], v[4:5], v[204:205]
	v_fma_f64 v[22:23], v[2:3], v[202:203], -v[22:23]
	v_mul_f64 v[2:3], v[2:3], v[204:205]
	v_fmac_f64_e32 v[2:3], v[4:5], v[202:203]
	scratch_load_dwordx4 v[202:205], off, s15
	v_add_f64 v[12:13], v[12:13], v[2:3]
	ds_read_b128 v[2:5], v28 offset:1200
	v_add_f64 v[10:11], v[10:11], v[22:23]
	s_add_i32 s15, s14, 0xc0
	s_addk_i32 s14, 0xd0
	s_waitcnt vmcnt(0) lgkmcnt(0)
	v_mul_f64 v[22:23], v[4:5], v[204:205]
	v_fma_f64 v[22:23], v[2:3], v[202:203], -v[22:23]
	v_mul_f64 v[2:3], v[2:3], v[204:205]
	v_fmac_f64_e32 v[2:3], v[4:5], v[202:203]
	scratch_load_dwordx4 v[202:205], off, s15
	v_add_f64 v[12:13], v[12:13], v[2:3]
	ds_read_b128 v[2:5], v28 offset:1216
	v_add_f64 v[10:11], v[10:11], v[22:23]
	s_waitcnt vmcnt(0) lgkmcnt(0)
	v_mul_f64 v[22:23], v[4:5], v[204:205]
	v_fma_f64 v[22:23], v[2:3], v[202:203], -v[22:23]
	v_mul_f64 v[2:3], v[2:3], v[204:205]
	v_fmac_f64_e32 v[2:3], v[4:5], v[202:203]
	scratch_load_dwordx4 v[202:205], off, s14
	v_add_f64 v[12:13], v[12:13], v[2:3]
	ds_read_b128 v[2:5], v28 offset:1232
	v_add_f64 v[10:11], v[10:11], v[22:23]
	s_add_i32 s14, s13, 8
	v_cmp_eq_u32_e32 vcc, s14, v7
	s_add_i32 s13, s13, 14
	s_or_b64 s[10:11], vcc, s[10:11]
	s_waitcnt vmcnt(0) lgkmcnt(0)
	v_mul_f64 v[22:23], v[4:5], v[204:205]
	v_mul_f64 v[28:29], v[2:3], v[204:205]
	v_fma_f64 v[22:23], v[2:3], v[202:203], -v[22:23]
	v_fmac_f64_e32 v[28:29], v[4:5], v[202:203]
	v_add_f64 v[2:3], v[10:11], v[22:23]
	v_add_f64 v[4:5], v[12:13], v[28:29]
	v_mov_b32_e32 v202, s13
	s_mov_b32 s13, s14
	s_andn2_b64 exec, exec, s[10:11]
	s_cbranch_execnz .LBB63_795
; %bb.796:
	s_or_b64 exec, exec, s[10:11]
.LBB63_797:
	s_or_b64 exec, exec, s[0:1]
	v_and_b32_e32 v6, 7, v6
	v_cmp_ne_u32_e32 vcc, 0, v6
	s_and_saveexec_b64 s[0:1], vcc
	s_cbranch_execz .LBB63_801
; %bb.798:
	v_lshlrev_b32_e32 v10, 4, v202
	v_add_u32_e32 v7, 0x400, v10
	v_add_u32_e32 v201, 0, v10
	s_mov_b64 s[10:11], 0
.LBB63_799:                             ; =>This Inner Loop Header: Depth=1
	scratch_load_dwordx4 v[202:205], v201, off
	ds_read_b128 v[206:209], v7
	v_add_u32_e32 v6, -1, v6
	v_cmp_eq_u32_e32 vcc, 0, v6
	v_add_u32_e32 v7, 16, v7
	v_add_u32_e32 v201, 16, v201
	s_or_b64 s[10:11], vcc, s[10:11]
	s_waitcnt vmcnt(0) lgkmcnt(0)
	v_mul_f64 v[10:11], v[208:209], v[204:205]
	v_mul_f64 v[12:13], v[206:207], v[204:205]
	v_fma_f64 v[10:11], v[206:207], v[202:203], -v[10:11]
	v_fmac_f64_e32 v[12:13], v[208:209], v[202:203]
	v_add_f64 v[2:3], v[2:3], v[10:11]
	v_add_f64 v[4:5], v[4:5], v[12:13]
	s_andn2_b64 exec, exec, s[10:11]
	s_cbranch_execnz .LBB63_799
; %bb.800:
	s_or_b64 exec, exec, s[10:11]
.LBB63_801:
	s_or_b64 exec, exec, s[0:1]
.LBB63_802:
	s_or_b64 exec, exec, s[8:9]
	v_mov_b32_e32 v6, 0
	ds_read_b128 v[202:205], v6 offset:80
	s_waitcnt lgkmcnt(0)
	v_mul_f64 v[6:7], v[4:5], v[204:205]
	v_mul_f64 v[206:207], v[2:3], v[204:205]
	v_fma_f64 v[204:205], v[2:3], v[202:203], -v[6:7]
	v_fmac_f64_e32 v[206:207], v[4:5], v[202:203]
	scratch_store_dwordx4 off, v[204:207], off offset:80
.LBB63_803:
	s_or_b64 exec, exec, s[4:5]
	scratch_load_dwordx4 v[2:5], v197, off
	v_cmp_lt_u32_e64 s[0:1], 4, v0
	s_waitcnt vmcnt(0)
	ds_write_b128 v9, v[2:5]
	s_waitcnt lgkmcnt(0)
	; wave barrier
	s_waitcnt lgkmcnt(0)
	s_and_saveexec_b64 s[4:5], s[0:1]
	s_cbranch_execz .LBB63_817
; %bb.804:
	ds_read_b128 v[2:5], v9
	s_andn2_b64 vcc, exec, s[6:7]
	s_cbranch_vccnz .LBB63_806
; %bb.805:
	scratch_load_dwordx4 v[202:205], v8, off
	s_waitcnt vmcnt(0) lgkmcnt(0)
	v_mul_f64 v[10:11], v[2:3], v[204:205]
	v_mul_f64 v[6:7], v[4:5], v[204:205]
	v_fmac_f64_e32 v[10:11], v[4:5], v[202:203]
	v_fma_f64 v[2:3], v[2:3], v[202:203], -v[6:7]
	v_mov_b64_e32 v[4:5], v[10:11]
.LBB63_806:
	s_and_saveexec_b64 s[8:9], s[2:3]
	s_cbranch_execz .LBB63_816
; %bb.807:
	v_add_u32_e32 v7, -6, v0
	v_add_u32_e32 v6, -5, v0
	v_cmp_lt_u32_e32 vcc, 6, v7
	v_mov_b32_e32 v202, 5
	s_and_saveexec_b64 s[2:3], vcc
	s_cbranch_execz .LBB63_811
; %bb.808:
	v_and_b32_e32 v7, -8, v6
	s_mov_b32 s12, 0
	s_mov_b64 s[10:11], 0
	v_mov_b32_e32 v201, 0
	s_mov_b32 s13, 0
.LBB63_809:                             ; =>This Inner Loop Header: Depth=1
	v_readfirstlane_b32 s14, v201
	s_add_i32 s14, s14, s12
	s_add_i32 s15, s14, 0x50
	v_mov_b32_e32 v28, s12
	ds_read_b128 v[202:205], v28 offset:1104
	ds_read_b128 v[206:209], v28 offset:1120
	;; [unrolled: 1-line block ×4, first 2 shown]
	scratch_load_dwordx4 v[218:221], off, s15
	s_add_i32 s15, s14, 0x60
	s_addk_i32 s12, 0x80
	s_waitcnt vmcnt(0) lgkmcnt(3)
	v_mul_f64 v[10:11], v[204:205], v[220:221]
	v_mul_f64 v[12:13], v[202:203], v[220:221]
	v_fma_f64 v[10:11], v[202:203], v[218:219], -v[10:11]
	v_fmac_f64_e32 v[12:13], v[204:205], v[218:219]
	v_add_f64 v[10:11], v[2:3], v[10:11]
	v_add_f64 v[12:13], v[4:5], v[12:13]
	scratch_load_dwordx4 v[2:5], off, s15
	s_add_i32 s15, s14, 0x70
	s_waitcnt vmcnt(0) lgkmcnt(2)
	v_mul_f64 v[22:23], v[208:209], v[4:5]
	v_mul_f64 v[4:5], v[206:207], v[4:5]
	v_fmac_f64_e32 v[4:5], v[208:209], v[2:3]
	v_fma_f64 v[22:23], v[206:207], v[2:3], -v[22:23]
	v_add_f64 v[12:13], v[12:13], v[4:5]
	scratch_load_dwordx4 v[2:5], off, s15
	v_add_f64 v[10:11], v[10:11], v[22:23]
	s_add_i32 s15, s14, 0x80
	s_waitcnt vmcnt(0) lgkmcnt(1)
	v_mul_f64 v[22:23], v[212:213], v[4:5]
	v_mul_f64 v[4:5], v[210:211], v[4:5]
	v_fmac_f64_e32 v[4:5], v[212:213], v[2:3]
	v_fma_f64 v[22:23], v[210:211], v[2:3], -v[22:23]
	v_add_f64 v[12:13], v[12:13], v[4:5]
	scratch_load_dwordx4 v[2:5], off, s15
	s_add_i32 s15, s14, 0x90
	scratch_load_dwordx4 v[202:205], off, s15
	v_add_f64 v[10:11], v[10:11], v[22:23]
	s_add_i32 s15, s14, 0xa0
	s_waitcnt vmcnt(1) lgkmcnt(0)
	v_mul_f64 v[22:23], v[216:217], v[4:5]
	v_mul_f64 v[4:5], v[214:215], v[4:5]
	v_fmac_f64_e32 v[4:5], v[216:217], v[2:3]
	v_fma_f64 v[22:23], v[214:215], v[2:3], -v[22:23]
	v_add_f64 v[12:13], v[12:13], v[4:5]
	ds_read_b128 v[2:5], v28 offset:1168
	v_add_f64 v[10:11], v[10:11], v[22:23]
	s_waitcnt vmcnt(0) lgkmcnt(0)
	v_mul_f64 v[22:23], v[4:5], v[204:205]
	v_fma_f64 v[22:23], v[2:3], v[202:203], -v[22:23]
	v_mul_f64 v[2:3], v[2:3], v[204:205]
	v_fmac_f64_e32 v[2:3], v[4:5], v[202:203]
	scratch_load_dwordx4 v[202:205], off, s15
	v_add_f64 v[12:13], v[12:13], v[2:3]
	ds_read_b128 v[2:5], v28 offset:1184
	v_add_f64 v[10:11], v[10:11], v[22:23]
	s_add_i32 s15, s14, 0xb0
	s_addk_i32 s14, 0xc0
	s_waitcnt vmcnt(0) lgkmcnt(0)
	v_mul_f64 v[22:23], v[4:5], v[204:205]
	v_fma_f64 v[22:23], v[2:3], v[202:203], -v[22:23]
	v_mul_f64 v[2:3], v[2:3], v[204:205]
	v_fmac_f64_e32 v[2:3], v[4:5], v[202:203]
	scratch_load_dwordx4 v[202:205], off, s15
	v_add_f64 v[12:13], v[12:13], v[2:3]
	ds_read_b128 v[2:5], v28 offset:1200
	v_add_f64 v[10:11], v[10:11], v[22:23]
	s_waitcnt vmcnt(0) lgkmcnt(0)
	v_mul_f64 v[22:23], v[4:5], v[204:205]
	v_fma_f64 v[22:23], v[2:3], v[202:203], -v[22:23]
	v_mul_f64 v[2:3], v[2:3], v[204:205]
	v_fmac_f64_e32 v[2:3], v[4:5], v[202:203]
	scratch_load_dwordx4 v[202:205], off, s14
	v_add_f64 v[12:13], v[12:13], v[2:3]
	ds_read_b128 v[2:5], v28 offset:1216
	v_add_f64 v[10:11], v[10:11], v[22:23]
	s_add_i32 s14, s13, 8
	v_cmp_eq_u32_e32 vcc, s14, v7
	s_add_i32 s13, s13, 13
	s_or_b64 s[10:11], vcc, s[10:11]
	s_waitcnt vmcnt(0) lgkmcnt(0)
	v_mul_f64 v[22:23], v[4:5], v[204:205]
	v_mul_f64 v[28:29], v[2:3], v[204:205]
	v_fma_f64 v[22:23], v[2:3], v[202:203], -v[22:23]
	v_fmac_f64_e32 v[28:29], v[4:5], v[202:203]
	v_add_f64 v[2:3], v[10:11], v[22:23]
	v_add_f64 v[4:5], v[12:13], v[28:29]
	v_mov_b32_e32 v202, s13
	s_mov_b32 s13, s14
	s_andn2_b64 exec, exec, s[10:11]
	s_cbranch_execnz .LBB63_809
; %bb.810:
	s_or_b64 exec, exec, s[10:11]
.LBB63_811:
	s_or_b64 exec, exec, s[2:3]
	v_and_b32_e32 v6, 7, v6
	v_cmp_ne_u32_e32 vcc, 0, v6
	s_and_saveexec_b64 s[2:3], vcc
	s_cbranch_execz .LBB63_815
; %bb.812:
	v_lshlrev_b32_e32 v10, 4, v202
	v_add_u32_e32 v7, 0x400, v10
	v_add_u32_e32 v201, 0, v10
	s_mov_b64 s[10:11], 0
.LBB63_813:                             ; =>This Inner Loop Header: Depth=1
	scratch_load_dwordx4 v[202:205], v201, off
	ds_read_b128 v[206:209], v7
	v_add_u32_e32 v6, -1, v6
	v_cmp_eq_u32_e32 vcc, 0, v6
	v_add_u32_e32 v7, 16, v7
	v_add_u32_e32 v201, 16, v201
	s_or_b64 s[10:11], vcc, s[10:11]
	s_waitcnt vmcnt(0) lgkmcnt(0)
	v_mul_f64 v[10:11], v[208:209], v[204:205]
	v_mul_f64 v[12:13], v[206:207], v[204:205]
	v_fma_f64 v[10:11], v[206:207], v[202:203], -v[10:11]
	v_fmac_f64_e32 v[12:13], v[208:209], v[202:203]
	v_add_f64 v[2:3], v[2:3], v[10:11]
	v_add_f64 v[4:5], v[4:5], v[12:13]
	s_andn2_b64 exec, exec, s[10:11]
	s_cbranch_execnz .LBB63_813
; %bb.814:
	s_or_b64 exec, exec, s[10:11]
.LBB63_815:
	s_or_b64 exec, exec, s[2:3]
.LBB63_816:
	s_or_b64 exec, exec, s[8:9]
	v_mov_b32_e32 v6, 0
	ds_read_b128 v[202:205], v6 offset:64
	s_waitcnt lgkmcnt(0)
	v_mul_f64 v[6:7], v[4:5], v[204:205]
	v_mul_f64 v[206:207], v[2:3], v[204:205]
	v_fma_f64 v[204:205], v[2:3], v[202:203], -v[6:7]
	v_fmac_f64_e32 v[206:207], v[4:5], v[202:203]
	scratch_store_dwordx4 off, v[204:207], off offset:64
.LBB63_817:
	s_or_b64 exec, exec, s[4:5]
	scratch_load_dwordx4 v[2:5], v198, off
	v_cmp_lt_u32_e64 s[2:3], 3, v0
	s_waitcnt vmcnt(0)
	ds_write_b128 v9, v[2:5]
	s_waitcnt lgkmcnt(0)
	; wave barrier
	s_waitcnt lgkmcnt(0)
	s_and_saveexec_b64 s[4:5], s[2:3]
	s_cbranch_execz .LBB63_831
; %bb.818:
	ds_read_b128 v[2:5], v9
	s_andn2_b64 vcc, exec, s[6:7]
	s_cbranch_vccnz .LBB63_820
; %bb.819:
	scratch_load_dwordx4 v[202:205], v8, off
	s_waitcnt vmcnt(0) lgkmcnt(0)
	v_mul_f64 v[10:11], v[2:3], v[204:205]
	v_mul_f64 v[6:7], v[4:5], v[204:205]
	v_fmac_f64_e32 v[10:11], v[4:5], v[202:203]
	v_fma_f64 v[2:3], v[2:3], v[202:203], -v[6:7]
	v_mov_b64_e32 v[4:5], v[10:11]
.LBB63_820:
	s_and_saveexec_b64 s[8:9], s[0:1]
	s_cbranch_execz .LBB63_830
; %bb.821:
	v_add_u32_e32 v7, -5, v0
	v_add_u32_e32 v6, -4, v0
	v_cmp_lt_u32_e32 vcc, 6, v7
	v_mov_b32_e32 v202, 4
	s_and_saveexec_b64 s[0:1], vcc
	s_cbranch_execz .LBB63_825
; %bb.822:
	v_and_b32_e32 v7, -8, v6
	s_mov_b32 s12, 0
	s_mov_b64 s[10:11], 0
	v_mov_b32_e32 v201, 0
	s_mov_b32 s13, 0
.LBB63_823:                             ; =>This Inner Loop Header: Depth=1
	v_readfirstlane_b32 s14, v201
	s_add_i32 s14, s14, s12
	s_add_i32 s15, s14, 64
	v_mov_b32_e32 v28, s12
	ds_read_b128 v[202:205], v28 offset:1088
	ds_read_b128 v[206:209], v28 offset:1104
	ds_read_b128 v[210:213], v28 offset:1120
	ds_read_b128 v[214:217], v28 offset:1136
	scratch_load_dwordx4 v[218:221], off, s15
	s_add_i32 s15, s14, 0x50
	s_addk_i32 s12, 0x80
	s_waitcnt vmcnt(0) lgkmcnt(3)
	v_mul_f64 v[10:11], v[204:205], v[220:221]
	v_mul_f64 v[12:13], v[202:203], v[220:221]
	v_fma_f64 v[10:11], v[202:203], v[218:219], -v[10:11]
	v_fmac_f64_e32 v[12:13], v[204:205], v[218:219]
	v_add_f64 v[10:11], v[2:3], v[10:11]
	v_add_f64 v[12:13], v[4:5], v[12:13]
	scratch_load_dwordx4 v[2:5], off, s15
	s_add_i32 s15, s14, 0x60
	s_waitcnt vmcnt(0) lgkmcnt(2)
	v_mul_f64 v[22:23], v[208:209], v[4:5]
	v_mul_f64 v[4:5], v[206:207], v[4:5]
	v_fmac_f64_e32 v[4:5], v[208:209], v[2:3]
	v_fma_f64 v[22:23], v[206:207], v[2:3], -v[22:23]
	v_add_f64 v[12:13], v[12:13], v[4:5]
	scratch_load_dwordx4 v[2:5], off, s15
	v_add_f64 v[10:11], v[10:11], v[22:23]
	s_add_i32 s15, s14, 0x70
	s_waitcnt vmcnt(0) lgkmcnt(1)
	v_mul_f64 v[22:23], v[212:213], v[4:5]
	v_mul_f64 v[4:5], v[210:211], v[4:5]
	v_fmac_f64_e32 v[4:5], v[212:213], v[2:3]
	v_fma_f64 v[22:23], v[210:211], v[2:3], -v[22:23]
	v_add_f64 v[12:13], v[12:13], v[4:5]
	scratch_load_dwordx4 v[2:5], off, s15
	s_add_i32 s15, s14, 0x80
	scratch_load_dwordx4 v[202:205], off, s15
	v_add_f64 v[10:11], v[10:11], v[22:23]
	s_add_i32 s15, s14, 0x90
	s_waitcnt vmcnt(1) lgkmcnt(0)
	v_mul_f64 v[22:23], v[216:217], v[4:5]
	v_mul_f64 v[4:5], v[214:215], v[4:5]
	v_fmac_f64_e32 v[4:5], v[216:217], v[2:3]
	v_fma_f64 v[22:23], v[214:215], v[2:3], -v[22:23]
	v_add_f64 v[12:13], v[12:13], v[4:5]
	ds_read_b128 v[2:5], v28 offset:1152
	v_add_f64 v[10:11], v[10:11], v[22:23]
	s_waitcnt vmcnt(0) lgkmcnt(0)
	v_mul_f64 v[22:23], v[4:5], v[204:205]
	v_fma_f64 v[22:23], v[2:3], v[202:203], -v[22:23]
	v_mul_f64 v[2:3], v[2:3], v[204:205]
	v_fmac_f64_e32 v[2:3], v[4:5], v[202:203]
	scratch_load_dwordx4 v[202:205], off, s15
	v_add_f64 v[12:13], v[12:13], v[2:3]
	ds_read_b128 v[2:5], v28 offset:1168
	v_add_f64 v[10:11], v[10:11], v[22:23]
	s_add_i32 s15, s14, 0xa0
	s_addk_i32 s14, 0xb0
	s_waitcnt vmcnt(0) lgkmcnt(0)
	v_mul_f64 v[22:23], v[4:5], v[204:205]
	v_fma_f64 v[22:23], v[2:3], v[202:203], -v[22:23]
	v_mul_f64 v[2:3], v[2:3], v[204:205]
	v_fmac_f64_e32 v[2:3], v[4:5], v[202:203]
	scratch_load_dwordx4 v[202:205], off, s15
	v_add_f64 v[12:13], v[12:13], v[2:3]
	ds_read_b128 v[2:5], v28 offset:1184
	v_add_f64 v[10:11], v[10:11], v[22:23]
	s_waitcnt vmcnt(0) lgkmcnt(0)
	v_mul_f64 v[22:23], v[4:5], v[204:205]
	v_fma_f64 v[22:23], v[2:3], v[202:203], -v[22:23]
	v_mul_f64 v[2:3], v[2:3], v[204:205]
	v_fmac_f64_e32 v[2:3], v[4:5], v[202:203]
	scratch_load_dwordx4 v[202:205], off, s14
	v_add_f64 v[12:13], v[12:13], v[2:3]
	ds_read_b128 v[2:5], v28 offset:1200
	v_add_f64 v[10:11], v[10:11], v[22:23]
	s_add_i32 s14, s13, 8
	v_cmp_eq_u32_e32 vcc, s14, v7
	s_add_i32 s13, s13, 12
	s_or_b64 s[10:11], vcc, s[10:11]
	s_waitcnt vmcnt(0) lgkmcnt(0)
	v_mul_f64 v[22:23], v[4:5], v[204:205]
	v_mul_f64 v[28:29], v[2:3], v[204:205]
	v_fma_f64 v[22:23], v[2:3], v[202:203], -v[22:23]
	v_fmac_f64_e32 v[28:29], v[4:5], v[202:203]
	v_add_f64 v[2:3], v[10:11], v[22:23]
	v_add_f64 v[4:5], v[12:13], v[28:29]
	v_mov_b32_e32 v202, s13
	s_mov_b32 s13, s14
	s_andn2_b64 exec, exec, s[10:11]
	s_cbranch_execnz .LBB63_823
; %bb.824:
	s_or_b64 exec, exec, s[10:11]
.LBB63_825:
	s_or_b64 exec, exec, s[0:1]
	v_and_b32_e32 v6, 7, v6
	v_cmp_ne_u32_e32 vcc, 0, v6
	s_and_saveexec_b64 s[0:1], vcc
	s_cbranch_execz .LBB63_829
; %bb.826:
	v_lshlrev_b32_e32 v10, 4, v202
	v_add_u32_e32 v7, 0x400, v10
	v_add_u32_e32 v201, 0, v10
	s_mov_b64 s[10:11], 0
.LBB63_827:                             ; =>This Inner Loop Header: Depth=1
	scratch_load_dwordx4 v[202:205], v201, off
	ds_read_b128 v[206:209], v7
	v_add_u32_e32 v6, -1, v6
	v_cmp_eq_u32_e32 vcc, 0, v6
	v_add_u32_e32 v7, 16, v7
	v_add_u32_e32 v201, 16, v201
	s_or_b64 s[10:11], vcc, s[10:11]
	s_waitcnt vmcnt(0) lgkmcnt(0)
	v_mul_f64 v[10:11], v[208:209], v[204:205]
	v_mul_f64 v[12:13], v[206:207], v[204:205]
	v_fma_f64 v[10:11], v[206:207], v[202:203], -v[10:11]
	v_fmac_f64_e32 v[12:13], v[208:209], v[202:203]
	v_add_f64 v[2:3], v[2:3], v[10:11]
	v_add_f64 v[4:5], v[4:5], v[12:13]
	s_andn2_b64 exec, exec, s[10:11]
	s_cbranch_execnz .LBB63_827
; %bb.828:
	s_or_b64 exec, exec, s[10:11]
.LBB63_829:
	s_or_b64 exec, exec, s[0:1]
.LBB63_830:
	s_or_b64 exec, exec, s[8:9]
	v_mov_b32_e32 v6, 0
	ds_read_b128 v[202:205], v6 offset:48
	s_waitcnt lgkmcnt(0)
	v_mul_f64 v[6:7], v[4:5], v[204:205]
	v_mul_f64 v[206:207], v[2:3], v[204:205]
	v_fma_f64 v[204:205], v[2:3], v[202:203], -v[6:7]
	v_fmac_f64_e32 v[206:207], v[4:5], v[202:203]
	scratch_store_dwordx4 off, v[204:207], off offset:48
.LBB63_831:
	s_or_b64 exec, exec, s[4:5]
	scratch_load_dwordx4 v[2:5], v199, off
	v_cmp_lt_u32_e64 s[4:5], 2, v0
	s_waitcnt vmcnt(0)
	ds_write_b128 v9, v[2:5]
	s_waitcnt lgkmcnt(0)
	; wave barrier
	s_waitcnt lgkmcnt(0)
	s_and_saveexec_b64 s[0:1], s[4:5]
	s_cbranch_execz .LBB63_845
; %bb.832:
	ds_read_b128 v[2:5], v9
	s_andn2_b64 vcc, exec, s[6:7]
	s_cbranch_vccnz .LBB63_834
; %bb.833:
	scratch_load_dwordx4 v[202:205], v8, off
	s_waitcnt vmcnt(0) lgkmcnt(0)
	v_mul_f64 v[10:11], v[2:3], v[204:205]
	v_mul_f64 v[6:7], v[4:5], v[204:205]
	v_fmac_f64_e32 v[10:11], v[4:5], v[202:203]
	v_fma_f64 v[2:3], v[2:3], v[202:203], -v[6:7]
	v_mov_b64_e32 v[4:5], v[10:11]
.LBB63_834:
	s_and_saveexec_b64 s[8:9], s[2:3]
	s_cbranch_execz .LBB63_844
; %bb.835:
	v_add_u32_e32 v7, -4, v0
	v_add_u32_e32 v6, -3, v0
	v_cmp_lt_u32_e32 vcc, 6, v7
	v_mov_b32_e32 v202, 3
	s_and_saveexec_b64 s[2:3], vcc
	s_cbranch_execz .LBB63_839
; %bb.836:
	v_and_b32_e32 v7, -8, v6
	s_mov_b32 s12, 0
	s_mov_b64 s[10:11], 0
	v_mov_b32_e32 v201, 0
	s_mov_b32 s13, 0
.LBB63_837:                             ; =>This Inner Loop Header: Depth=1
	v_readfirstlane_b32 s14, v201
	s_add_i32 s14, s14, s12
	s_add_i32 s15, s14, 48
	v_mov_b32_e32 v28, s12
	ds_read_b128 v[202:205], v28 offset:1072
	ds_read_b128 v[206:209], v28 offset:1088
	;; [unrolled: 1-line block ×4, first 2 shown]
	scratch_load_dwordx4 v[218:221], off, s15
	s_add_i32 s15, s14, 64
	s_addk_i32 s12, 0x80
	s_waitcnt vmcnt(0) lgkmcnt(3)
	v_mul_f64 v[10:11], v[204:205], v[220:221]
	v_mul_f64 v[12:13], v[202:203], v[220:221]
	v_fma_f64 v[10:11], v[202:203], v[218:219], -v[10:11]
	v_fmac_f64_e32 v[12:13], v[204:205], v[218:219]
	v_add_f64 v[10:11], v[2:3], v[10:11]
	v_add_f64 v[12:13], v[4:5], v[12:13]
	scratch_load_dwordx4 v[2:5], off, s15
	s_add_i32 s15, s14, 0x50
	s_waitcnt vmcnt(0) lgkmcnt(2)
	v_mul_f64 v[22:23], v[208:209], v[4:5]
	v_mul_f64 v[4:5], v[206:207], v[4:5]
	v_fmac_f64_e32 v[4:5], v[208:209], v[2:3]
	v_fma_f64 v[22:23], v[206:207], v[2:3], -v[22:23]
	v_add_f64 v[12:13], v[12:13], v[4:5]
	scratch_load_dwordx4 v[2:5], off, s15
	v_add_f64 v[10:11], v[10:11], v[22:23]
	s_add_i32 s15, s14, 0x60
	s_waitcnt vmcnt(0) lgkmcnt(1)
	v_mul_f64 v[22:23], v[212:213], v[4:5]
	v_mul_f64 v[4:5], v[210:211], v[4:5]
	v_fmac_f64_e32 v[4:5], v[212:213], v[2:3]
	v_fma_f64 v[22:23], v[210:211], v[2:3], -v[22:23]
	v_add_f64 v[12:13], v[12:13], v[4:5]
	scratch_load_dwordx4 v[2:5], off, s15
	s_add_i32 s15, s14, 0x70
	scratch_load_dwordx4 v[202:205], off, s15
	v_add_f64 v[10:11], v[10:11], v[22:23]
	s_add_i32 s15, s14, 0x80
	s_waitcnt vmcnt(1) lgkmcnt(0)
	v_mul_f64 v[22:23], v[216:217], v[4:5]
	v_mul_f64 v[4:5], v[214:215], v[4:5]
	v_fmac_f64_e32 v[4:5], v[216:217], v[2:3]
	v_fma_f64 v[22:23], v[214:215], v[2:3], -v[22:23]
	v_add_f64 v[12:13], v[12:13], v[4:5]
	ds_read_b128 v[2:5], v28 offset:1136
	v_add_f64 v[10:11], v[10:11], v[22:23]
	s_waitcnt vmcnt(0) lgkmcnt(0)
	v_mul_f64 v[22:23], v[4:5], v[204:205]
	v_fma_f64 v[22:23], v[2:3], v[202:203], -v[22:23]
	v_mul_f64 v[2:3], v[2:3], v[204:205]
	v_fmac_f64_e32 v[2:3], v[4:5], v[202:203]
	scratch_load_dwordx4 v[202:205], off, s15
	v_add_f64 v[12:13], v[12:13], v[2:3]
	ds_read_b128 v[2:5], v28 offset:1152
	v_add_f64 v[10:11], v[10:11], v[22:23]
	s_add_i32 s15, s14, 0x90
	s_addk_i32 s14, 0xa0
	s_waitcnt vmcnt(0) lgkmcnt(0)
	v_mul_f64 v[22:23], v[4:5], v[204:205]
	v_fma_f64 v[22:23], v[2:3], v[202:203], -v[22:23]
	v_mul_f64 v[2:3], v[2:3], v[204:205]
	v_fmac_f64_e32 v[2:3], v[4:5], v[202:203]
	scratch_load_dwordx4 v[202:205], off, s15
	v_add_f64 v[12:13], v[12:13], v[2:3]
	ds_read_b128 v[2:5], v28 offset:1168
	v_add_f64 v[10:11], v[10:11], v[22:23]
	s_waitcnt vmcnt(0) lgkmcnt(0)
	v_mul_f64 v[22:23], v[4:5], v[204:205]
	v_fma_f64 v[22:23], v[2:3], v[202:203], -v[22:23]
	v_mul_f64 v[2:3], v[2:3], v[204:205]
	v_fmac_f64_e32 v[2:3], v[4:5], v[202:203]
	scratch_load_dwordx4 v[202:205], off, s14
	v_add_f64 v[12:13], v[12:13], v[2:3]
	ds_read_b128 v[2:5], v28 offset:1184
	v_add_f64 v[10:11], v[10:11], v[22:23]
	s_add_i32 s14, s13, 8
	v_cmp_eq_u32_e32 vcc, s14, v7
	s_add_i32 s13, s13, 11
	s_or_b64 s[10:11], vcc, s[10:11]
	s_waitcnt vmcnt(0) lgkmcnt(0)
	v_mul_f64 v[22:23], v[4:5], v[204:205]
	v_mul_f64 v[28:29], v[2:3], v[204:205]
	v_fma_f64 v[22:23], v[2:3], v[202:203], -v[22:23]
	v_fmac_f64_e32 v[28:29], v[4:5], v[202:203]
	v_add_f64 v[2:3], v[10:11], v[22:23]
	v_add_f64 v[4:5], v[12:13], v[28:29]
	v_mov_b32_e32 v202, s13
	s_mov_b32 s13, s14
	s_andn2_b64 exec, exec, s[10:11]
	s_cbranch_execnz .LBB63_837
; %bb.838:
	s_or_b64 exec, exec, s[10:11]
.LBB63_839:
	s_or_b64 exec, exec, s[2:3]
	v_and_b32_e32 v6, 7, v6
	v_cmp_ne_u32_e32 vcc, 0, v6
	s_and_saveexec_b64 s[2:3], vcc
	s_cbranch_execz .LBB63_843
; %bb.840:
	v_lshlrev_b32_e32 v10, 4, v202
	v_add_u32_e32 v7, 0x400, v10
	v_add_u32_e32 v201, 0, v10
	s_mov_b64 s[10:11], 0
.LBB63_841:                             ; =>This Inner Loop Header: Depth=1
	scratch_load_dwordx4 v[202:205], v201, off
	ds_read_b128 v[206:209], v7
	v_add_u32_e32 v6, -1, v6
	v_cmp_eq_u32_e32 vcc, 0, v6
	v_add_u32_e32 v7, 16, v7
	v_add_u32_e32 v201, 16, v201
	s_or_b64 s[10:11], vcc, s[10:11]
	s_waitcnt vmcnt(0) lgkmcnt(0)
	v_mul_f64 v[10:11], v[208:209], v[204:205]
	v_mul_f64 v[12:13], v[206:207], v[204:205]
	v_fma_f64 v[10:11], v[206:207], v[202:203], -v[10:11]
	v_fmac_f64_e32 v[12:13], v[208:209], v[202:203]
	v_add_f64 v[2:3], v[2:3], v[10:11]
	v_add_f64 v[4:5], v[4:5], v[12:13]
	s_andn2_b64 exec, exec, s[10:11]
	s_cbranch_execnz .LBB63_841
; %bb.842:
	s_or_b64 exec, exec, s[10:11]
.LBB63_843:
	s_or_b64 exec, exec, s[2:3]
.LBB63_844:
	s_or_b64 exec, exec, s[8:9]
	v_mov_b32_e32 v6, 0
	ds_read_b128 v[202:205], v6 offset:32
	s_waitcnt lgkmcnt(0)
	v_mul_f64 v[6:7], v[4:5], v[204:205]
	v_mul_f64 v[206:207], v[2:3], v[204:205]
	v_fma_f64 v[204:205], v[2:3], v[202:203], -v[6:7]
	v_fmac_f64_e32 v[206:207], v[4:5], v[202:203]
	scratch_store_dwordx4 off, v[204:207], off offset:32
.LBB63_845:
	s_or_b64 exec, exec, s[0:1]
	scratch_load_dwordx4 v[2:5], v200, off
	v_cmp_lt_u32_e64 s[0:1], 1, v0
	s_waitcnt vmcnt(0)
	ds_write_b128 v9, v[2:5]
	s_waitcnt lgkmcnt(0)
	; wave barrier
	s_waitcnt lgkmcnt(0)
	s_and_saveexec_b64 s[2:3], s[0:1]
	s_cbranch_execz .LBB63_859
; %bb.846:
	ds_read_b128 v[2:5], v9
	s_andn2_b64 vcc, exec, s[6:7]
	s_cbranch_vccnz .LBB63_848
; %bb.847:
	scratch_load_dwordx4 v[202:205], v8, off
	s_waitcnt vmcnt(0) lgkmcnt(0)
	v_mul_f64 v[10:11], v[2:3], v[204:205]
	v_mul_f64 v[6:7], v[4:5], v[204:205]
	v_fmac_f64_e32 v[10:11], v[4:5], v[202:203]
	v_fma_f64 v[2:3], v[2:3], v[202:203], -v[6:7]
	v_mov_b64_e32 v[4:5], v[10:11]
.LBB63_848:
	s_and_saveexec_b64 s[8:9], s[4:5]
	s_cbranch_execz .LBB63_858
; %bb.849:
	v_add_u32_e32 v7, -3, v0
	v_add_u32_e32 v6, -2, v0
	v_cmp_lt_u32_e32 vcc, 6, v7
	v_mov_b32_e32 v202, 2
	s_and_saveexec_b64 s[4:5], vcc
	s_cbranch_execz .LBB63_853
; %bb.850:
	v_and_b32_e32 v7, -8, v6
	s_mov_b32 s12, 0
	s_mov_b64 s[10:11], 0
	v_mov_b32_e32 v201, 0
	s_mov_b32 s13, 0
.LBB63_851:                             ; =>This Inner Loop Header: Depth=1
	v_readfirstlane_b32 s14, v201
	s_add_i32 s14, s14, s12
	s_add_i32 s15, s14, 32
	v_mov_b32_e32 v28, s12
	ds_read_b128 v[202:205], v28 offset:1056
	ds_read_b128 v[206:209], v28 offset:1072
	ds_read_b128 v[210:213], v28 offset:1088
	ds_read_b128 v[214:217], v28 offset:1104
	scratch_load_dwordx4 v[218:221], off, s15
	s_add_i32 s15, s14, 48
	s_addk_i32 s12, 0x80
	s_waitcnt vmcnt(0) lgkmcnt(3)
	v_mul_f64 v[10:11], v[204:205], v[220:221]
	v_mul_f64 v[12:13], v[202:203], v[220:221]
	v_fma_f64 v[10:11], v[202:203], v[218:219], -v[10:11]
	v_fmac_f64_e32 v[12:13], v[204:205], v[218:219]
	v_add_f64 v[10:11], v[2:3], v[10:11]
	v_add_f64 v[12:13], v[4:5], v[12:13]
	scratch_load_dwordx4 v[2:5], off, s15
	s_add_i32 s15, s14, 64
	s_waitcnt vmcnt(0) lgkmcnt(2)
	v_mul_f64 v[22:23], v[208:209], v[4:5]
	v_mul_f64 v[4:5], v[206:207], v[4:5]
	v_fmac_f64_e32 v[4:5], v[208:209], v[2:3]
	v_fma_f64 v[22:23], v[206:207], v[2:3], -v[22:23]
	v_add_f64 v[12:13], v[12:13], v[4:5]
	scratch_load_dwordx4 v[2:5], off, s15
	v_add_f64 v[10:11], v[10:11], v[22:23]
	s_add_i32 s15, s14, 0x50
	s_waitcnt vmcnt(0) lgkmcnt(1)
	v_mul_f64 v[22:23], v[212:213], v[4:5]
	v_mul_f64 v[4:5], v[210:211], v[4:5]
	v_fmac_f64_e32 v[4:5], v[212:213], v[2:3]
	v_fma_f64 v[22:23], v[210:211], v[2:3], -v[22:23]
	v_add_f64 v[12:13], v[12:13], v[4:5]
	scratch_load_dwordx4 v[2:5], off, s15
	s_add_i32 s15, s14, 0x60
	scratch_load_dwordx4 v[202:205], off, s15
	v_add_f64 v[10:11], v[10:11], v[22:23]
	s_add_i32 s15, s14, 0x70
	s_waitcnt vmcnt(1) lgkmcnt(0)
	v_mul_f64 v[22:23], v[216:217], v[4:5]
	v_mul_f64 v[4:5], v[214:215], v[4:5]
	v_fmac_f64_e32 v[4:5], v[216:217], v[2:3]
	v_fma_f64 v[22:23], v[214:215], v[2:3], -v[22:23]
	v_add_f64 v[12:13], v[12:13], v[4:5]
	ds_read_b128 v[2:5], v28 offset:1120
	v_add_f64 v[10:11], v[10:11], v[22:23]
	s_waitcnt vmcnt(0) lgkmcnt(0)
	v_mul_f64 v[22:23], v[4:5], v[204:205]
	v_fma_f64 v[22:23], v[2:3], v[202:203], -v[22:23]
	v_mul_f64 v[2:3], v[2:3], v[204:205]
	v_fmac_f64_e32 v[2:3], v[4:5], v[202:203]
	scratch_load_dwordx4 v[202:205], off, s15
	v_add_f64 v[12:13], v[12:13], v[2:3]
	ds_read_b128 v[2:5], v28 offset:1136
	v_add_f64 v[10:11], v[10:11], v[22:23]
	s_add_i32 s15, s14, 0x80
	s_addk_i32 s14, 0x90
	s_waitcnt vmcnt(0) lgkmcnt(0)
	v_mul_f64 v[22:23], v[4:5], v[204:205]
	v_fma_f64 v[22:23], v[2:3], v[202:203], -v[22:23]
	v_mul_f64 v[2:3], v[2:3], v[204:205]
	v_fmac_f64_e32 v[2:3], v[4:5], v[202:203]
	scratch_load_dwordx4 v[202:205], off, s15
	v_add_f64 v[12:13], v[12:13], v[2:3]
	ds_read_b128 v[2:5], v28 offset:1152
	v_add_f64 v[10:11], v[10:11], v[22:23]
	s_waitcnt vmcnt(0) lgkmcnt(0)
	v_mul_f64 v[22:23], v[4:5], v[204:205]
	v_fma_f64 v[22:23], v[2:3], v[202:203], -v[22:23]
	v_mul_f64 v[2:3], v[2:3], v[204:205]
	v_fmac_f64_e32 v[2:3], v[4:5], v[202:203]
	scratch_load_dwordx4 v[202:205], off, s14
	v_add_f64 v[12:13], v[12:13], v[2:3]
	ds_read_b128 v[2:5], v28 offset:1168
	v_add_f64 v[10:11], v[10:11], v[22:23]
	s_add_i32 s14, s13, 8
	v_cmp_eq_u32_e32 vcc, s14, v7
	s_add_i32 s13, s13, 10
	s_or_b64 s[10:11], vcc, s[10:11]
	s_waitcnt vmcnt(0) lgkmcnt(0)
	v_mul_f64 v[22:23], v[4:5], v[204:205]
	v_mul_f64 v[28:29], v[2:3], v[204:205]
	v_fma_f64 v[22:23], v[2:3], v[202:203], -v[22:23]
	v_fmac_f64_e32 v[28:29], v[4:5], v[202:203]
	v_add_f64 v[2:3], v[10:11], v[22:23]
	v_add_f64 v[4:5], v[12:13], v[28:29]
	v_mov_b32_e32 v202, s13
	s_mov_b32 s13, s14
	s_andn2_b64 exec, exec, s[10:11]
	s_cbranch_execnz .LBB63_851
; %bb.852:
	s_or_b64 exec, exec, s[10:11]
.LBB63_853:
	s_or_b64 exec, exec, s[4:5]
	v_and_b32_e32 v6, 7, v6
	v_cmp_ne_u32_e32 vcc, 0, v6
	s_and_saveexec_b64 s[4:5], vcc
	s_cbranch_execz .LBB63_857
; %bb.854:
	v_lshlrev_b32_e32 v10, 4, v202
	v_add_u32_e32 v7, 0x400, v10
	v_add_u32_e32 v201, 0, v10
	s_mov_b64 s[10:11], 0
.LBB63_855:                             ; =>This Inner Loop Header: Depth=1
	scratch_load_dwordx4 v[202:205], v201, off
	ds_read_b128 v[206:209], v7
	v_add_u32_e32 v6, -1, v6
	v_cmp_eq_u32_e32 vcc, 0, v6
	v_add_u32_e32 v7, 16, v7
	v_add_u32_e32 v201, 16, v201
	s_or_b64 s[10:11], vcc, s[10:11]
	s_waitcnt vmcnt(0) lgkmcnt(0)
	v_mul_f64 v[10:11], v[208:209], v[204:205]
	v_mul_f64 v[12:13], v[206:207], v[204:205]
	v_fma_f64 v[10:11], v[206:207], v[202:203], -v[10:11]
	v_fmac_f64_e32 v[12:13], v[208:209], v[202:203]
	v_add_f64 v[2:3], v[2:3], v[10:11]
	v_add_f64 v[4:5], v[4:5], v[12:13]
	s_andn2_b64 exec, exec, s[10:11]
	s_cbranch_execnz .LBB63_855
; %bb.856:
	s_or_b64 exec, exec, s[10:11]
.LBB63_857:
	s_or_b64 exec, exec, s[4:5]
.LBB63_858:
	s_or_b64 exec, exec, s[8:9]
	v_mov_b32_e32 v6, 0
	ds_read_b128 v[202:205], v6 offset:16
	s_waitcnt lgkmcnt(0)
	v_mul_f64 v[6:7], v[4:5], v[204:205]
	v_mul_f64 v[206:207], v[2:3], v[204:205]
	v_fma_f64 v[204:205], v[2:3], v[202:203], -v[6:7]
	v_fmac_f64_e32 v[206:207], v[4:5], v[202:203]
	scratch_store_dwordx4 off, v[204:207], off offset:16
.LBB63_859:
	s_or_b64 exec, exec, s[2:3]
	scratch_load_dwordx4 v[2:5], off, off
	v_cmp_ne_u32_e32 vcc, 0, v0
	s_mov_b64 s[2:3], 0
	s_mov_b64 s[10:11], 0
                                        ; implicit-def: $vgpr6_vgpr7
                                        ; implicit-def: $vgpr201
	s_waitcnt vmcnt(0)
	ds_write_b128 v9, v[2:5]
	s_waitcnt lgkmcnt(0)
	; wave barrier
	s_waitcnt lgkmcnt(0)
	s_and_saveexec_b64 s[4:5], vcc
	s_cbranch_execz .LBB63_873
; %bb.860:
	ds_read_b128 v[2:5], v9
	s_andn2_b64 vcc, exec, s[6:7]
	s_cbranch_vccnz .LBB63_862
; %bb.861:
	scratch_load_dwordx4 v[202:205], v8, off
	s_waitcnt vmcnt(0) lgkmcnt(0)
	v_mul_f64 v[10:11], v[2:3], v[204:205]
	v_mul_f64 v[6:7], v[4:5], v[204:205]
	v_fmac_f64_e32 v[10:11], v[4:5], v[202:203]
	v_fma_f64 v[2:3], v[2:3], v[202:203], -v[6:7]
	v_mov_b64_e32 v[4:5], v[10:11]
.LBB63_862:
	s_and_saveexec_b64 s[8:9], s[0:1]
	s_cbranch_execz .LBB63_872
; %bb.863:
	v_add_u32_e32 v7, -2, v0
	v_add_u32_e32 v6, -1, v0
	v_cmp_lt_u32_e32 vcc, 6, v7
	v_mov_b32_e32 v202, 1
	s_and_saveexec_b64 s[0:1], vcc
	s_cbranch_execz .LBB63_867
; %bb.864:
	v_and_b32_e32 v7, -8, v6
	s_mov_b32 s12, 0
	v_mov_b32_e32 v201, 0
	s_mov_b32 s13, 0
.LBB63_865:                             ; =>This Inner Loop Header: Depth=1
	v_readfirstlane_b32 s14, v201
	s_add_i32 s14, s14, s12
	s_add_i32 s15, s14, 16
	v_mov_b32_e32 v28, s12
	ds_read_b128 v[202:205], v28 offset:1040
	ds_read_b128 v[206:209], v28 offset:1056
	;; [unrolled: 1-line block ×4, first 2 shown]
	scratch_load_dwordx4 v[218:221], off, s15
	s_add_i32 s15, s14, 32
	s_addk_i32 s12, 0x80
	s_waitcnt vmcnt(0) lgkmcnt(3)
	v_mul_f64 v[10:11], v[204:205], v[220:221]
	v_mul_f64 v[12:13], v[202:203], v[220:221]
	v_fma_f64 v[10:11], v[202:203], v[218:219], -v[10:11]
	v_fmac_f64_e32 v[12:13], v[204:205], v[218:219]
	v_add_f64 v[10:11], v[2:3], v[10:11]
	v_add_f64 v[12:13], v[4:5], v[12:13]
	scratch_load_dwordx4 v[2:5], off, s15
	s_add_i32 s15, s14, 48
	s_waitcnt vmcnt(0) lgkmcnt(2)
	v_mul_f64 v[22:23], v[208:209], v[4:5]
	v_mul_f64 v[4:5], v[206:207], v[4:5]
	v_fmac_f64_e32 v[4:5], v[208:209], v[2:3]
	v_fma_f64 v[22:23], v[206:207], v[2:3], -v[22:23]
	v_add_f64 v[12:13], v[12:13], v[4:5]
	scratch_load_dwordx4 v[2:5], off, s15
	v_add_f64 v[10:11], v[10:11], v[22:23]
	s_add_i32 s15, s14, 64
	s_waitcnt vmcnt(0) lgkmcnt(1)
	v_mul_f64 v[22:23], v[212:213], v[4:5]
	v_mul_f64 v[4:5], v[210:211], v[4:5]
	v_fmac_f64_e32 v[4:5], v[212:213], v[2:3]
	v_fma_f64 v[22:23], v[210:211], v[2:3], -v[22:23]
	v_add_f64 v[12:13], v[12:13], v[4:5]
	scratch_load_dwordx4 v[2:5], off, s15
	s_add_i32 s15, s14, 0x50
	scratch_load_dwordx4 v[202:205], off, s15
	v_add_f64 v[10:11], v[10:11], v[22:23]
	s_add_i32 s15, s14, 0x60
	s_waitcnt vmcnt(1) lgkmcnt(0)
	v_mul_f64 v[22:23], v[216:217], v[4:5]
	v_mul_f64 v[4:5], v[214:215], v[4:5]
	v_fmac_f64_e32 v[4:5], v[216:217], v[2:3]
	v_fma_f64 v[22:23], v[214:215], v[2:3], -v[22:23]
	v_add_f64 v[12:13], v[12:13], v[4:5]
	ds_read_b128 v[2:5], v28 offset:1104
	v_add_f64 v[10:11], v[10:11], v[22:23]
	s_waitcnt vmcnt(0) lgkmcnt(0)
	v_mul_f64 v[22:23], v[4:5], v[204:205]
	v_fma_f64 v[22:23], v[2:3], v[202:203], -v[22:23]
	v_mul_f64 v[2:3], v[2:3], v[204:205]
	v_fmac_f64_e32 v[2:3], v[4:5], v[202:203]
	scratch_load_dwordx4 v[202:205], off, s15
	v_add_f64 v[12:13], v[12:13], v[2:3]
	ds_read_b128 v[2:5], v28 offset:1120
	v_add_f64 v[10:11], v[10:11], v[22:23]
	s_add_i32 s15, s14, 0x70
	s_addk_i32 s14, 0x80
	s_waitcnt vmcnt(0) lgkmcnt(0)
	v_mul_f64 v[22:23], v[4:5], v[204:205]
	v_fma_f64 v[22:23], v[2:3], v[202:203], -v[22:23]
	v_mul_f64 v[2:3], v[2:3], v[204:205]
	v_fmac_f64_e32 v[2:3], v[4:5], v[202:203]
	scratch_load_dwordx4 v[202:205], off, s15
	v_add_f64 v[12:13], v[12:13], v[2:3]
	ds_read_b128 v[2:5], v28 offset:1136
	v_add_f64 v[10:11], v[10:11], v[22:23]
	s_waitcnt vmcnt(0) lgkmcnt(0)
	v_mul_f64 v[22:23], v[4:5], v[204:205]
	v_fma_f64 v[22:23], v[2:3], v[202:203], -v[22:23]
	v_mul_f64 v[2:3], v[2:3], v[204:205]
	v_fmac_f64_e32 v[2:3], v[4:5], v[202:203]
	scratch_load_dwordx4 v[202:205], off, s14
	v_add_f64 v[12:13], v[12:13], v[2:3]
	ds_read_b128 v[2:5], v28 offset:1152
	v_add_f64 v[10:11], v[10:11], v[22:23]
	s_add_i32 s14, s13, 8
	v_cmp_eq_u32_e32 vcc, s14, v7
	s_add_i32 s13, s13, 9
	s_or_b64 s[10:11], vcc, s[10:11]
	s_waitcnt vmcnt(0) lgkmcnt(0)
	v_mul_f64 v[22:23], v[4:5], v[204:205]
	v_mul_f64 v[28:29], v[2:3], v[204:205]
	v_fma_f64 v[22:23], v[2:3], v[202:203], -v[22:23]
	v_fmac_f64_e32 v[28:29], v[4:5], v[202:203]
	v_add_f64 v[2:3], v[10:11], v[22:23]
	v_add_f64 v[4:5], v[12:13], v[28:29]
	v_mov_b32_e32 v202, s13
	s_mov_b32 s13, s14
	s_andn2_b64 exec, exec, s[10:11]
	s_cbranch_execnz .LBB63_865
; %bb.866:
	s_or_b64 exec, exec, s[10:11]
.LBB63_867:
	s_or_b64 exec, exec, s[0:1]
	v_and_b32_e32 v6, 7, v6
	v_cmp_ne_u32_e32 vcc, 0, v6
	s_and_saveexec_b64 s[0:1], vcc
	s_cbranch_execz .LBB63_871
; %bb.868:
	v_lshlrev_b32_e32 v10, 4, v202
	v_add_u32_e32 v7, 0x400, v10
	v_add_u32_e32 v201, 0, v10
	s_mov_b64 s[10:11], 0
.LBB63_869:                             ; =>This Inner Loop Header: Depth=1
	scratch_load_dwordx4 v[202:205], v201, off
	ds_read_b128 v[206:209], v7
	v_add_u32_e32 v6, -1, v6
	v_cmp_eq_u32_e32 vcc, 0, v6
	v_add_u32_e32 v7, 16, v7
	v_add_u32_e32 v201, 16, v201
	s_or_b64 s[10:11], vcc, s[10:11]
	s_waitcnt vmcnt(0) lgkmcnt(0)
	v_mul_f64 v[10:11], v[208:209], v[204:205]
	v_mul_f64 v[12:13], v[206:207], v[204:205]
	v_fma_f64 v[10:11], v[206:207], v[202:203], -v[10:11]
	v_fmac_f64_e32 v[12:13], v[208:209], v[202:203]
	v_add_f64 v[2:3], v[2:3], v[10:11]
	v_add_f64 v[4:5], v[4:5], v[12:13]
	s_andn2_b64 exec, exec, s[10:11]
	s_cbranch_execnz .LBB63_869
; %bb.870:
	s_or_b64 exec, exec, s[10:11]
.LBB63_871:
	s_or_b64 exec, exec, s[0:1]
.LBB63_872:
	s_or_b64 exec, exec, s[8:9]
	v_mov_b32_e32 v6, 0
	ds_read_b128 v[202:205], v6
	v_mov_b32_e32 v6, 0
	v_or_b32_e32 v201, 8, v6
	s_mov_b64 s[10:11], exec
	s_waitcnt lgkmcnt(0)
	v_mul_f64 v[10:11], v[4:5], v[204:205]
	v_mul_f64 v[6:7], v[2:3], v[204:205]
	v_fma_f64 v[2:3], v[2:3], v[202:203], -v[10:11]
	v_fmac_f64_e32 v[6:7], v[4:5], v[202:203]
	scratch_store_dwordx2 off, v[2:3], off
.LBB63_873:
	s_or_b64 exec, exec, s[4:5]
	s_and_b64 vcc, exec, s[2:3]
	s_cbranch_vccnz .LBB63_875
	s_branch .LBB63_1386
.LBB63_874:
	s_mov_b64 s[10:11], 0
                                        ; implicit-def: $vgpr6_vgpr7
                                        ; implicit-def: $vgpr201
	s_cbranch_execz .LBB63_1386
.LBB63_875:
	scratch_load_dwordx4 v[2:5], v200, off
	v_cndmask_b32_e64 v6, 0, 1, s[6:7]
	v_cmp_eq_u32_e64 s[2:3], 0, v0
	v_cmp_ne_u32_e64 s[0:1], 1, v6
	s_waitcnt vmcnt(0)
	ds_write_b128 v9, v[2:5]
	s_waitcnt lgkmcnt(0)
	; wave barrier
	s_waitcnt lgkmcnt(0)
	s_and_saveexec_b64 s[4:5], s[2:3]
	s_cbranch_execz .LBB63_879
; %bb.876:
	ds_read_b128 v[2:5], v9
	s_and_b64 vcc, exec, s[0:1]
	s_cbranch_vccnz .LBB63_878
; %bb.877:
	scratch_load_dwordx4 v[202:205], v8, off
	s_waitcnt vmcnt(0) lgkmcnt(0)
	v_mul_f64 v[10:11], v[2:3], v[204:205]
	v_mul_f64 v[6:7], v[4:5], v[204:205]
	v_fmac_f64_e32 v[10:11], v[4:5], v[202:203]
	v_fma_f64 v[2:3], v[2:3], v[202:203], -v[6:7]
	v_mov_b64_e32 v[4:5], v[10:11]
.LBB63_878:
	v_mov_b32_e32 v6, 0
	ds_read_b128 v[202:205], v6 offset:16
	s_waitcnt lgkmcnt(0)
	v_mul_f64 v[6:7], v[4:5], v[204:205]
	v_mul_f64 v[206:207], v[2:3], v[204:205]
	v_fma_f64 v[204:205], v[2:3], v[202:203], -v[6:7]
	v_fmac_f64_e32 v[206:207], v[4:5], v[202:203]
	scratch_store_dwordx4 off, v[204:207], off offset:16
.LBB63_879:
	s_or_b64 exec, exec, s[4:5]
	scratch_load_dwordx4 v[2:5], v199, off
	v_cmp_gt_u32_e32 vcc, 2, v0
	s_waitcnt vmcnt(0)
	ds_write_b128 v9, v[2:5]
	s_waitcnt lgkmcnt(0)
	; wave barrier
	s_waitcnt lgkmcnt(0)
	s_and_saveexec_b64 s[4:5], vcc
	s_cbranch_execz .LBB63_885
; %bb.880:
	ds_read_b128 v[2:5], v9
	s_and_b64 vcc, exec, s[0:1]
	s_cbranch_vccnz .LBB63_882
; %bb.881:
	scratch_load_dwordx4 v[202:205], v8, off
	s_waitcnt vmcnt(0) lgkmcnt(0)
	v_mul_f64 v[10:11], v[2:3], v[204:205]
	v_mul_f64 v[6:7], v[4:5], v[204:205]
	v_fmac_f64_e32 v[10:11], v[4:5], v[202:203]
	v_fma_f64 v[2:3], v[2:3], v[202:203], -v[6:7]
	v_mov_b64_e32 v[4:5], v[10:11]
.LBB63_882:
	s_and_saveexec_b64 s[6:7], s[2:3]
	s_cbranch_execz .LBB63_884
; %bb.883:
	scratch_load_dwordx4 v[202:205], v8, off offset:16
	ds_read_b128 v[206:209], v9 offset:16
	s_waitcnt vmcnt(0) lgkmcnt(0)
	v_mul_f64 v[6:7], v[208:209], v[204:205]
	v_mul_f64 v[10:11], v[206:207], v[204:205]
	v_fma_f64 v[6:7], v[206:207], v[202:203], -v[6:7]
	v_fmac_f64_e32 v[10:11], v[208:209], v[202:203]
	v_add_f64 v[2:3], v[2:3], v[6:7]
	v_add_f64 v[4:5], v[4:5], v[10:11]
.LBB63_884:
	s_or_b64 exec, exec, s[6:7]
	v_mov_b32_e32 v6, 0
	ds_read_b128 v[202:205], v6 offset:32
	s_waitcnt lgkmcnt(0)
	v_mul_f64 v[6:7], v[4:5], v[204:205]
	v_mul_f64 v[206:207], v[2:3], v[204:205]
	v_fma_f64 v[204:205], v[2:3], v[202:203], -v[6:7]
	v_fmac_f64_e32 v[206:207], v[4:5], v[202:203]
	scratch_store_dwordx4 off, v[204:207], off offset:32
.LBB63_885:
	s_or_b64 exec, exec, s[4:5]
	scratch_load_dwordx4 v[2:5], v198, off
	v_cmp_gt_u32_e64 s[4:5], 3, v0
	s_waitcnt vmcnt(0)
	ds_write_b128 v9, v[2:5]
	s_waitcnt lgkmcnt(0)
	; wave barrier
	s_waitcnt lgkmcnt(0)
	s_and_saveexec_b64 s[6:7], s[4:5]
	s_cbranch_execz .LBB63_893
; %bb.886:
	ds_read_b128 v[2:5], v9
	s_and_b64 vcc, exec, s[0:1]
	s_cbranch_vccnz .LBB63_888
; %bb.887:
	scratch_load_dwordx4 v[202:205], v8, off
	s_waitcnt vmcnt(0) lgkmcnt(0)
	v_mul_f64 v[10:11], v[2:3], v[204:205]
	v_mul_f64 v[6:7], v[4:5], v[204:205]
	v_fmac_f64_e32 v[10:11], v[4:5], v[202:203]
	v_fma_f64 v[2:3], v[2:3], v[202:203], -v[6:7]
	v_mov_b64_e32 v[4:5], v[10:11]
.LBB63_888:
	v_cmp_ne_u32_e32 vcc, 2, v0
	s_and_saveexec_b64 s[8:9], vcc
	s_cbranch_execz .LBB63_892
; %bb.889:
	scratch_load_dwordx4 v[202:205], v8, off offset:16
	ds_read_b128 v[206:209], v9 offset:16
	s_waitcnt vmcnt(0) lgkmcnt(0)
	v_mul_f64 v[6:7], v[208:209], v[204:205]
	v_mul_f64 v[10:11], v[206:207], v[204:205]
	v_fma_f64 v[6:7], v[206:207], v[202:203], -v[6:7]
	v_fmac_f64_e32 v[10:11], v[208:209], v[202:203]
	v_add_f64 v[2:3], v[2:3], v[6:7]
	v_add_f64 v[4:5], v[4:5], v[10:11]
	s_and_saveexec_b64 s[12:13], s[2:3]
	s_cbranch_execz .LBB63_891
; %bb.890:
	scratch_load_dwordx4 v[202:205], off, off offset:32
	v_mov_b32_e32 v6, 0
	ds_read_b128 v[206:209], v6 offset:1056
	s_waitcnt vmcnt(0) lgkmcnt(0)
	v_mul_f64 v[6:7], v[206:207], v[204:205]
	v_mul_f64 v[10:11], v[208:209], v[204:205]
	v_fmac_f64_e32 v[6:7], v[208:209], v[202:203]
	v_fma_f64 v[10:11], v[206:207], v[202:203], -v[10:11]
	v_add_f64 v[4:5], v[4:5], v[6:7]
	v_add_f64 v[2:3], v[2:3], v[10:11]
.LBB63_891:
	s_or_b64 exec, exec, s[12:13]
.LBB63_892:
	s_or_b64 exec, exec, s[8:9]
	v_mov_b32_e32 v6, 0
	ds_read_b128 v[202:205], v6 offset:48
	s_waitcnt lgkmcnt(0)
	v_mul_f64 v[6:7], v[4:5], v[204:205]
	v_mul_f64 v[206:207], v[2:3], v[204:205]
	v_fma_f64 v[204:205], v[2:3], v[202:203], -v[6:7]
	v_fmac_f64_e32 v[206:207], v[4:5], v[202:203]
	scratch_store_dwordx4 off, v[204:207], off offset:48
.LBB63_893:
	s_or_b64 exec, exec, s[6:7]
	scratch_load_dwordx4 v[2:5], v197, off
	v_cmp_gt_u32_e32 vcc, 4, v0
	s_waitcnt vmcnt(0)
	ds_write_b128 v9, v[2:5]
	s_waitcnt lgkmcnt(0)
	; wave barrier
	s_waitcnt lgkmcnt(0)
	s_and_saveexec_b64 s[6:7], vcc
	s_cbranch_execz .LBB63_901
; %bb.894:
	ds_read_b128 v[2:5], v9
	s_and_b64 vcc, exec, s[0:1]
	s_cbranch_vccnz .LBB63_896
; %bb.895:
	scratch_load_dwordx4 v[202:205], v8, off
	s_waitcnt vmcnt(0) lgkmcnt(0)
	v_mul_f64 v[10:11], v[2:3], v[204:205]
	v_mul_f64 v[6:7], v[4:5], v[204:205]
	v_fmac_f64_e32 v[10:11], v[4:5], v[202:203]
	v_fma_f64 v[2:3], v[2:3], v[202:203], -v[6:7]
	v_mov_b64_e32 v[4:5], v[10:11]
.LBB63_896:
	v_cmp_ne_u32_e32 vcc, 3, v0
	s_and_saveexec_b64 s[8:9], vcc
	s_cbranch_execz .LBB63_900
; %bb.897:
	v_mov_b32_e32 v7, 0
	v_add_u32_e32 v6, 0x410, v116
	v_add3_u32 v7, v116, v7, 24
	s_mov_b64 s[12:13], 0
	v_mov_b32_e32 v201, v0
.LBB63_898:                             ; =>This Inner Loop Header: Depth=1
	v_add_u32_e32 v10, -8, v7
	scratch_load_dwordx4 v[202:205], v10, off
	ds_read_b128 v[206:209], v6
	v_add_u32_e32 v201, 1, v201
	v_cmp_lt_u32_e32 vcc, 2, v201
	v_add_u32_e32 v6, 16, v6
	v_add_u32_e32 v7, 16, v7
	s_or_b64 s[12:13], vcc, s[12:13]
	s_waitcnt vmcnt(0) lgkmcnt(0)
	v_mul_f64 v[10:11], v[208:209], v[204:205]
	v_mul_f64 v[12:13], v[206:207], v[204:205]
	v_fma_f64 v[10:11], v[206:207], v[202:203], -v[10:11]
	v_fmac_f64_e32 v[12:13], v[208:209], v[202:203]
	v_add_f64 v[2:3], v[2:3], v[10:11]
	v_add_f64 v[4:5], v[4:5], v[12:13]
	s_andn2_b64 exec, exec, s[12:13]
	s_cbranch_execnz .LBB63_898
; %bb.899:
	s_or_b64 exec, exec, s[12:13]
.LBB63_900:
	s_or_b64 exec, exec, s[8:9]
	v_mov_b32_e32 v6, 0
	ds_read_b128 v[202:205], v6 offset:64
	s_waitcnt lgkmcnt(0)
	v_mul_f64 v[6:7], v[4:5], v[204:205]
	v_mul_f64 v[206:207], v[2:3], v[204:205]
	v_fma_f64 v[204:205], v[2:3], v[202:203], -v[6:7]
	v_fmac_f64_e32 v[206:207], v[4:5], v[202:203]
	scratch_store_dwordx4 off, v[204:207], off offset:64
.LBB63_901:
	s_or_b64 exec, exec, s[6:7]
	scratch_load_dwordx4 v[2:5], v196, off
	v_cmp_gt_u32_e64 s[6:7], 5, v0
	s_waitcnt vmcnt(0)
	ds_write_b128 v9, v[2:5]
	s_waitcnt lgkmcnt(0)
	; wave barrier
	s_waitcnt lgkmcnt(0)
	s_and_saveexec_b64 s[8:9], s[6:7]
	s_cbranch_execz .LBB63_909
; %bb.902:
	ds_read_b128 v[2:5], v9
	s_and_b64 vcc, exec, s[0:1]
	s_cbranch_vccnz .LBB63_904
; %bb.903:
	scratch_load_dwordx4 v[202:205], v8, off
	s_waitcnt vmcnt(0) lgkmcnt(0)
	v_mul_f64 v[10:11], v[2:3], v[204:205]
	v_mul_f64 v[6:7], v[4:5], v[204:205]
	v_fmac_f64_e32 v[10:11], v[4:5], v[202:203]
	v_fma_f64 v[2:3], v[2:3], v[202:203], -v[6:7]
	v_mov_b64_e32 v[4:5], v[10:11]
.LBB63_904:
	v_cmp_ne_u32_e32 vcc, 4, v0
	s_and_saveexec_b64 s[12:13], vcc
	s_cbranch_execz .LBB63_908
; %bb.905:
	v_mov_b32_e32 v7, 0
	v_add_u32_e32 v6, 0x410, v116
	v_add3_u32 v7, v116, v7, 24
	s_mov_b64 s[14:15], 0
	v_mov_b32_e32 v201, v0
.LBB63_906:                             ; =>This Inner Loop Header: Depth=1
	v_add_u32_e32 v10, -8, v7
	scratch_load_dwordx4 v[202:205], v10, off
	ds_read_b128 v[206:209], v6
	v_add_u32_e32 v201, 1, v201
	v_cmp_lt_u32_e32 vcc, 3, v201
	v_add_u32_e32 v6, 16, v6
	v_add_u32_e32 v7, 16, v7
	s_or_b64 s[14:15], vcc, s[14:15]
	s_waitcnt vmcnt(0) lgkmcnt(0)
	v_mul_f64 v[10:11], v[208:209], v[204:205]
	v_mul_f64 v[12:13], v[206:207], v[204:205]
	v_fma_f64 v[10:11], v[206:207], v[202:203], -v[10:11]
	v_fmac_f64_e32 v[12:13], v[208:209], v[202:203]
	v_add_f64 v[2:3], v[2:3], v[10:11]
	v_add_f64 v[4:5], v[4:5], v[12:13]
	s_andn2_b64 exec, exec, s[14:15]
	s_cbranch_execnz .LBB63_906
; %bb.907:
	s_or_b64 exec, exec, s[14:15]
.LBB63_908:
	s_or_b64 exec, exec, s[12:13]
	v_mov_b32_e32 v6, 0
	ds_read_b128 v[202:205], v6 offset:80
	s_waitcnt lgkmcnt(0)
	v_mul_f64 v[6:7], v[4:5], v[204:205]
	v_mul_f64 v[206:207], v[2:3], v[204:205]
	v_fma_f64 v[204:205], v[2:3], v[202:203], -v[6:7]
	v_fmac_f64_e32 v[206:207], v[4:5], v[202:203]
	scratch_store_dwordx4 off, v[204:207], off offset:80
.LBB63_909:
	s_or_b64 exec, exec, s[8:9]
	scratch_load_dwordx4 v[2:5], v195, off
	v_cmp_gt_u32_e32 vcc, 6, v0
	s_waitcnt vmcnt(0)
	ds_write_b128 v9, v[2:5]
	s_waitcnt lgkmcnt(0)
	; wave barrier
	s_waitcnt lgkmcnt(0)
	s_and_saveexec_b64 s[8:9], vcc
	s_cbranch_execz .LBB63_917
; %bb.910:
	ds_read_b128 v[2:5], v9
	s_and_b64 vcc, exec, s[0:1]
	s_cbranch_vccnz .LBB63_912
; %bb.911:
	scratch_load_dwordx4 v[202:205], v8, off
	s_waitcnt vmcnt(0) lgkmcnt(0)
	v_mul_f64 v[10:11], v[2:3], v[204:205]
	v_mul_f64 v[6:7], v[4:5], v[204:205]
	v_fmac_f64_e32 v[10:11], v[4:5], v[202:203]
	v_fma_f64 v[2:3], v[2:3], v[202:203], -v[6:7]
	v_mov_b64_e32 v[4:5], v[10:11]
.LBB63_912:
	v_cmp_ne_u32_e32 vcc, 5, v0
	s_and_saveexec_b64 s[12:13], vcc
	s_cbranch_execz .LBB63_916
; %bb.913:
	v_mov_b32_e32 v7, 0
	v_add_u32_e32 v6, 0x410, v116
	v_add3_u32 v7, v116, v7, 24
	s_mov_b64 s[14:15], 0
	v_mov_b32_e32 v201, v0
.LBB63_914:                             ; =>This Inner Loop Header: Depth=1
	v_add_u32_e32 v10, -8, v7
	scratch_load_dwordx4 v[202:205], v10, off
	ds_read_b128 v[206:209], v6
	v_add_u32_e32 v201, 1, v201
	v_cmp_lt_u32_e32 vcc, 4, v201
	v_add_u32_e32 v6, 16, v6
	v_add_u32_e32 v7, 16, v7
	s_or_b64 s[14:15], vcc, s[14:15]
	s_waitcnt vmcnt(0) lgkmcnt(0)
	v_mul_f64 v[10:11], v[208:209], v[204:205]
	v_mul_f64 v[12:13], v[206:207], v[204:205]
	v_fma_f64 v[10:11], v[206:207], v[202:203], -v[10:11]
	v_fmac_f64_e32 v[12:13], v[208:209], v[202:203]
	v_add_f64 v[2:3], v[2:3], v[10:11]
	v_add_f64 v[4:5], v[4:5], v[12:13]
	s_andn2_b64 exec, exec, s[14:15]
	s_cbranch_execnz .LBB63_914
; %bb.915:
	s_or_b64 exec, exec, s[14:15]
.LBB63_916:
	s_or_b64 exec, exec, s[12:13]
	v_mov_b32_e32 v6, 0
	ds_read_b128 v[202:205], v6 offset:96
	s_waitcnt lgkmcnt(0)
	v_mul_f64 v[6:7], v[4:5], v[204:205]
	v_mul_f64 v[206:207], v[2:3], v[204:205]
	v_fma_f64 v[204:205], v[2:3], v[202:203], -v[6:7]
	v_fmac_f64_e32 v[206:207], v[4:5], v[202:203]
	scratch_store_dwordx4 off, v[204:207], off offset:96
.LBB63_917:
	s_or_b64 exec, exec, s[8:9]
	scratch_load_dwordx4 v[2:5], v194, off
	v_cmp_gt_u32_e64 s[8:9], 7, v0
	s_waitcnt vmcnt(0)
	ds_write_b128 v9, v[2:5]
	s_waitcnt lgkmcnt(0)
	; wave barrier
	s_waitcnt lgkmcnt(0)
	s_and_saveexec_b64 s[12:13], s[8:9]
	s_cbranch_execz .LBB63_925
; %bb.918:
	ds_read_b128 v[2:5], v9
	s_and_b64 vcc, exec, s[0:1]
	s_cbranch_vccnz .LBB63_920
; %bb.919:
	scratch_load_dwordx4 v[202:205], v8, off
	s_waitcnt vmcnt(0) lgkmcnt(0)
	v_mul_f64 v[10:11], v[2:3], v[204:205]
	v_mul_f64 v[6:7], v[4:5], v[204:205]
	v_fmac_f64_e32 v[10:11], v[4:5], v[202:203]
	v_fma_f64 v[2:3], v[2:3], v[202:203], -v[6:7]
	v_mov_b64_e32 v[4:5], v[10:11]
.LBB63_920:
	v_cmp_ne_u32_e32 vcc, 6, v0
	s_and_saveexec_b64 s[14:15], vcc
	s_cbranch_execz .LBB63_924
; %bb.921:
	v_mov_b32_e32 v7, 0
	v_add_u32_e32 v6, 0x410, v116
	v_add3_u32 v7, v116, v7, 24
	s_mov_b64 s[16:17], 0
	v_mov_b32_e32 v201, v0
.LBB63_922:                             ; =>This Inner Loop Header: Depth=1
	v_add_u32_e32 v10, -8, v7
	scratch_load_dwordx4 v[202:205], v10, off
	ds_read_b128 v[206:209], v6
	v_add_u32_e32 v201, 1, v201
	v_cmp_lt_u32_e32 vcc, 5, v201
	v_add_u32_e32 v6, 16, v6
	v_add_u32_e32 v7, 16, v7
	s_or_b64 s[16:17], vcc, s[16:17]
	s_waitcnt vmcnt(0) lgkmcnt(0)
	v_mul_f64 v[10:11], v[208:209], v[204:205]
	v_mul_f64 v[12:13], v[206:207], v[204:205]
	v_fma_f64 v[10:11], v[206:207], v[202:203], -v[10:11]
	v_fmac_f64_e32 v[12:13], v[208:209], v[202:203]
	v_add_f64 v[2:3], v[2:3], v[10:11]
	v_add_f64 v[4:5], v[4:5], v[12:13]
	s_andn2_b64 exec, exec, s[16:17]
	s_cbranch_execnz .LBB63_922
; %bb.923:
	s_or_b64 exec, exec, s[16:17]
.LBB63_924:
	s_or_b64 exec, exec, s[14:15]
	v_mov_b32_e32 v6, 0
	ds_read_b128 v[202:205], v6 offset:112
	s_waitcnt lgkmcnt(0)
	v_mul_f64 v[6:7], v[4:5], v[204:205]
	v_mul_f64 v[206:207], v[2:3], v[204:205]
	v_fma_f64 v[204:205], v[2:3], v[202:203], -v[6:7]
	v_fmac_f64_e32 v[206:207], v[4:5], v[202:203]
	scratch_store_dwordx4 off, v[204:207], off offset:112
.LBB63_925:
	s_or_b64 exec, exec, s[12:13]
	scratch_load_dwordx4 v[2:5], v193, off
	v_cmp_gt_u32_e32 vcc, 8, v0
	s_waitcnt vmcnt(0)
	ds_write_b128 v9, v[2:5]
	s_waitcnt lgkmcnt(0)
	; wave barrier
	s_waitcnt lgkmcnt(0)
	s_and_saveexec_b64 s[12:13], vcc
	s_cbranch_execz .LBB63_933
; %bb.926:
	ds_read_b128 v[2:5], v9
	s_and_b64 vcc, exec, s[0:1]
	s_cbranch_vccnz .LBB63_928
; %bb.927:
	scratch_load_dwordx4 v[202:205], v8, off
	s_waitcnt vmcnt(0) lgkmcnt(0)
	v_mul_f64 v[10:11], v[2:3], v[204:205]
	v_mul_f64 v[6:7], v[4:5], v[204:205]
	v_fmac_f64_e32 v[10:11], v[4:5], v[202:203]
	v_fma_f64 v[2:3], v[2:3], v[202:203], -v[6:7]
	v_mov_b64_e32 v[4:5], v[10:11]
.LBB63_928:
	v_cmp_ne_u32_e32 vcc, 7, v0
	s_and_saveexec_b64 s[14:15], vcc
	s_cbranch_execz .LBB63_932
; %bb.929:
	v_mov_b32_e32 v7, 0
	v_add_u32_e32 v6, 0x410, v116
	v_add3_u32 v7, v116, v7, 24
	s_mov_b64 s[16:17], 0
	v_mov_b32_e32 v201, v0
.LBB63_930:                             ; =>This Inner Loop Header: Depth=1
	v_add_u32_e32 v10, -8, v7
	scratch_load_dwordx4 v[202:205], v10, off
	ds_read_b128 v[206:209], v6
	v_add_u32_e32 v201, 1, v201
	v_cmp_lt_u32_e32 vcc, 6, v201
	v_add_u32_e32 v6, 16, v6
	v_add_u32_e32 v7, 16, v7
	s_or_b64 s[16:17], vcc, s[16:17]
	s_waitcnt vmcnt(0) lgkmcnt(0)
	v_mul_f64 v[10:11], v[208:209], v[204:205]
	v_mul_f64 v[12:13], v[206:207], v[204:205]
	v_fma_f64 v[10:11], v[206:207], v[202:203], -v[10:11]
	v_fmac_f64_e32 v[12:13], v[208:209], v[202:203]
	v_add_f64 v[2:3], v[2:3], v[10:11]
	v_add_f64 v[4:5], v[4:5], v[12:13]
	s_andn2_b64 exec, exec, s[16:17]
	s_cbranch_execnz .LBB63_930
; %bb.931:
	s_or_b64 exec, exec, s[16:17]
.LBB63_932:
	s_or_b64 exec, exec, s[14:15]
	v_mov_b32_e32 v6, 0
	ds_read_b128 v[202:205], v6 offset:128
	s_waitcnt lgkmcnt(0)
	v_mul_f64 v[6:7], v[4:5], v[204:205]
	v_mul_f64 v[206:207], v[2:3], v[204:205]
	v_fma_f64 v[204:205], v[2:3], v[202:203], -v[6:7]
	v_fmac_f64_e32 v[206:207], v[4:5], v[202:203]
	scratch_store_dwordx4 off, v[204:207], off offset:128
.LBB63_933:
	s_or_b64 exec, exec, s[12:13]
	scratch_load_dwordx4 v[2:5], v192, off
	v_cmp_gt_u32_e32 vcc, 9, v0
	s_waitcnt vmcnt(0)
	ds_write_b128 v9, v[2:5]
	s_waitcnt lgkmcnt(0)
	; wave barrier
	s_waitcnt lgkmcnt(0)
	s_and_saveexec_b64 s[12:13], vcc
	s_cbranch_execz .LBB63_953
; %bb.934:
	ds_read_b128 v[2:5], v9
	s_and_b64 vcc, exec, s[0:1]
	s_cbranch_vccnz .LBB63_936
; %bb.935:
	scratch_load_dwordx4 v[202:205], v8, off
	s_waitcnt vmcnt(0) lgkmcnt(0)
	v_mul_f64 v[10:11], v[2:3], v[204:205]
	v_mul_f64 v[6:7], v[4:5], v[204:205]
	v_fmac_f64_e32 v[10:11], v[4:5], v[202:203]
	v_fma_f64 v[2:3], v[2:3], v[202:203], -v[6:7]
	v_mov_b64_e32 v[4:5], v[10:11]
.LBB63_936:
	v_cmp_ne_u32_e32 vcc, 8, v0
	s_and_saveexec_b64 s[14:15], vcc
	s_cbranch_execz .LBB63_952
; %bb.937:
	scratch_load_dwordx4 v[202:205], v8, off offset:16
	ds_read_b128 v[206:209], v9 offset:16
	s_waitcnt vmcnt(0) lgkmcnt(0)
	v_mul_f64 v[6:7], v[208:209], v[204:205]
	v_mul_f64 v[10:11], v[206:207], v[204:205]
	v_fma_f64 v[6:7], v[206:207], v[202:203], -v[6:7]
	v_fmac_f64_e32 v[10:11], v[208:209], v[202:203]
	v_add_f64 v[2:3], v[2:3], v[6:7]
	v_add_f64 v[4:5], v[4:5], v[10:11]
	s_and_saveexec_b64 s[16:17], s[8:9]
	s_cbranch_execz .LBB63_951
; %bb.938:
	scratch_load_dwordx4 v[202:205], v8, off offset:32
	ds_read_b128 v[206:209], v9 offset:32
	v_cmp_ne_u32_e32 vcc, 6, v0
	s_waitcnt vmcnt(0) lgkmcnt(0)
	v_mul_f64 v[6:7], v[208:209], v[204:205]
	v_mul_f64 v[10:11], v[206:207], v[204:205]
	v_fma_f64 v[6:7], v[206:207], v[202:203], -v[6:7]
	v_fmac_f64_e32 v[10:11], v[208:209], v[202:203]
	v_add_f64 v[2:3], v[2:3], v[6:7]
	v_add_f64 v[4:5], v[4:5], v[10:11]
	s_and_saveexec_b64 s[8:9], vcc
	s_cbranch_execz .LBB63_950
; %bb.939:
	scratch_load_dwordx4 v[202:205], v8, off offset:48
	ds_read_b128 v[206:209], v9 offset:48
	s_waitcnt vmcnt(0) lgkmcnt(0)
	v_mul_f64 v[6:7], v[208:209], v[204:205]
	v_mul_f64 v[10:11], v[206:207], v[204:205]
	v_fma_f64 v[6:7], v[206:207], v[202:203], -v[6:7]
	v_fmac_f64_e32 v[10:11], v[208:209], v[202:203]
	v_add_f64 v[2:3], v[2:3], v[6:7]
	v_add_f64 v[4:5], v[4:5], v[10:11]
	s_and_saveexec_b64 s[18:19], s[6:7]
	s_cbranch_execz .LBB63_949
; %bb.940:
	scratch_load_dwordx4 v[202:205], v8, off offset:64
	ds_read_b128 v[206:209], v9 offset:64
	v_cmp_ne_u32_e32 vcc, 4, v0
	s_waitcnt vmcnt(0) lgkmcnt(0)
	v_mul_f64 v[6:7], v[208:209], v[204:205]
	v_mul_f64 v[10:11], v[206:207], v[204:205]
	v_fma_f64 v[6:7], v[206:207], v[202:203], -v[6:7]
	v_fmac_f64_e32 v[10:11], v[208:209], v[202:203]
	v_add_f64 v[2:3], v[2:3], v[6:7]
	v_add_f64 v[4:5], v[4:5], v[10:11]
	;; [unrolled: 25-line block ×3, first 2 shown]
	s_and_saveexec_b64 s[4:5], vcc
	s_cbranch_execz .LBB63_946
; %bb.943:
	scratch_load_dwordx4 v[202:205], v8, off offset:112
	ds_read_b128 v[206:209], v9 offset:112
	s_waitcnt vmcnt(0) lgkmcnt(0)
	v_mul_f64 v[6:7], v[208:209], v[204:205]
	v_mul_f64 v[10:11], v[206:207], v[204:205]
	v_fma_f64 v[6:7], v[206:207], v[202:203], -v[6:7]
	v_fmac_f64_e32 v[10:11], v[208:209], v[202:203]
	v_add_f64 v[2:3], v[2:3], v[6:7]
	v_add_f64 v[4:5], v[4:5], v[10:11]
	s_and_saveexec_b64 s[22:23], s[2:3]
	s_cbranch_execz .LBB63_945
; %bb.944:
	scratch_load_dwordx4 v[202:205], v8, off offset:128
	ds_read_b128 v[206:209], v9 offset:128
	s_waitcnt vmcnt(0) lgkmcnt(0)
	v_mul_f64 v[6:7], v[208:209], v[204:205]
	v_mul_f64 v[10:11], v[206:207], v[204:205]
	v_fma_f64 v[6:7], v[206:207], v[202:203], -v[6:7]
	v_fmac_f64_e32 v[10:11], v[208:209], v[202:203]
	v_add_f64 v[2:3], v[2:3], v[6:7]
	v_add_f64 v[4:5], v[4:5], v[10:11]
.LBB63_945:
	s_or_b64 exec, exec, s[22:23]
.LBB63_946:
	s_or_b64 exec, exec, s[4:5]
.LBB63_947:
	s_or_b64 exec, exec, s[20:21]
.LBB63_948:
	s_or_b64 exec, exec, s[6:7]
.LBB63_949:
	s_or_b64 exec, exec, s[18:19]
.LBB63_950:
	s_or_b64 exec, exec, s[8:9]
.LBB63_951:
	s_or_b64 exec, exec, s[16:17]
.LBB63_952:
	s_or_b64 exec, exec, s[14:15]
	v_mov_b32_e32 v6, 0
	ds_read_b128 v[202:205], v6 offset:144
	s_waitcnt lgkmcnt(0)
	v_mul_f64 v[6:7], v[4:5], v[204:205]
	v_mul_f64 v[206:207], v[2:3], v[204:205]
	v_fma_f64 v[204:205], v[2:3], v[202:203], -v[6:7]
	v_fmac_f64_e32 v[206:207], v[4:5], v[202:203]
	scratch_store_dwordx4 off, v[204:207], off offset:144
.LBB63_953:
	s_or_b64 exec, exec, s[12:13]
	scratch_load_dwordx4 v[2:5], v191, off
	v_cmp_gt_u32_e32 vcc, 10, v0
	s_waitcnt vmcnt(0)
	ds_write_b128 v9, v[2:5]
	s_waitcnt lgkmcnt(0)
	; wave barrier
	s_waitcnt lgkmcnt(0)
	s_and_saveexec_b64 s[2:3], vcc
	s_cbranch_execz .LBB63_961
; %bb.954:
	ds_read_b128 v[2:5], v9
	s_and_b64 vcc, exec, s[0:1]
	s_cbranch_vccnz .LBB63_956
; %bb.955:
	scratch_load_dwordx4 v[202:205], v8, off
	s_waitcnt vmcnt(0) lgkmcnt(0)
	v_mul_f64 v[10:11], v[2:3], v[204:205]
	v_mul_f64 v[6:7], v[4:5], v[204:205]
	v_fmac_f64_e32 v[10:11], v[4:5], v[202:203]
	v_fma_f64 v[2:3], v[2:3], v[202:203], -v[6:7]
	v_mov_b64_e32 v[4:5], v[10:11]
.LBB63_956:
	v_cmp_ne_u32_e32 vcc, 9, v0
	s_and_saveexec_b64 s[4:5], vcc
	s_cbranch_execz .LBB63_960
; %bb.957:
	v_mov_b32_e32 v7, 0
	v_add_u32_e32 v6, 0x410, v116
	v_add3_u32 v7, v116, v7, 24
	s_mov_b64 s[6:7], 0
	v_mov_b32_e32 v201, v0
.LBB63_958:                             ; =>This Inner Loop Header: Depth=1
	v_add_u32_e32 v10, -8, v7
	scratch_load_dwordx4 v[202:205], v10, off
	ds_read_b128 v[206:209], v6
	v_add_u32_e32 v201, 1, v201
	v_cmp_lt_u32_e32 vcc, 8, v201
	v_add_u32_e32 v6, 16, v6
	v_add_u32_e32 v7, 16, v7
	s_or_b64 s[6:7], vcc, s[6:7]
	s_waitcnt vmcnt(0) lgkmcnt(0)
	v_mul_f64 v[10:11], v[208:209], v[204:205]
	v_mul_f64 v[12:13], v[206:207], v[204:205]
	v_fma_f64 v[10:11], v[206:207], v[202:203], -v[10:11]
	v_fmac_f64_e32 v[12:13], v[208:209], v[202:203]
	v_add_f64 v[2:3], v[2:3], v[10:11]
	v_add_f64 v[4:5], v[4:5], v[12:13]
	s_andn2_b64 exec, exec, s[6:7]
	s_cbranch_execnz .LBB63_958
; %bb.959:
	s_or_b64 exec, exec, s[6:7]
.LBB63_960:
	s_or_b64 exec, exec, s[4:5]
	v_mov_b32_e32 v6, 0
	ds_read_b128 v[202:205], v6 offset:160
	s_waitcnt lgkmcnt(0)
	v_mul_f64 v[6:7], v[4:5], v[204:205]
	v_mul_f64 v[206:207], v[2:3], v[204:205]
	v_fma_f64 v[204:205], v[2:3], v[202:203], -v[6:7]
	v_fmac_f64_e32 v[206:207], v[4:5], v[202:203]
	scratch_store_dwordx4 off, v[204:207], off offset:160
.LBB63_961:
	s_or_b64 exec, exec, s[2:3]
	scratch_load_dwordx4 v[2:5], v190, off
	v_cmp_gt_u32_e32 vcc, 11, v0
	s_waitcnt vmcnt(0)
	ds_write_b128 v9, v[2:5]
	s_waitcnt lgkmcnt(0)
	; wave barrier
	s_waitcnt lgkmcnt(0)
	s_and_saveexec_b64 s[2:3], vcc
	s_cbranch_execz .LBB63_969
; %bb.962:
	ds_read_b128 v[2:5], v9
	s_and_b64 vcc, exec, s[0:1]
	s_cbranch_vccnz .LBB63_964
; %bb.963:
	scratch_load_dwordx4 v[202:205], v8, off
	s_waitcnt vmcnt(0) lgkmcnt(0)
	v_mul_f64 v[10:11], v[2:3], v[204:205]
	v_mul_f64 v[6:7], v[4:5], v[204:205]
	v_fmac_f64_e32 v[10:11], v[4:5], v[202:203]
	v_fma_f64 v[2:3], v[2:3], v[202:203], -v[6:7]
	v_mov_b64_e32 v[4:5], v[10:11]
.LBB63_964:
	v_cmp_ne_u32_e32 vcc, 10, v0
	s_and_saveexec_b64 s[4:5], vcc
	s_cbranch_execz .LBB63_968
; %bb.965:
	v_mov_b32_e32 v7, 0
	v_add_u32_e32 v6, 0x410, v116
	v_add3_u32 v7, v116, v7, 24
	s_mov_b64 s[6:7], 0
	v_mov_b32_e32 v201, v0
.LBB63_966:                             ; =>This Inner Loop Header: Depth=1
	v_add_u32_e32 v10, -8, v7
	scratch_load_dwordx4 v[202:205], v10, off
	ds_read_b128 v[206:209], v6
	v_add_u32_e32 v201, 1, v201
	v_cmp_lt_u32_e32 vcc, 9, v201
	v_add_u32_e32 v6, 16, v6
	v_add_u32_e32 v7, 16, v7
	s_or_b64 s[6:7], vcc, s[6:7]
	s_waitcnt vmcnt(0) lgkmcnt(0)
	v_mul_f64 v[10:11], v[208:209], v[204:205]
	v_mul_f64 v[12:13], v[206:207], v[204:205]
	v_fma_f64 v[10:11], v[206:207], v[202:203], -v[10:11]
	v_fmac_f64_e32 v[12:13], v[208:209], v[202:203]
	v_add_f64 v[2:3], v[2:3], v[10:11]
	v_add_f64 v[4:5], v[4:5], v[12:13]
	s_andn2_b64 exec, exec, s[6:7]
	s_cbranch_execnz .LBB63_966
; %bb.967:
	s_or_b64 exec, exec, s[6:7]
.LBB63_968:
	s_or_b64 exec, exec, s[4:5]
	v_mov_b32_e32 v6, 0
	ds_read_b128 v[202:205], v6 offset:176
	s_waitcnt lgkmcnt(0)
	v_mul_f64 v[6:7], v[4:5], v[204:205]
	v_mul_f64 v[206:207], v[2:3], v[204:205]
	v_fma_f64 v[204:205], v[2:3], v[202:203], -v[6:7]
	v_fmac_f64_e32 v[206:207], v[4:5], v[202:203]
	scratch_store_dwordx4 off, v[204:207], off offset:176
.LBB63_969:
	;; [unrolled: 63-line block ×6, first 2 shown]
	s_or_b64 exec, exec, s[2:3]
	scratch_load_dwordx4 v[2:5], v185, off
	v_cmp_gt_u32_e32 vcc, 16, v0
	s_waitcnt vmcnt(0)
	ds_write_b128 v9, v[2:5]
	s_waitcnt lgkmcnt(0)
	; wave barrier
	s_waitcnt lgkmcnt(0)
	s_and_saveexec_b64 s[2:3], vcc
	s_cbranch_execz .LBB63_1009
; %bb.1002:
	ds_read_b128 v[2:5], v9
	s_and_b64 vcc, exec, s[0:1]
	s_cbranch_vccnz .LBB63_1004
; %bb.1003:
	scratch_load_dwordx4 v[202:205], v8, off
	s_waitcnt vmcnt(0) lgkmcnt(0)
	v_mul_f64 v[10:11], v[2:3], v[204:205]
	v_mul_f64 v[6:7], v[4:5], v[204:205]
	v_fmac_f64_e32 v[10:11], v[4:5], v[202:203]
	v_fma_f64 v[2:3], v[2:3], v[202:203], -v[6:7]
	v_mov_b64_e32 v[4:5], v[10:11]
.LBB63_1004:
	v_cmp_ne_u32_e32 vcc, 15, v0
	s_and_saveexec_b64 s[4:5], vcc
	s_cbranch_execz .LBB63_1008
; %bb.1005:
	v_mov_b32_e32 v7, 0
	v_add_u32_e32 v6, 0x410, v116
	v_add3_u32 v7, v116, v7, 24
	s_mov_b64 s[6:7], 0
	v_mov_b32_e32 v201, v0
.LBB63_1006:                            ; =>This Inner Loop Header: Depth=1
	v_add_u32_e32 v10, -8, v7
	scratch_load_dwordx4 v[202:205], v10, off
	ds_read_b128 v[206:209], v6
	v_add_u32_e32 v201, 1, v201
	v_cmp_lt_u32_e32 vcc, 14, v201
	v_add_u32_e32 v6, 16, v6
	v_add_u32_e32 v7, 16, v7
	s_or_b64 s[6:7], vcc, s[6:7]
	s_waitcnt vmcnt(0) lgkmcnt(0)
	v_mul_f64 v[10:11], v[208:209], v[204:205]
	v_mul_f64 v[12:13], v[206:207], v[204:205]
	v_fma_f64 v[10:11], v[206:207], v[202:203], -v[10:11]
	v_fmac_f64_e32 v[12:13], v[208:209], v[202:203]
	v_add_f64 v[2:3], v[2:3], v[10:11]
	v_add_f64 v[4:5], v[4:5], v[12:13]
	s_andn2_b64 exec, exec, s[6:7]
	s_cbranch_execnz .LBB63_1006
; %bb.1007:
	s_or_b64 exec, exec, s[6:7]
.LBB63_1008:
	s_or_b64 exec, exec, s[4:5]
	v_mov_b32_e32 v6, 0
	ds_read_b128 v[202:205], v6 offset:256
	s_waitcnt lgkmcnt(0)
	v_mul_f64 v[6:7], v[4:5], v[204:205]
	v_mul_f64 v[206:207], v[2:3], v[204:205]
	v_fma_f64 v[204:205], v[2:3], v[202:203], -v[6:7]
	v_fmac_f64_e32 v[206:207], v[4:5], v[202:203]
	scratch_store_dwordx4 off, v[204:207], off offset:256
.LBB63_1009:
	s_or_b64 exec, exec, s[2:3]
	scratch_load_dwordx4 v[2:5], v184, off
	v_cmp_gt_u32_e32 vcc, 17, v0
	s_waitcnt vmcnt(0)
	ds_write_b128 v9, v[2:5]
	s_waitcnt lgkmcnt(0)
	; wave barrier
	s_waitcnt lgkmcnt(0)
	s_and_saveexec_b64 s[2:3], vcc
	s_cbranch_execz .LBB63_1017
; %bb.1010:
	ds_read_b128 v[2:5], v9
	s_and_b64 vcc, exec, s[0:1]
	s_cbranch_vccnz .LBB63_1012
; %bb.1011:
	scratch_load_dwordx4 v[202:205], v8, off
	s_waitcnt vmcnt(0) lgkmcnt(0)
	v_mul_f64 v[10:11], v[2:3], v[204:205]
	v_mul_f64 v[6:7], v[4:5], v[204:205]
	v_fmac_f64_e32 v[10:11], v[4:5], v[202:203]
	v_fma_f64 v[2:3], v[2:3], v[202:203], -v[6:7]
	v_mov_b64_e32 v[4:5], v[10:11]
.LBB63_1012:
	v_cmp_ne_u32_e32 vcc, 16, v0
	s_and_saveexec_b64 s[4:5], vcc
	s_cbranch_execz .LBB63_1016
; %bb.1013:
	v_mov_b32_e32 v7, 0
	v_add_u32_e32 v6, 0x410, v116
	v_add3_u32 v7, v116, v7, 24
	s_mov_b64 s[6:7], 0
	v_mov_b32_e32 v201, v0
.LBB63_1014:                            ; =>This Inner Loop Header: Depth=1
	v_add_u32_e32 v10, -8, v7
	scratch_load_dwordx4 v[202:205], v10, off
	ds_read_b128 v[206:209], v6
	v_add_u32_e32 v201, 1, v201
	v_cmp_lt_u32_e32 vcc, 15, v201
	v_add_u32_e32 v6, 16, v6
	v_add_u32_e32 v7, 16, v7
	s_or_b64 s[6:7], vcc, s[6:7]
	s_waitcnt vmcnt(0) lgkmcnt(0)
	v_mul_f64 v[10:11], v[208:209], v[204:205]
	v_mul_f64 v[12:13], v[206:207], v[204:205]
	v_fma_f64 v[10:11], v[206:207], v[202:203], -v[10:11]
	v_fmac_f64_e32 v[12:13], v[208:209], v[202:203]
	v_add_f64 v[2:3], v[2:3], v[10:11]
	v_add_f64 v[4:5], v[4:5], v[12:13]
	s_andn2_b64 exec, exec, s[6:7]
	s_cbranch_execnz .LBB63_1014
; %bb.1015:
	s_or_b64 exec, exec, s[6:7]
.LBB63_1016:
	s_or_b64 exec, exec, s[4:5]
	v_mov_b32_e32 v6, 0
	ds_read_b128 v[202:205], v6 offset:272
	s_waitcnt lgkmcnt(0)
	v_mul_f64 v[6:7], v[4:5], v[204:205]
	v_mul_f64 v[206:207], v[2:3], v[204:205]
	v_fma_f64 v[204:205], v[2:3], v[202:203], -v[6:7]
	v_fmac_f64_e32 v[206:207], v[4:5], v[202:203]
	scratch_store_dwordx4 off, v[204:207], off offset:272
.LBB63_1017:
	;; [unrolled: 63-line block ×46, first 2 shown]
	s_or_b64 exec, exec, s[2:3]
	scratch_load_dwordx4 v[2:5], v34, off
	v_cmp_gt_u32_e64 s[2:3], 62, v0
	s_waitcnt vmcnt(0)
	ds_write_b128 v9, v[2:5]
	s_waitcnt lgkmcnt(0)
	; wave barrier
	s_waitcnt lgkmcnt(0)
	s_and_saveexec_b64 s[4:5], s[2:3]
	s_cbranch_execz .LBB63_1377
; %bb.1370:
	ds_read_b128 v[2:5], v9
	s_and_b64 vcc, exec, s[0:1]
	s_cbranch_vccnz .LBB63_1372
; %bb.1371:
	scratch_load_dwordx4 v[202:205], v8, off
	s_waitcnt vmcnt(0) lgkmcnt(0)
	v_mul_f64 v[10:11], v[2:3], v[204:205]
	v_mul_f64 v[6:7], v[4:5], v[204:205]
	v_fmac_f64_e32 v[10:11], v[4:5], v[202:203]
	v_fma_f64 v[2:3], v[2:3], v[202:203], -v[6:7]
	v_mov_b64_e32 v[4:5], v[10:11]
.LBB63_1372:
	v_cmp_ne_u32_e32 vcc, 61, v0
	s_and_saveexec_b64 s[6:7], vcc
	s_cbranch_execz .LBB63_1376
; %bb.1373:
	v_mov_b32_e32 v7, 0
	v_add_u32_e32 v6, 0x410, v116
	v_add3_u32 v7, v116, v7, 24
	s_mov_b64 s[8:9], 0
	v_mov_b32_e32 v201, v0
.LBB63_1374:                            ; =>This Inner Loop Header: Depth=1
	v_add_u32_e32 v10, -8, v7
	scratch_load_dwordx4 v[202:205], v10, off
	ds_read_b128 v[206:209], v6
	v_add_u32_e32 v201, 1, v201
	v_cmp_lt_u32_e32 vcc, 60, v201
	v_add_u32_e32 v6, 16, v6
	v_add_u32_e32 v7, 16, v7
	s_or_b64 s[8:9], vcc, s[8:9]
	s_waitcnt vmcnt(0) lgkmcnt(0)
	v_mul_f64 v[10:11], v[208:209], v[204:205]
	v_mul_f64 v[12:13], v[206:207], v[204:205]
	v_fma_f64 v[10:11], v[206:207], v[202:203], -v[10:11]
	v_fmac_f64_e32 v[12:13], v[208:209], v[202:203]
	v_add_f64 v[2:3], v[2:3], v[10:11]
	v_add_f64 v[4:5], v[4:5], v[12:13]
	s_andn2_b64 exec, exec, s[8:9]
	s_cbranch_execnz .LBB63_1374
; %bb.1375:
	s_or_b64 exec, exec, s[8:9]
.LBB63_1376:
	s_or_b64 exec, exec, s[6:7]
	v_mov_b32_e32 v6, 0
	ds_read_b128 v[202:205], v6 offset:992
	s_waitcnt lgkmcnt(0)
	v_mul_f64 v[6:7], v[4:5], v[204:205]
	v_mul_f64 v[206:207], v[2:3], v[204:205]
	v_fma_f64 v[204:205], v[2:3], v[202:203], -v[6:7]
	v_fmac_f64_e32 v[206:207], v[4:5], v[202:203]
	scratch_store_dwordx4 off, v[204:207], off offset:992
.LBB63_1377:
	s_or_b64 exec, exec, s[4:5]
	scratch_load_dwordx4 v[2:5], v1, off
	v_cmp_ne_u32_e32 vcc, 63, v0
                                        ; implicit-def: $vgpr6_vgpr7
                                        ; implicit-def: $vgpr201
	s_waitcnt vmcnt(0)
	ds_write_b128 v9, v[2:5]
	s_waitcnt lgkmcnt(0)
	; wave barrier
	s_waitcnt lgkmcnt(0)
	s_and_saveexec_b64 s[4:5], vcc
	s_cbranch_execz .LBB63_1385
; %bb.1378:
	ds_read_b128 v[2:5], v9
	s_and_b64 vcc, exec, s[0:1]
	s_cbranch_vccnz .LBB63_1380
; %bb.1379:
	scratch_load_dwordx4 v[6:9], v8, off
	s_waitcnt vmcnt(0) lgkmcnt(0)
	v_mul_f64 v[10:11], v[4:5], v[8:9]
	v_mul_f64 v[8:9], v[2:3], v[8:9]
	v_fmac_f64_e32 v[8:9], v[4:5], v[6:7]
	v_fma_f64 v[2:3], v[2:3], v[6:7], -v[10:11]
	v_mov_b64_e32 v[4:5], v[8:9]
.LBB63_1380:
	s_and_saveexec_b64 s[0:1], s[2:3]
	s_cbranch_execz .LBB63_1384
; %bb.1381:
	v_mov_b32_e32 v7, 0
	v_add_u32_e32 v6, 0x410, v116
	v_add3_u32 v7, v116, v7, 24
	s_mov_b64 s[2:3], 0
.LBB63_1382:                            ; =>This Inner Loop Header: Depth=1
	v_add_u32_e32 v8, -8, v7
	scratch_load_dwordx4 v[202:205], v8, off
	ds_read_b128 v[206:209], v6
	v_add_u32_e32 v0, 1, v0
	v_cmp_lt_u32_e32 vcc, 61, v0
	v_add_u32_e32 v6, 16, v6
	v_add_u32_e32 v7, 16, v7
	s_or_b64 s[2:3], vcc, s[2:3]
	s_waitcnt vmcnt(0) lgkmcnt(0)
	v_mul_f64 v[8:9], v[208:209], v[204:205]
	v_mul_f64 v[10:11], v[206:207], v[204:205]
	v_fma_f64 v[8:9], v[206:207], v[202:203], -v[8:9]
	v_fmac_f64_e32 v[10:11], v[208:209], v[202:203]
	v_add_f64 v[2:3], v[2:3], v[8:9]
	v_add_f64 v[4:5], v[4:5], v[10:11]
	s_andn2_b64 exec, exec, s[2:3]
	s_cbranch_execnz .LBB63_1382
; %bb.1383:
	s_or_b64 exec, exec, s[2:3]
.LBB63_1384:
	s_or_b64 exec, exec, s[0:1]
	v_mov_b32_e32 v0, 0
	ds_read_b128 v[202:205], v0 offset:1008
	v_mov_b32_e32 v0, 0
	v_add_u32_e32 v201, 0x3f8, v0
	s_or_b64 s[10:11], s[10:11], exec
	s_waitcnt lgkmcnt(0)
	v_mul_f64 v[8:9], v[4:5], v[204:205]
	v_mul_f64 v[6:7], v[2:3], v[204:205]
	v_fma_f64 v[2:3], v[2:3], v[202:203], -v[8:9]
	v_fmac_f64_e32 v[6:7], v[4:5], v[202:203]
	scratch_store_dwordx2 off, v[2:3], off offset:1008
.LBB63_1385:
	s_or_b64 exec, exec, s[4:5]
.LBB63_1386:
	v_mov_b32_e32 v22, v145
	v_mov_b32_e32 v29, v144
	;; [unrolled: 1-line block ×4, first 2 shown]
	s_and_saveexec_b64 s[0:1], s[10:11]
	s_cbranch_execz .LBB63_1388
; %bb.1387:
	scratch_store_dwordx2 v201, v[6:7], off
.LBB63_1388:
	s_or_b64 exec, exec, s[0:1]
	scratch_load_dwordx4 v[2:5], off, off
	scratch_load_dwordx4 v[6:9], v200, off
	s_nop 0
	scratch_load_dwordx4 v[200:203], v199, off
	scratch_load_dwordx4 v[204:207], v198, off
	scratch_load_dwordx4 v[208:211], v197, off
	s_nop 0
	scratch_load_dwordx4 v[196:199], v196, off
	s_nop 0
	scratch_load_dwordx4 v[212:215], v195, off
	scratch_load_dwordx4 v[216:219], v194, off
	scratch_load_dwordx4 v[220:223], v193, off
	s_nop 0
	;; [unrolled: 6-line block ×4, first 2 shown]
	scratch_load_dwordx4 v[184:187], v184, off
	s_nop 0
	scratch_load_dwordx4 v[248:251], v183, off
	scratch_load_dwordx4 v[252:255], v182, off
	s_waitcnt vmcnt(19)
	global_store_dwordx4 v[20:21], v[2:5], off
	scratch_load_dwordx4 v[2:5], v181, off
	s_nop 0
	scratch_load_dwordx4 v[180:183], v180, off
	s_waitcnt vmcnt(21)
	global_store_dwordx4 v[18:19], v[6:9], off
	scratch_load_dwordx4 v[6:9], v179, off
	s_nop 0
	;; [unrolled: 5-line block ×19, first 2 shown]
	scratch_load_dwordx4 v[22:25], v117, off
	s_waitcnt vmcnt(57)
	global_store_dwordx4 v[26:27], v[252:255], off
	s_waitcnt vmcnt(56)
	global_store_dwordx4 v[32:33], v[2:5], off
	;; [unrolled: 2-line block ×3, first 2 shown]
	scratch_load_dwordx4 v[2:5], v29, off
	scratch_load_dwordx4 v[30:33], v28, off
	s_nop 0
	scratch_load_dwordx4 v[180:183], v0, off
	scratch_load_dwordx4 v[252:255], v35, off
	;; [unrolled: 1-line block ×3, first 2 shown]
	s_nop 0
	scratch_load_dwordx4 v[34:37], v1, off
	v_accvgpr_read_b32 v0, a2
	v_accvgpr_read_b32 v1, a3
	s_waitcnt vmcnt(61)
	global_store_dwordx4 v[0:1], v[6:9], off
	v_accvgpr_read_b32 v0, a4
	v_accvgpr_read_b32 v1, a5
	s_waitcnt vmcnt(61)
	global_store_dwordx4 v[0:1], v[18:21], off
	;; [unrolled: 4-line block ×3, first 2 shown]
	s_waitcnt vmcnt(60)
	global_store_dwordx4 v[48:49], v[176:179], off
	s_waitcnt vmcnt(59)
	global_store_dwordx4 v[52:53], v[14:17], off
	;; [unrolled: 2-line block ×38, first 2 shown]
	v_accvgpr_read_b32 v0, a0
	v_accvgpr_read_b32 v1, a1
	s_waitcnt vmcnt(41)
	global_store_dwordx4 v[0:1], v[34:37], off
.LBB63_1389:
	s_endpgm
	.section	.rodata,"a",@progbits
	.p2align	6, 0x0
	.amdhsa_kernel _ZN9rocsolver6v33100L18trti2_kernel_smallILi64E19rocblas_complex_numIdEPS3_EEv13rocblas_fill_17rocblas_diagonal_T1_iil
		.amdhsa_group_segment_fixed_size 2048
		.amdhsa_private_segment_fixed_size 1040
		.amdhsa_kernarg_size 32
		.amdhsa_user_sgpr_count 2
		.amdhsa_user_sgpr_dispatch_ptr 0
		.amdhsa_user_sgpr_queue_ptr 0
		.amdhsa_user_sgpr_kernarg_segment_ptr 1
		.amdhsa_user_sgpr_dispatch_id 0
		.amdhsa_user_sgpr_kernarg_preload_length 0
		.amdhsa_user_sgpr_kernarg_preload_offset 0
		.amdhsa_user_sgpr_private_segment_size 0
		.amdhsa_uses_dynamic_stack 0
		.amdhsa_enable_private_segment 1
		.amdhsa_system_sgpr_workgroup_id_x 1
		.amdhsa_system_sgpr_workgroup_id_y 0
		.amdhsa_system_sgpr_workgroup_id_z 0
		.amdhsa_system_sgpr_workgroup_info 0
		.amdhsa_system_vgpr_workitem_id 0
		.amdhsa_next_free_vgpr 264
		.amdhsa_next_free_sgpr 24
		.amdhsa_accum_offset 256
		.amdhsa_reserve_vcc 1
		.amdhsa_float_round_mode_32 0
		.amdhsa_float_round_mode_16_64 0
		.amdhsa_float_denorm_mode_32 3
		.amdhsa_float_denorm_mode_16_64 3
		.amdhsa_dx10_clamp 1
		.amdhsa_ieee_mode 1
		.amdhsa_fp16_overflow 0
		.amdhsa_tg_split 0
		.amdhsa_exception_fp_ieee_invalid_op 0
		.amdhsa_exception_fp_denorm_src 0
		.amdhsa_exception_fp_ieee_div_zero 0
		.amdhsa_exception_fp_ieee_overflow 0
		.amdhsa_exception_fp_ieee_underflow 0
		.amdhsa_exception_fp_ieee_inexact 0
		.amdhsa_exception_int_div_zero 0
	.end_amdhsa_kernel
	.section	.text._ZN9rocsolver6v33100L18trti2_kernel_smallILi64E19rocblas_complex_numIdEPS3_EEv13rocblas_fill_17rocblas_diagonal_T1_iil,"axG",@progbits,_ZN9rocsolver6v33100L18trti2_kernel_smallILi64E19rocblas_complex_numIdEPS3_EEv13rocblas_fill_17rocblas_diagonal_T1_iil,comdat
.Lfunc_end63:
	.size	_ZN9rocsolver6v33100L18trti2_kernel_smallILi64E19rocblas_complex_numIdEPS3_EEv13rocblas_fill_17rocblas_diagonal_T1_iil, .Lfunc_end63-_ZN9rocsolver6v33100L18trti2_kernel_smallILi64E19rocblas_complex_numIdEPS3_EEv13rocblas_fill_17rocblas_diagonal_T1_iil
                                        ; -- End function
	.section	.AMDGPU.csdata,"",@progbits
; Kernel info:
; codeLenInByte = 84312
; NumSgprs: 30
; NumVgprs: 256
; NumAgprs: 8
; TotalNumVgprs: 264
; ScratchSize: 1040
; MemoryBound: 0
; FloatMode: 240
; IeeeMode: 1
; LDSByteSize: 2048 bytes/workgroup (compile time only)
; SGPRBlocks: 3
; VGPRBlocks: 32
; NumSGPRsForWavesPerEU: 30
; NumVGPRsForWavesPerEU: 264
; AccumOffset: 256
; Occupancy: 1
; WaveLimiterHint : 0
; COMPUTE_PGM_RSRC2:SCRATCH_EN: 1
; COMPUTE_PGM_RSRC2:USER_SGPR: 2
; COMPUTE_PGM_RSRC2:TRAP_HANDLER: 0
; COMPUTE_PGM_RSRC2:TGID_X_EN: 1
; COMPUTE_PGM_RSRC2:TGID_Y_EN: 0
; COMPUTE_PGM_RSRC2:TGID_Z_EN: 0
; COMPUTE_PGM_RSRC2:TIDIG_COMP_CNT: 0
; COMPUTE_PGM_RSRC3_GFX90A:ACCUM_OFFSET: 63
; COMPUTE_PGM_RSRC3_GFX90A:TG_SPLIT: 0
	.section	.text._ZN9rocsolver6v33100L18trti2_kernel_smallILi1E19rocblas_complex_numIdEPKPS3_EEv13rocblas_fill_17rocblas_diagonal_T1_iil,"axG",@progbits,_ZN9rocsolver6v33100L18trti2_kernel_smallILi1E19rocblas_complex_numIdEPKPS3_EEv13rocblas_fill_17rocblas_diagonal_T1_iil,comdat
	.globl	_ZN9rocsolver6v33100L18trti2_kernel_smallILi1E19rocblas_complex_numIdEPKPS3_EEv13rocblas_fill_17rocblas_diagonal_T1_iil ; -- Begin function _ZN9rocsolver6v33100L18trti2_kernel_smallILi1E19rocblas_complex_numIdEPKPS3_EEv13rocblas_fill_17rocblas_diagonal_T1_iil
	.p2align	8
	.type	_ZN9rocsolver6v33100L18trti2_kernel_smallILi1E19rocblas_complex_numIdEPKPS3_EEv13rocblas_fill_17rocblas_diagonal_T1_iil,@function
_ZN9rocsolver6v33100L18trti2_kernel_smallILi1E19rocblas_complex_numIdEPKPS3_EEv13rocblas_fill_17rocblas_diagonal_T1_iil: ; @_ZN9rocsolver6v33100L18trti2_kernel_smallILi1E19rocblas_complex_numIdEPKPS3_EEv13rocblas_fill_17rocblas_diagonal_T1_iil
; %bb.0:
	v_cmp_eq_u32_e32 vcc, 0, v0
	s_and_saveexec_b64 s[4:5], vcc
	s_cbranch_execz .LBB64_7
; %bb.1:
	s_load_dword s4, s[0:1], 0x10
	s_load_dwordx2 s[6:7], s[0:1], 0x8
	s_ashr_i32 s3, s2, 31
	s_lshl_b64 s[2:3], s[2:3], 3
	s_waitcnt lgkmcnt(0)
	s_ashr_i32 s5, s4, 31
	s_add_u32 s2, s6, s2
	s_addc_u32 s3, s7, s3
	s_load_dwordx2 s[6:7], s[2:3], 0x0
	s_load_dword s8, s[0:1], 0x4
	s_lshl_b64 s[0:1], s[4:5], 4
	s_waitcnt lgkmcnt(0)
	s_add_u32 s4, s6, s0
	s_addc_u32 s5, s7, s1
	s_load_dwordx4 s[0:3], s[4:5], 0x0
	s_cmpk_eq_i32 s8, 0x84
	s_waitcnt lgkmcnt(0)
	v_mov_b64_e32 v[2:3], s[2:3]
	v_mov_b64_e32 v[0:1], s[0:1]
	s_cbranch_scc1 .LBB64_6
; %bb.2:
	v_cmp_lt_f64_e64 s[8:9], s[0:1], 0
	s_xor_b32 s10, s1, 0x80000000
	s_and_b64 s[8:9], s[8:9], exec
	s_cselect_b32 s9, s10, s1
	s_cselect_b32 s8, s0, s0
	v_cmp_lt_f64_e64 s[10:11], s[2:3], 0
	s_xor_b32 s12, s3, 0x80000000
	s_and_b64 s[10:11], s[10:11], exec
	s_cselect_b32 s10, s12, s3
	s_cselect_b32 s11, s2, s2
	v_mov_b32_e32 v0, s11
	v_mov_b32_e32 v1, s10
	v_cmp_ngt_f64_e32 vcc, s[8:9], v[0:1]
	s_mov_b64 s[6:7], 0
	s_cbranch_vccz .LBB64_4
; %bb.3:
	v_mov_b64_e32 v[0:1], s[0:1]
	v_div_scale_f64 v[2:3], s[8:9], s[2:3], s[2:3], v[0:1]
	v_rcp_f64_e32 v[4:5], v[2:3]
	v_mov_b64_e32 v[6:7], s[2:3]
	v_fma_f64 v[8:9], -v[2:3], v[4:5], 1.0
	v_fmac_f64_e32 v[4:5], v[4:5], v[8:9]
	v_fma_f64 v[8:9], -v[2:3], v[4:5], 1.0
	v_fmac_f64_e32 v[4:5], v[4:5], v[8:9]
	v_div_scale_f64 v[8:9], vcc, s[0:1], v[6:7], s[0:1]
	v_mul_f64 v[10:11], v[8:9], v[4:5]
	v_fma_f64 v[2:3], -v[2:3], v[10:11], v[8:9]
	s_nop 1
	v_div_fmas_f64 v[2:3], v[2:3], v[4:5], v[10:11]
	v_div_fixup_f64 v[0:1], v[2:3], s[2:3], v[0:1]
	v_fma_f64 v[2:3], s[0:1], v[0:1], v[6:7]
	v_div_scale_f64 v[4:5], s[8:9], v[2:3], v[2:3], 1.0
	v_rcp_f64_e32 v[6:7], v[4:5]
	s_nop 0
	v_fma_f64 v[8:9], -v[4:5], v[6:7], 1.0
	v_fmac_f64_e32 v[6:7], v[6:7], v[8:9]
	v_fma_f64 v[8:9], -v[4:5], v[6:7], 1.0
	v_fmac_f64_e32 v[6:7], v[6:7], v[8:9]
	v_div_scale_f64 v[8:9], vcc, 1.0, v[2:3], 1.0
	v_mul_f64 v[10:11], v[8:9], v[6:7]
	v_fma_f64 v[4:5], -v[4:5], v[10:11], v[8:9]
	s_nop 1
	v_div_fmas_f64 v[4:5], v[4:5], v[6:7], v[10:11]
	v_div_fixup_f64 v[2:3], v[4:5], v[2:3], 1.0
	v_mul_f64 v[0:1], v[0:1], v[2:3]
	v_xor_b32_e32 v3, 0x80000000, v3
	s_andn2_b64 vcc, exec, s[6:7]
	s_cbranch_vccz .LBB64_5
	s_branch .LBB64_6
.LBB64_4:
                                        ; implicit-def: $vgpr0_vgpr1
.LBB64_5:
	v_mov_b64_e32 v[0:1], s[2:3]
	v_div_scale_f64 v[2:3], s[6:7], s[0:1], s[0:1], v[0:1]
	v_rcp_f64_e32 v[4:5], v[2:3]
	v_mov_b64_e32 v[6:7], s[0:1]
	v_fma_f64 v[8:9], -v[2:3], v[4:5], 1.0
	v_fmac_f64_e32 v[4:5], v[4:5], v[8:9]
	v_fma_f64 v[8:9], -v[2:3], v[4:5], 1.0
	v_fmac_f64_e32 v[4:5], v[4:5], v[8:9]
	v_div_scale_f64 v[8:9], vcc, s[2:3], v[6:7], s[2:3]
	v_mul_f64 v[10:11], v[8:9], v[4:5]
	v_fma_f64 v[2:3], -v[2:3], v[10:11], v[8:9]
	s_nop 1
	v_div_fmas_f64 v[2:3], v[2:3], v[4:5], v[10:11]
	v_div_fixup_f64 v[2:3], v[2:3], s[0:1], v[0:1]
	v_fma_f64 v[0:1], s[2:3], v[2:3], v[6:7]
	v_div_scale_f64 v[4:5], s[0:1], v[0:1], v[0:1], 1.0
	v_rcp_f64_e32 v[6:7], v[4:5]
	s_nop 0
	v_fma_f64 v[8:9], -v[4:5], v[6:7], 1.0
	v_fmac_f64_e32 v[6:7], v[6:7], v[8:9]
	v_fma_f64 v[8:9], -v[4:5], v[6:7], 1.0
	v_fmac_f64_e32 v[6:7], v[6:7], v[8:9]
	v_div_scale_f64 v[8:9], vcc, 1.0, v[0:1], 1.0
	v_mul_f64 v[10:11], v[8:9], v[6:7]
	v_fma_f64 v[4:5], -v[4:5], v[10:11], v[8:9]
	s_nop 1
	v_div_fmas_f64 v[4:5], v[4:5], v[6:7], v[10:11]
	v_div_fixup_f64 v[0:1], v[4:5], v[0:1], 1.0
	v_mul_f64 v[2:3], v[2:3], -v[0:1]
.LBB64_6:
	v_mov_b32_e32 v4, 0
	global_store_dwordx4 v4, v[0:3], s[4:5]
.LBB64_7:
	s_endpgm
	.section	.rodata,"a",@progbits
	.p2align	6, 0x0
	.amdhsa_kernel _ZN9rocsolver6v33100L18trti2_kernel_smallILi1E19rocblas_complex_numIdEPKPS3_EEv13rocblas_fill_17rocblas_diagonal_T1_iil
		.amdhsa_group_segment_fixed_size 0
		.amdhsa_private_segment_fixed_size 0
		.amdhsa_kernarg_size 32
		.amdhsa_user_sgpr_count 2
		.amdhsa_user_sgpr_dispatch_ptr 0
		.amdhsa_user_sgpr_queue_ptr 0
		.amdhsa_user_sgpr_kernarg_segment_ptr 1
		.amdhsa_user_sgpr_dispatch_id 0
		.amdhsa_user_sgpr_kernarg_preload_length 0
		.amdhsa_user_sgpr_kernarg_preload_offset 0
		.amdhsa_user_sgpr_private_segment_size 0
		.amdhsa_uses_dynamic_stack 0
		.amdhsa_enable_private_segment 0
		.amdhsa_system_sgpr_workgroup_id_x 1
		.amdhsa_system_sgpr_workgroup_id_y 0
		.amdhsa_system_sgpr_workgroup_id_z 0
		.amdhsa_system_sgpr_workgroup_info 0
		.amdhsa_system_vgpr_workitem_id 0
		.amdhsa_next_free_vgpr 12
		.amdhsa_next_free_sgpr 13
		.amdhsa_accum_offset 12
		.amdhsa_reserve_vcc 1
		.amdhsa_float_round_mode_32 0
		.amdhsa_float_round_mode_16_64 0
		.amdhsa_float_denorm_mode_32 3
		.amdhsa_float_denorm_mode_16_64 3
		.amdhsa_dx10_clamp 1
		.amdhsa_ieee_mode 1
		.amdhsa_fp16_overflow 0
		.amdhsa_tg_split 0
		.amdhsa_exception_fp_ieee_invalid_op 0
		.amdhsa_exception_fp_denorm_src 0
		.amdhsa_exception_fp_ieee_div_zero 0
		.amdhsa_exception_fp_ieee_overflow 0
		.amdhsa_exception_fp_ieee_underflow 0
		.amdhsa_exception_fp_ieee_inexact 0
		.amdhsa_exception_int_div_zero 0
	.end_amdhsa_kernel
	.section	.text._ZN9rocsolver6v33100L18trti2_kernel_smallILi1E19rocblas_complex_numIdEPKPS3_EEv13rocblas_fill_17rocblas_diagonal_T1_iil,"axG",@progbits,_ZN9rocsolver6v33100L18trti2_kernel_smallILi1E19rocblas_complex_numIdEPKPS3_EEv13rocblas_fill_17rocblas_diagonal_T1_iil,comdat
.Lfunc_end64:
	.size	_ZN9rocsolver6v33100L18trti2_kernel_smallILi1E19rocblas_complex_numIdEPKPS3_EEv13rocblas_fill_17rocblas_diagonal_T1_iil, .Lfunc_end64-_ZN9rocsolver6v33100L18trti2_kernel_smallILi1E19rocblas_complex_numIdEPKPS3_EEv13rocblas_fill_17rocblas_diagonal_T1_iil
                                        ; -- End function
	.section	.AMDGPU.csdata,"",@progbits
; Kernel info:
; codeLenInByte = 600
; NumSgprs: 19
; NumVgprs: 12
; NumAgprs: 0
; TotalNumVgprs: 12
; ScratchSize: 0
; MemoryBound: 0
; FloatMode: 240
; IeeeMode: 1
; LDSByteSize: 0 bytes/workgroup (compile time only)
; SGPRBlocks: 2
; VGPRBlocks: 1
; NumSGPRsForWavesPerEU: 19
; NumVGPRsForWavesPerEU: 12
; AccumOffset: 12
; Occupancy: 8
; WaveLimiterHint : 1
; COMPUTE_PGM_RSRC2:SCRATCH_EN: 0
; COMPUTE_PGM_RSRC2:USER_SGPR: 2
; COMPUTE_PGM_RSRC2:TRAP_HANDLER: 0
; COMPUTE_PGM_RSRC2:TGID_X_EN: 1
; COMPUTE_PGM_RSRC2:TGID_Y_EN: 0
; COMPUTE_PGM_RSRC2:TGID_Z_EN: 0
; COMPUTE_PGM_RSRC2:TIDIG_COMP_CNT: 0
; COMPUTE_PGM_RSRC3_GFX90A:ACCUM_OFFSET: 2
; COMPUTE_PGM_RSRC3_GFX90A:TG_SPLIT: 0
	.section	.text._ZN9rocsolver6v33100L18trti2_kernel_smallILi2E19rocblas_complex_numIdEPKPS3_EEv13rocblas_fill_17rocblas_diagonal_T1_iil,"axG",@progbits,_ZN9rocsolver6v33100L18trti2_kernel_smallILi2E19rocblas_complex_numIdEPKPS3_EEv13rocblas_fill_17rocblas_diagonal_T1_iil,comdat
	.globl	_ZN9rocsolver6v33100L18trti2_kernel_smallILi2E19rocblas_complex_numIdEPKPS3_EEv13rocblas_fill_17rocblas_diagonal_T1_iil ; -- Begin function _ZN9rocsolver6v33100L18trti2_kernel_smallILi2E19rocblas_complex_numIdEPKPS3_EEv13rocblas_fill_17rocblas_diagonal_T1_iil
	.p2align	8
	.type	_ZN9rocsolver6v33100L18trti2_kernel_smallILi2E19rocblas_complex_numIdEPKPS3_EEv13rocblas_fill_17rocblas_diagonal_T1_iil,@function
_ZN9rocsolver6v33100L18trti2_kernel_smallILi2E19rocblas_complex_numIdEPKPS3_EEv13rocblas_fill_17rocblas_diagonal_T1_iil: ; @_ZN9rocsolver6v33100L18trti2_kernel_smallILi2E19rocblas_complex_numIdEPKPS3_EEv13rocblas_fill_17rocblas_diagonal_T1_iil
; %bb.0:
	v_cmp_gt_u32_e32 vcc, 2, v0
	s_and_saveexec_b64 s[4:5], vcc
	s_cbranch_execz .LBB65_19
; %bb.1:
	s_load_dwordx2 s[8:9], s[0:1], 0x10
	s_load_dwordx4 s[4:7], s[0:1], 0x0
	s_ashr_i32 s3, s2, 31
	s_lshl_b64 s[0:1], s[2:3], 3
	v_lshlrev_b32_e32 v18, 4, v0
	s_waitcnt lgkmcnt(0)
	s_ashr_i32 s3, s8, 31
	s_add_u32 s0, s6, s0
	s_addc_u32 s1, s7, s1
	s_load_dwordx2 s[0:1], s[0:1], 0x0
	s_mov_b32 s2, s8
	s_lshl_b64 s[2:3], s[2:3], 4
	v_mov_b32_e32 v19, 0
	v_mov_b32_e32 v1, 0
	s_waitcnt lgkmcnt(0)
	s_add_u32 s0, s0, s2
	s_addc_u32 s1, s1, s3
	s_ashr_i32 s3, s9, 31
	v_lshl_add_u64 v[14:15], s[0:1], 0, v[18:19]
	s_mov_b32 s2, s9
	v_lshl_add_u64 v[16:17], s[2:3], 4, v[14:15]
	global_load_dwordx4 v[2:5], v18, s[0:1]
	global_load_dwordx4 v[6:9], v[16:17], off
	s_cmpk_eq_i32 s5, 0x84
	s_cselect_b64 s[0:1], -1, 0
	s_and_b64 vcc, exec, s[0:1]
	s_waitcnt vmcnt(1)
	scratch_store_dwordx4 off, v[2:5], off
	s_waitcnt vmcnt(1)
	scratch_store_dwordx4 off, v[6:9], off offset:16
	s_cbranch_vccnz .LBB65_7
; %bb.2:
	scratch_load_dwordx4 v[2:5], v18, off
                                        ; implicit-def: $vgpr10_vgpr11
	s_waitcnt vmcnt(0)
	v_xor_b32_e32 v7, 0x80000000, v3
	v_cmp_gt_f64_e32 vcc, 0, v[2:3]
	v_xor_b32_e32 v8, 0x80000000, v5
	v_mov_b32_e32 v6, v2
	v_cndmask_b32_e32 v7, v3, v7, vcc
	v_cmp_gt_f64_e32 vcc, 0, v[4:5]
	s_nop 1
	v_cndmask_b32_e32 v9, v5, v8, vcc
	v_mov_b32_e32 v8, v4
	v_cmp_ngt_f64_e32 vcc, v[6:7], v[8:9]
                                        ; implicit-def: $vgpr6_vgpr7
	s_and_saveexec_b64 s[2:3], vcc
	s_xor_b64 s[2:3], exec, s[2:3]
	s_cbranch_execz .LBB65_4
; %bb.3:
	v_div_scale_f64 v[6:7], s[6:7], v[4:5], v[4:5], v[2:3]
	v_rcp_f64_e32 v[8:9], v[6:7]
	v_div_scale_f64 v[10:11], vcc, v[2:3], v[4:5], v[2:3]
	v_fma_f64 v[12:13], -v[6:7], v[8:9], 1.0
	v_fmac_f64_e32 v[8:9], v[8:9], v[12:13]
	v_fma_f64 v[12:13], -v[6:7], v[8:9], 1.0
	v_fmac_f64_e32 v[8:9], v[8:9], v[12:13]
	v_mul_f64 v[12:13], v[10:11], v[8:9]
	v_fma_f64 v[6:7], -v[6:7], v[12:13], v[10:11]
	v_div_fmas_f64 v[6:7], v[6:7], v[8:9], v[12:13]
	v_div_fixup_f64 v[6:7], v[6:7], v[4:5], v[2:3]
	v_fmac_f64_e32 v[4:5], v[2:3], v[6:7]
	v_div_scale_f64 v[2:3], s[6:7], v[4:5], v[4:5], 1.0
	v_rcp_f64_e32 v[8:9], v[2:3]
	s_nop 0
	v_fma_f64 v[10:11], -v[2:3], v[8:9], 1.0
	v_fmac_f64_e32 v[8:9], v[8:9], v[10:11]
	v_fma_f64 v[10:11], -v[2:3], v[8:9], 1.0
	v_fmac_f64_e32 v[8:9], v[8:9], v[10:11]
	v_div_scale_f64 v[10:11], vcc, 1.0, v[4:5], 1.0
	v_mul_f64 v[12:13], v[10:11], v[8:9]
	v_fma_f64 v[2:3], -v[2:3], v[12:13], v[10:11]
	s_nop 1
	v_div_fmas_f64 v[2:3], v[2:3], v[8:9], v[12:13]
	v_div_fixup_f64 v[8:9], v[2:3], v[4:5], 1.0
	v_mul_f64 v[6:7], v[6:7], v[8:9]
	v_xor_b32_e32 v9, 0x80000000, v9
	v_xor_b32_e32 v11, 0x80000000, v7
	v_mov_b32_e32 v10, v6
                                        ; implicit-def: $vgpr2_vgpr3
.LBB65_4:
	s_or_saveexec_b64 s[2:3], s[2:3]
	v_add_u32_e32 v12, 0, v18
	s_xor_b64 exec, exec, s[2:3]
	s_cbranch_execz .LBB65_6
; %bb.5:
	v_div_scale_f64 v[6:7], s[6:7], v[2:3], v[2:3], v[4:5]
	v_rcp_f64_e32 v[8:9], v[6:7]
	v_div_scale_f64 v[10:11], vcc, v[4:5], v[2:3], v[4:5]
	v_fma_f64 v[20:21], -v[6:7], v[8:9], 1.0
	v_fmac_f64_e32 v[8:9], v[8:9], v[20:21]
	v_fma_f64 v[20:21], -v[6:7], v[8:9], 1.0
	v_fmac_f64_e32 v[8:9], v[8:9], v[20:21]
	v_mul_f64 v[20:21], v[10:11], v[8:9]
	v_fma_f64 v[6:7], -v[6:7], v[20:21], v[10:11]
	v_div_fmas_f64 v[6:7], v[6:7], v[8:9], v[20:21]
	v_div_fixup_f64 v[8:9], v[6:7], v[2:3], v[4:5]
	v_fmac_f64_e32 v[2:3], v[4:5], v[8:9]
	v_div_scale_f64 v[4:5], s[6:7], v[2:3], v[2:3], 1.0
	v_rcp_f64_e32 v[6:7], v[4:5]
	s_nop 0
	v_fma_f64 v[10:11], -v[4:5], v[6:7], 1.0
	v_fmac_f64_e32 v[6:7], v[6:7], v[10:11]
	v_fma_f64 v[10:11], -v[4:5], v[6:7], 1.0
	v_fmac_f64_e32 v[6:7], v[6:7], v[10:11]
	v_div_scale_f64 v[10:11], vcc, 1.0, v[2:3], 1.0
	v_mul_f64 v[20:21], v[10:11], v[6:7]
	v_fma_f64 v[4:5], -v[4:5], v[20:21], v[10:11]
	s_nop 1
	v_div_fmas_f64 v[4:5], v[4:5], v[6:7], v[20:21]
	v_div_fixup_f64 v[6:7], v[4:5], v[2:3], 1.0
	v_xor_b32_e32 v11, 0x80000000, v7
	v_mov_b32_e32 v10, v6
	v_mul_f64 v[8:9], v[8:9], -v[6:7]
.LBB65_6:
	s_or_b64 exec, exec, s[2:3]
	scratch_store_dwordx4 v12, v[6:9], off
	s_nop 1
	v_xor_b32_e32 v9, 0x80000000, v9
	s_branch .LBB65_8
.LBB65_7:
	s_nop 0
	v_mov_b64_e32 v[8:9], 0
	v_mov_b64_e32 v[10:11], -1.0
.LBB65_8:
	v_add_u32_e32 v1, 16, v1
	v_mov_b32_e32 v12, v8
	v_mov_b32_e32 v13, v9
	s_cmpk_lg_i32 s4, 0x79
	v_add_u32_e32 v4, 32, v18
	ds_write_b128 v18, v[10:13]
	s_cbranch_scc0 .LBB65_12
; %bb.9:
	scratch_load_dwordx4 v[6:9], off, off
	v_cmp_eq_u32_e32 vcc, 1, v0
	s_mov_b64 s[4:5], 0
	s_mov_b64 s[2:3], 0
                                        ; implicit-def: $vgpr2_vgpr3
                                        ; implicit-def: $vgpr5
	s_waitcnt vmcnt(0)
	ds_write_b128 v4, v[6:9]
	s_waitcnt lgkmcnt(0)
	; wave barrier
	s_waitcnt lgkmcnt(0)
	s_and_saveexec_b64 s[6:7], vcc
	s_xor_b64 s[6:7], exec, s[6:7]
	s_cbranch_execz .LBB65_11
; %bb.10:
	scratch_load_dwordx4 v[6:9], off, off offset:16
	ds_read_b128 v[10:13], v4
	v_mov_b32_e32 v3, 0
	ds_read_b128 v[18:21], v3
	v_mov_b32_e32 v2, 0
	v_or_b32_e32 v5, 8, v2
	s_mov_b64 s[2:3], exec
	s_waitcnt vmcnt(0) lgkmcnt(1)
	v_mul_f64 v[2:3], v[12:13], v[8:9]
	v_mul_f64 v[8:9], v[10:11], v[8:9]
	v_fmac_f64_e32 v[8:9], v[12:13], v[6:7]
	v_fma_f64 v[2:3], v[10:11], v[6:7], -v[2:3]
	v_cndmask_b32_e64 v7, v9, v13, s[0:1]
	v_cndmask_b32_e64 v6, v8, v12, s[0:1]
	;; [unrolled: 1-line block ×4, first 2 shown]
	s_waitcnt lgkmcnt(0)
	v_mul_f64 v[10:11], v[6:7], v[20:21]
	v_mul_f64 v[2:3], v[8:9], v[20:21]
	v_fma_f64 v[8:9], v[8:9], v[18:19], -v[10:11]
	v_fmac_f64_e32 v[2:3], v[6:7], v[18:19]
	scratch_store_dwordx2 off, v[8:9], off
.LBB65_11:
	s_or_b64 exec, exec, s[6:7]
	s_and_b64 vcc, exec, s[4:5]
	s_cbranch_vccnz .LBB65_13
	s_branch .LBB65_16
.LBB65_12:
	s_mov_b64 s[2:3], 0
                                        ; implicit-def: $vgpr2_vgpr3
                                        ; implicit-def: $vgpr5
	s_cbranch_execz .LBB65_16
.LBB65_13:
	scratch_load_dwordx4 v[6:9], v1, off
	v_cmp_eq_u32_e32 vcc, 0, v0
                                        ; implicit-def: $vgpr2_vgpr3
                                        ; implicit-def: $vgpr5
	s_waitcnt vmcnt(0)
	ds_write_b128 v4, v[6:9]
	s_waitcnt lgkmcnt(0)
	; wave barrier
	s_waitcnt lgkmcnt(0)
	s_and_saveexec_b64 s[4:5], vcc
	s_cbranch_execz .LBB65_15
; %bb.14:
	scratch_load_dwordx4 v[6:9], off, off
	ds_read_b128 v[10:13], v4
	v_mov_b32_e32 v2, 0
	ds_read_b128 v[18:21], v2 offset:16
	v_mov_b32_e32 v0, 0
	v_add_u32_e32 v5, 24, v0
	s_or_b64 s[2:3], s[2:3], exec
	s_waitcnt vmcnt(0) lgkmcnt(1)
	v_mul_f64 v[2:3], v[12:13], v[8:9]
	v_mul_f64 v[8:9], v[10:11], v[8:9]
	v_fmac_f64_e32 v[8:9], v[12:13], v[6:7]
	v_fma_f64 v[2:3], v[10:11], v[6:7], -v[2:3]
	v_cndmask_b32_e64 v9, v9, v13, s[0:1]
	v_cndmask_b32_e64 v8, v8, v12, s[0:1]
	;; [unrolled: 1-line block ×4, first 2 shown]
	s_waitcnt lgkmcnt(0)
	v_mul_f64 v[10:11], v[8:9], v[20:21]
	v_mul_f64 v[2:3], v[6:7], v[20:21]
	v_fma_f64 v[6:7], v[6:7], v[18:19], -v[10:11]
	v_fmac_f64_e32 v[2:3], v[8:9], v[18:19]
	scratch_store_dwordx2 off, v[6:7], off offset:16
.LBB65_15:
	s_or_b64 exec, exec, s[4:5]
.LBB65_16:
	s_and_saveexec_b64 s[0:1], s[2:3]
	s_cbranch_execz .LBB65_18
; %bb.17:
	scratch_store_dwordx2 v5, v[2:3], off
.LBB65_18:
	s_or_b64 exec, exec, s[0:1]
	scratch_load_dwordx4 v[2:5], off, off
	scratch_load_dwordx4 v[6:9], v1, off
	s_waitcnt vmcnt(1)
	global_store_dwordx4 v[14:15], v[2:5], off
	s_waitcnt vmcnt(1)
	global_store_dwordx4 v[16:17], v[6:9], off
.LBB65_19:
	s_endpgm
	.section	.rodata,"a",@progbits
	.p2align	6, 0x0
	.amdhsa_kernel _ZN9rocsolver6v33100L18trti2_kernel_smallILi2E19rocblas_complex_numIdEPKPS3_EEv13rocblas_fill_17rocblas_diagonal_T1_iil
		.amdhsa_group_segment_fixed_size 64
		.amdhsa_private_segment_fixed_size 48
		.amdhsa_kernarg_size 32
		.amdhsa_user_sgpr_count 2
		.amdhsa_user_sgpr_dispatch_ptr 0
		.amdhsa_user_sgpr_queue_ptr 0
		.amdhsa_user_sgpr_kernarg_segment_ptr 1
		.amdhsa_user_sgpr_dispatch_id 0
		.amdhsa_user_sgpr_kernarg_preload_length 0
		.amdhsa_user_sgpr_kernarg_preload_offset 0
		.amdhsa_user_sgpr_private_segment_size 0
		.amdhsa_uses_dynamic_stack 0
		.amdhsa_enable_private_segment 1
		.amdhsa_system_sgpr_workgroup_id_x 1
		.amdhsa_system_sgpr_workgroup_id_y 0
		.amdhsa_system_sgpr_workgroup_id_z 0
		.amdhsa_system_sgpr_workgroup_info 0
		.amdhsa_system_vgpr_workitem_id 0
		.amdhsa_next_free_vgpr 22
		.amdhsa_next_free_sgpr 10
		.amdhsa_accum_offset 24
		.amdhsa_reserve_vcc 1
		.amdhsa_float_round_mode_32 0
		.amdhsa_float_round_mode_16_64 0
		.amdhsa_float_denorm_mode_32 3
		.amdhsa_float_denorm_mode_16_64 3
		.amdhsa_dx10_clamp 1
		.amdhsa_ieee_mode 1
		.amdhsa_fp16_overflow 0
		.amdhsa_tg_split 0
		.amdhsa_exception_fp_ieee_invalid_op 0
		.amdhsa_exception_fp_denorm_src 0
		.amdhsa_exception_fp_ieee_div_zero 0
		.amdhsa_exception_fp_ieee_overflow 0
		.amdhsa_exception_fp_ieee_underflow 0
		.amdhsa_exception_fp_ieee_inexact 0
		.amdhsa_exception_int_div_zero 0
	.end_amdhsa_kernel
	.section	.text._ZN9rocsolver6v33100L18trti2_kernel_smallILi2E19rocblas_complex_numIdEPKPS3_EEv13rocblas_fill_17rocblas_diagonal_T1_iil,"axG",@progbits,_ZN9rocsolver6v33100L18trti2_kernel_smallILi2E19rocblas_complex_numIdEPKPS3_EEv13rocblas_fill_17rocblas_diagonal_T1_iil,comdat
.Lfunc_end65:
	.size	_ZN9rocsolver6v33100L18trti2_kernel_smallILi2E19rocblas_complex_numIdEPKPS3_EEv13rocblas_fill_17rocblas_diagonal_T1_iil, .Lfunc_end65-_ZN9rocsolver6v33100L18trti2_kernel_smallILi2E19rocblas_complex_numIdEPKPS3_EEv13rocblas_fill_17rocblas_diagonal_T1_iil
                                        ; -- End function
	.section	.AMDGPU.csdata,"",@progbits
; Kernel info:
; codeLenInByte = 1180
; NumSgprs: 16
; NumVgprs: 22
; NumAgprs: 0
; TotalNumVgprs: 22
; ScratchSize: 48
; MemoryBound: 0
; FloatMode: 240
; IeeeMode: 1
; LDSByteSize: 64 bytes/workgroup (compile time only)
; SGPRBlocks: 1
; VGPRBlocks: 2
; NumSGPRsForWavesPerEU: 16
; NumVGPRsForWavesPerEU: 22
; AccumOffset: 24
; Occupancy: 8
; WaveLimiterHint : 1
; COMPUTE_PGM_RSRC2:SCRATCH_EN: 1
; COMPUTE_PGM_RSRC2:USER_SGPR: 2
; COMPUTE_PGM_RSRC2:TRAP_HANDLER: 0
; COMPUTE_PGM_RSRC2:TGID_X_EN: 1
; COMPUTE_PGM_RSRC2:TGID_Y_EN: 0
; COMPUTE_PGM_RSRC2:TGID_Z_EN: 0
; COMPUTE_PGM_RSRC2:TIDIG_COMP_CNT: 0
; COMPUTE_PGM_RSRC3_GFX90A:ACCUM_OFFSET: 5
; COMPUTE_PGM_RSRC3_GFX90A:TG_SPLIT: 0
	.section	.text._ZN9rocsolver6v33100L18trti2_kernel_smallILi3E19rocblas_complex_numIdEPKPS3_EEv13rocblas_fill_17rocblas_diagonal_T1_iil,"axG",@progbits,_ZN9rocsolver6v33100L18trti2_kernel_smallILi3E19rocblas_complex_numIdEPKPS3_EEv13rocblas_fill_17rocblas_diagonal_T1_iil,comdat
	.globl	_ZN9rocsolver6v33100L18trti2_kernel_smallILi3E19rocblas_complex_numIdEPKPS3_EEv13rocblas_fill_17rocblas_diagonal_T1_iil ; -- Begin function _ZN9rocsolver6v33100L18trti2_kernel_smallILi3E19rocblas_complex_numIdEPKPS3_EEv13rocblas_fill_17rocblas_diagonal_T1_iil
	.p2align	8
	.type	_ZN9rocsolver6v33100L18trti2_kernel_smallILi3E19rocblas_complex_numIdEPKPS3_EEv13rocblas_fill_17rocblas_diagonal_T1_iil,@function
_ZN9rocsolver6v33100L18trti2_kernel_smallILi3E19rocblas_complex_numIdEPKPS3_EEv13rocblas_fill_17rocblas_diagonal_T1_iil: ; @_ZN9rocsolver6v33100L18trti2_kernel_smallILi3E19rocblas_complex_numIdEPKPS3_EEv13rocblas_fill_17rocblas_diagonal_T1_iil
; %bb.0:
	v_cmp_gt_u32_e32 vcc, 3, v0
	s_and_saveexec_b64 s[4:5], vcc
	s_cbranch_execz .LBB66_35
; %bb.1:
	s_load_dwordx2 s[8:9], s[0:1], 0x10
	s_load_dwordx4 s[4:7], s[0:1], 0x0
	s_ashr_i32 s3, s2, 31
	s_lshl_b64 s[0:1], s[2:3], 3
	v_lshlrev_b32_e32 v20, 4, v0
	s_waitcnt lgkmcnt(0)
	s_ashr_i32 s3, s8, 31
	s_add_u32 s0, s6, s0
	s_addc_u32 s1, s7, s1
	s_load_dwordx2 s[0:1], s[0:1], 0x0
	s_mov_b32 s2, s8
	s_lshl_b64 s[2:3], s[2:3], 4
	v_mov_b32_e32 v21, 0
	v_mov_b32_e32 v1, 0
	s_waitcnt lgkmcnt(0)
	s_add_u32 s0, s0, s2
	s_addc_u32 s1, s1, s3
	v_lshl_add_u64 v[14:15], s[0:1], 0, v[20:21]
	s_ashr_i32 s3, s9, 31
	s_mov_b32 s2, s9
	v_lshl_add_u64 v[16:17], s[2:3], 4, v[14:15]
	s_add_i32 s2, s9, s9
	v_add_u32_e32 v10, s2, v0
	v_ashrrev_i32_e32 v11, 31, v10
	v_lshl_add_u64 v[18:19], v[10:11], 4, s[0:1]
	global_load_dwordx4 v[2:5], v20, s[0:1]
	global_load_dwordx4 v[6:9], v[16:17], off
	global_load_dwordx4 v[10:13], v[18:19], off
	s_cmpk_lg_i32 s5, 0x84
	s_cselect_b64 s[2:3], -1, 0
	s_cmpk_eq_i32 s5, 0x84
	s_waitcnt vmcnt(2)
	scratch_store_dwordx4 off, v[2:5], off
	s_waitcnt vmcnt(2)
	scratch_store_dwordx4 off, v[6:9], off offset:16
	s_waitcnt vmcnt(2)
	scratch_store_dwordx4 off, v[10:13], off offset:32
	s_cbranch_scc1 .LBB66_7
; %bb.2:
	scratch_load_dwordx4 v[2:5], v20, off
                                        ; implicit-def: $vgpr10_vgpr11
	s_waitcnt vmcnt(0)
	v_xor_b32_e32 v7, 0x80000000, v3
	v_cmp_gt_f64_e32 vcc, 0, v[2:3]
	v_xor_b32_e32 v8, 0x80000000, v5
	v_mov_b32_e32 v6, v2
	v_cndmask_b32_e32 v7, v3, v7, vcc
	v_cmp_gt_f64_e32 vcc, 0, v[4:5]
	s_nop 1
	v_cndmask_b32_e32 v9, v5, v8, vcc
	v_mov_b32_e32 v8, v4
	v_cmp_ngt_f64_e32 vcc, v[6:7], v[8:9]
                                        ; implicit-def: $vgpr6_vgpr7
	s_and_saveexec_b64 s[0:1], vcc
	s_xor_b64 s[0:1], exec, s[0:1]
	s_cbranch_execz .LBB66_4
; %bb.3:
	v_div_scale_f64 v[6:7], s[6:7], v[4:5], v[4:5], v[2:3]
	v_rcp_f64_e32 v[8:9], v[6:7]
	v_div_scale_f64 v[10:11], vcc, v[2:3], v[4:5], v[2:3]
	v_fma_f64 v[12:13], -v[6:7], v[8:9], 1.0
	v_fmac_f64_e32 v[8:9], v[8:9], v[12:13]
	v_fma_f64 v[12:13], -v[6:7], v[8:9], 1.0
	v_fmac_f64_e32 v[8:9], v[8:9], v[12:13]
	v_mul_f64 v[12:13], v[10:11], v[8:9]
	v_fma_f64 v[6:7], -v[6:7], v[12:13], v[10:11]
	v_div_fmas_f64 v[6:7], v[6:7], v[8:9], v[12:13]
	v_div_fixup_f64 v[6:7], v[6:7], v[4:5], v[2:3]
	v_fmac_f64_e32 v[4:5], v[2:3], v[6:7]
	v_div_scale_f64 v[2:3], s[6:7], v[4:5], v[4:5], 1.0
	v_rcp_f64_e32 v[8:9], v[2:3]
	s_nop 0
	v_fma_f64 v[10:11], -v[2:3], v[8:9], 1.0
	v_fmac_f64_e32 v[8:9], v[8:9], v[10:11]
	v_fma_f64 v[10:11], -v[2:3], v[8:9], 1.0
	v_fmac_f64_e32 v[8:9], v[8:9], v[10:11]
	v_div_scale_f64 v[10:11], vcc, 1.0, v[4:5], 1.0
	v_mul_f64 v[12:13], v[10:11], v[8:9]
	v_fma_f64 v[2:3], -v[2:3], v[12:13], v[10:11]
	s_nop 1
	v_div_fmas_f64 v[2:3], v[2:3], v[8:9], v[12:13]
	v_div_fixup_f64 v[8:9], v[2:3], v[4:5], 1.0
	v_mul_f64 v[6:7], v[6:7], v[8:9]
	v_xor_b32_e32 v9, 0x80000000, v9
	v_xor_b32_e32 v11, 0x80000000, v7
	v_mov_b32_e32 v10, v6
                                        ; implicit-def: $vgpr2_vgpr3
.LBB66_4:
	s_or_saveexec_b64 s[0:1], s[0:1]
	v_add_u32_e32 v12, 0, v20
	s_xor_b64 exec, exec, s[0:1]
	s_cbranch_execz .LBB66_6
; %bb.5:
	v_div_scale_f64 v[6:7], s[6:7], v[2:3], v[2:3], v[4:5]
	v_rcp_f64_e32 v[8:9], v[6:7]
	v_div_scale_f64 v[10:11], vcc, v[4:5], v[2:3], v[4:5]
	v_fma_f64 v[22:23], -v[6:7], v[8:9], 1.0
	v_fmac_f64_e32 v[8:9], v[8:9], v[22:23]
	v_fma_f64 v[22:23], -v[6:7], v[8:9], 1.0
	v_fmac_f64_e32 v[8:9], v[8:9], v[22:23]
	v_mul_f64 v[22:23], v[10:11], v[8:9]
	v_fma_f64 v[6:7], -v[6:7], v[22:23], v[10:11]
	v_div_fmas_f64 v[6:7], v[6:7], v[8:9], v[22:23]
	v_div_fixup_f64 v[8:9], v[6:7], v[2:3], v[4:5]
	v_fmac_f64_e32 v[2:3], v[4:5], v[8:9]
	v_div_scale_f64 v[4:5], s[6:7], v[2:3], v[2:3], 1.0
	v_rcp_f64_e32 v[6:7], v[4:5]
	s_nop 0
	v_fma_f64 v[10:11], -v[4:5], v[6:7], 1.0
	v_fmac_f64_e32 v[6:7], v[6:7], v[10:11]
	v_fma_f64 v[10:11], -v[4:5], v[6:7], 1.0
	v_fmac_f64_e32 v[6:7], v[6:7], v[10:11]
	v_div_scale_f64 v[10:11], vcc, 1.0, v[2:3], 1.0
	v_mul_f64 v[22:23], v[10:11], v[6:7]
	v_fma_f64 v[4:5], -v[4:5], v[22:23], v[10:11]
	s_nop 1
	v_div_fmas_f64 v[4:5], v[4:5], v[6:7], v[22:23]
	v_div_fixup_f64 v[6:7], v[4:5], v[2:3], 1.0
	v_xor_b32_e32 v11, 0x80000000, v7
	v_mov_b32_e32 v10, v6
	v_mul_f64 v[8:9], v[8:9], -v[6:7]
.LBB66_6:
	s_or_b64 exec, exec, s[0:1]
	scratch_store_dwordx4 v12, v[6:9], off
	s_nop 1
	v_xor_b32_e32 v9, 0x80000000, v9
	s_branch .LBB66_8
.LBB66_7:
	v_mov_b64_e32 v[8:9], 0
	v_mov_b64_e32 v[10:11], -1.0
.LBB66_8:
	v_add_u32_e32 v21, 16, v1
	scratch_load_dwordx4 v[2:5], v21, off
	v_add_u32_e32 v22, 32, v1
	v_mov_b32_e32 v12, v8
	v_mov_b32_e32 v13, v9
	s_cmpk_eq_i32 s4, 0x79
	v_add_u32_e32 v8, 48, v20
	v_add_u32_e32 v9, 0, v20
	ds_write_b128 v20, v[10:13]
	s_waitcnt vmcnt(0)
	ds_write_b128 v20, v[2:5] offset:48
	s_waitcnt lgkmcnt(0)
	s_cbranch_scc1 .LBB66_20
; %bb.9:
	v_cmp_eq_u32_e64 s[0:1], 2, v0
	; wave barrier
	s_and_saveexec_b64 s[4:5], s[0:1]
	s_cbranch_execz .LBB66_13
; %bb.10:
	ds_read_b128 v[2:5], v8
	s_andn2_b64 vcc, exec, s[2:3]
	s_cbranch_vccnz .LBB66_12
; %bb.11:
	scratch_load_dwordx4 v[10:13], v9, off
	s_waitcnt vmcnt(0) lgkmcnt(0)
	v_mul_f64 v[6:7], v[4:5], v[12:13]
	v_mul_f64 v[12:13], v[2:3], v[12:13]
	v_fmac_f64_e32 v[12:13], v[4:5], v[10:11]
	v_fma_f64 v[2:3], v[2:3], v[10:11], -v[6:7]
	v_mov_b64_e32 v[4:5], v[12:13]
.LBB66_12:
	v_mov_b32_e32 v1, 0
	ds_read_b128 v[10:13], v1 offset:16
	s_waitcnt lgkmcnt(0)
	v_mul_f64 v[6:7], v[4:5], v[12:13]
	v_mul_f64 v[26:27], v[2:3], v[12:13]
	v_fma_f64 v[24:25], v[2:3], v[10:11], -v[6:7]
	v_fmac_f64_e32 v[26:27], v[4:5], v[10:11]
	scratch_store_dwordx4 off, v[24:27], off offset:16
.LBB66_13:
	s_or_b64 exec, exec, s[4:5]
	scratch_load_dwordx4 v[2:5], off, off
	v_cmp_ne_u32_e32 vcc, 0, v0
	s_mov_b64 s[6:7], 0
	s_mov_b64 s[4:5], 0
                                        ; implicit-def: $vgpr6_vgpr7
                                        ; implicit-def: $vgpr10
	s_waitcnt vmcnt(0)
	ds_write_b128 v8, v[2:5]
	s_waitcnt lgkmcnt(0)
	; wave barrier
	s_waitcnt lgkmcnt(0)
	s_and_saveexec_b64 s[8:9], vcc
	s_cbranch_execz .LBB66_19
; %bb.14:
	ds_read_b128 v[2:5], v8
	s_andn2_b64 vcc, exec, s[2:3]
	s_cbranch_vccnz .LBB66_16
; %bb.15:
	scratch_load_dwordx4 v[10:13], v9, off
	s_waitcnt vmcnt(0) lgkmcnt(0)
	v_mul_f64 v[6:7], v[4:5], v[12:13]
	v_mul_f64 v[12:13], v[2:3], v[12:13]
	v_fmac_f64_e32 v[12:13], v[4:5], v[10:11]
	v_fma_f64 v[2:3], v[2:3], v[10:11], -v[6:7]
	v_mov_b64_e32 v[4:5], v[12:13]
.LBB66_16:
	s_and_saveexec_b64 s[4:5], s[0:1]
	s_cbranch_execz .LBB66_18
; %bb.17:
	scratch_load_dwordx4 v[10:13], off, off offset:16
	v_mov_b32_e32 v1, 0
	ds_read_b128 v[24:27], v1 offset:64
	s_waitcnt vmcnt(0) lgkmcnt(0)
	v_mul_f64 v[6:7], v[26:27], v[12:13]
	v_mul_f64 v[12:13], v[24:25], v[12:13]
	v_fma_f64 v[6:7], v[24:25], v[10:11], -v[6:7]
	v_fmac_f64_e32 v[12:13], v[26:27], v[10:11]
	v_add_f64 v[2:3], v[2:3], v[6:7]
	v_add_f64 v[4:5], v[4:5], v[12:13]
.LBB66_18:
	s_or_b64 exec, exec, s[4:5]
	v_mov_b32_e32 v1, 0
	ds_read_b128 v[24:27], v1
	v_mov_b32_e32 v1, 0
	s_mov_b64 s[4:5], exec
	v_or_b32_e32 v10, 8, v1
	s_waitcnt lgkmcnt(0)
	v_mul_f64 v[12:13], v[4:5], v[26:27]
	v_mul_f64 v[6:7], v[2:3], v[26:27]
	v_fma_f64 v[2:3], v[2:3], v[24:25], -v[12:13]
	v_fmac_f64_e32 v[6:7], v[4:5], v[24:25]
	scratch_store_dwordx2 off, v[2:3], off
.LBB66_19:
	s_or_b64 exec, exec, s[8:9]
	s_and_b64 vcc, exec, s[6:7]
	s_cbranch_vccnz .LBB66_21
	s_branch .LBB66_32
.LBB66_20:
	s_mov_b64 s[4:5], 0
                                        ; implicit-def: $vgpr6_vgpr7
                                        ; implicit-def: $vgpr10
	s_cbranch_execz .LBB66_32
.LBB66_21:
	v_cndmask_b32_e64 v1, 0, 1, s[2:3]
	v_cmp_eq_u32_e64 s[0:1], 0, v0
	v_cmp_ne_u32_e64 s[2:3], 1, v1
	; wave barrier
	s_and_saveexec_b64 s[6:7], s[0:1]
	s_cbranch_execz .LBB66_25
; %bb.22:
	ds_read_b128 v[2:5], v8
	s_and_b64 vcc, exec, s[2:3]
	s_cbranch_vccnz .LBB66_24
; %bb.23:
	scratch_load_dwordx4 v[10:13], v9, off
	s_waitcnt vmcnt(0) lgkmcnt(0)
	v_mul_f64 v[6:7], v[4:5], v[12:13]
	v_mul_f64 v[12:13], v[2:3], v[12:13]
	v_fmac_f64_e32 v[12:13], v[4:5], v[10:11]
	v_fma_f64 v[2:3], v[2:3], v[10:11], -v[6:7]
	v_mov_b64_e32 v[4:5], v[12:13]
.LBB66_24:
	v_mov_b32_e32 v1, 0
	ds_read_b128 v[10:13], v1 offset:16
	s_waitcnt lgkmcnt(0)
	v_mul_f64 v[6:7], v[4:5], v[12:13]
	v_mul_f64 v[26:27], v[2:3], v[12:13]
	v_fma_f64 v[24:25], v[2:3], v[10:11], -v[6:7]
	v_fmac_f64_e32 v[26:27], v[4:5], v[10:11]
	scratch_store_dwordx4 off, v[24:27], off offset:16
.LBB66_25:
	s_or_b64 exec, exec, s[6:7]
	scratch_load_dwordx4 v[2:5], v22, off
	v_cmp_ne_u32_e32 vcc, 2, v0
                                        ; implicit-def: $vgpr6_vgpr7
                                        ; implicit-def: $vgpr10
	s_waitcnt vmcnt(0)
	ds_write_b128 v8, v[2:5]
	s_waitcnt lgkmcnt(0)
	; wave barrier
	s_waitcnt lgkmcnt(0)
	s_and_saveexec_b64 s[6:7], vcc
	s_cbranch_execz .LBB66_31
; %bb.26:
	ds_read_b128 v[0:3], v8
	s_and_b64 vcc, exec, s[2:3]
	s_cbranch_vccnz .LBB66_28
; %bb.27:
	scratch_load_dwordx4 v[4:7], v9, off
	s_waitcnt vmcnt(0) lgkmcnt(0)
	v_mul_f64 v[10:11], v[2:3], v[6:7]
	v_mul_f64 v[6:7], v[0:1], v[6:7]
	v_fmac_f64_e32 v[6:7], v[2:3], v[4:5]
	v_fma_f64 v[0:1], v[0:1], v[4:5], -v[10:11]
	v_mov_b64_e32 v[2:3], v[6:7]
.LBB66_28:
	s_and_saveexec_b64 s[2:3], s[0:1]
	s_cbranch_execz .LBB66_30
; %bb.29:
	scratch_load_dwordx4 v[4:7], v9, off offset:16
	ds_read_b128 v[8:11], v8 offset:16
	s_waitcnt vmcnt(0) lgkmcnt(0)
	v_mul_f64 v[12:13], v[10:11], v[6:7]
	v_mul_f64 v[6:7], v[8:9], v[6:7]
	v_fma_f64 v[8:9], v[8:9], v[4:5], -v[12:13]
	v_fmac_f64_e32 v[6:7], v[10:11], v[4:5]
	v_add_f64 v[0:1], v[0:1], v[8:9]
	v_add_f64 v[2:3], v[2:3], v[6:7]
.LBB66_30:
	s_or_b64 exec, exec, s[2:3]
	v_mov_b32_e32 v4, 0
	ds_read_b128 v[4:7], v4 offset:32
	v_mov_b32_e32 v8, 0
	v_add_u32_e32 v10, 40, v8
	s_or_b64 s[4:5], s[4:5], exec
	s_waitcnt lgkmcnt(0)
	v_mul_f64 v[8:9], v[2:3], v[6:7]
	v_mul_f64 v[6:7], v[0:1], v[6:7]
	v_fma_f64 v[0:1], v[0:1], v[4:5], -v[8:9]
	v_fmac_f64_e32 v[6:7], v[2:3], v[4:5]
	scratch_store_dwordx2 off, v[0:1], off offset:32
.LBB66_31:
	s_or_b64 exec, exec, s[6:7]
.LBB66_32:
	s_and_saveexec_b64 s[0:1], s[4:5]
	s_cbranch_execz .LBB66_34
; %bb.33:
	scratch_store_dwordx2 v10, v[6:7], off
.LBB66_34:
	s_or_b64 exec, exec, s[0:1]
	scratch_load_dwordx4 v[0:3], off, off
	scratch_load_dwordx4 v[4:7], v21, off
	scratch_load_dwordx4 v[8:11], v22, off
	s_waitcnt vmcnt(2)
	global_store_dwordx4 v[14:15], v[0:3], off
	s_waitcnt vmcnt(2)
	global_store_dwordx4 v[16:17], v[4:7], off
	;; [unrolled: 2-line block ×3, first 2 shown]
.LBB66_35:
	s_endpgm
	.section	.rodata,"a",@progbits
	.p2align	6, 0x0
	.amdhsa_kernel _ZN9rocsolver6v33100L18trti2_kernel_smallILi3E19rocblas_complex_numIdEPKPS3_EEv13rocblas_fill_17rocblas_diagonal_T1_iil
		.amdhsa_group_segment_fixed_size 96
		.amdhsa_private_segment_fixed_size 64
		.amdhsa_kernarg_size 32
		.amdhsa_user_sgpr_count 2
		.amdhsa_user_sgpr_dispatch_ptr 0
		.amdhsa_user_sgpr_queue_ptr 0
		.amdhsa_user_sgpr_kernarg_segment_ptr 1
		.amdhsa_user_sgpr_dispatch_id 0
		.amdhsa_user_sgpr_kernarg_preload_length 0
		.amdhsa_user_sgpr_kernarg_preload_offset 0
		.amdhsa_user_sgpr_private_segment_size 0
		.amdhsa_uses_dynamic_stack 0
		.amdhsa_enable_private_segment 1
		.amdhsa_system_sgpr_workgroup_id_x 1
		.amdhsa_system_sgpr_workgroup_id_y 0
		.amdhsa_system_sgpr_workgroup_id_z 0
		.amdhsa_system_sgpr_workgroup_info 0
		.amdhsa_system_vgpr_workitem_id 0
		.amdhsa_next_free_vgpr 28
		.amdhsa_next_free_sgpr 10
		.amdhsa_accum_offset 28
		.amdhsa_reserve_vcc 1
		.amdhsa_float_round_mode_32 0
		.amdhsa_float_round_mode_16_64 0
		.amdhsa_float_denorm_mode_32 3
		.amdhsa_float_denorm_mode_16_64 3
		.amdhsa_dx10_clamp 1
		.amdhsa_ieee_mode 1
		.amdhsa_fp16_overflow 0
		.amdhsa_tg_split 0
		.amdhsa_exception_fp_ieee_invalid_op 0
		.amdhsa_exception_fp_denorm_src 0
		.amdhsa_exception_fp_ieee_div_zero 0
		.amdhsa_exception_fp_ieee_overflow 0
		.amdhsa_exception_fp_ieee_underflow 0
		.amdhsa_exception_fp_ieee_inexact 0
		.amdhsa_exception_int_div_zero 0
	.end_amdhsa_kernel
	.section	.text._ZN9rocsolver6v33100L18trti2_kernel_smallILi3E19rocblas_complex_numIdEPKPS3_EEv13rocblas_fill_17rocblas_diagonal_T1_iil,"axG",@progbits,_ZN9rocsolver6v33100L18trti2_kernel_smallILi3E19rocblas_complex_numIdEPKPS3_EEv13rocblas_fill_17rocblas_diagonal_T1_iil,comdat
.Lfunc_end66:
	.size	_ZN9rocsolver6v33100L18trti2_kernel_smallILi3E19rocblas_complex_numIdEPKPS3_EEv13rocblas_fill_17rocblas_diagonal_T1_iil, .Lfunc_end66-_ZN9rocsolver6v33100L18trti2_kernel_smallILi3E19rocblas_complex_numIdEPKPS3_EEv13rocblas_fill_17rocblas_diagonal_T1_iil
                                        ; -- End function
	.section	.AMDGPU.csdata,"",@progbits
; Kernel info:
; codeLenInByte = 1660
; NumSgprs: 16
; NumVgprs: 28
; NumAgprs: 0
; TotalNumVgprs: 28
; ScratchSize: 64
; MemoryBound: 0
; FloatMode: 240
; IeeeMode: 1
; LDSByteSize: 96 bytes/workgroup (compile time only)
; SGPRBlocks: 1
; VGPRBlocks: 3
; NumSGPRsForWavesPerEU: 16
; NumVGPRsForWavesPerEU: 28
; AccumOffset: 28
; Occupancy: 8
; WaveLimiterHint : 1
; COMPUTE_PGM_RSRC2:SCRATCH_EN: 1
; COMPUTE_PGM_RSRC2:USER_SGPR: 2
; COMPUTE_PGM_RSRC2:TRAP_HANDLER: 0
; COMPUTE_PGM_RSRC2:TGID_X_EN: 1
; COMPUTE_PGM_RSRC2:TGID_Y_EN: 0
; COMPUTE_PGM_RSRC2:TGID_Z_EN: 0
; COMPUTE_PGM_RSRC2:TIDIG_COMP_CNT: 0
; COMPUTE_PGM_RSRC3_GFX90A:ACCUM_OFFSET: 6
; COMPUTE_PGM_RSRC3_GFX90A:TG_SPLIT: 0
	.section	.text._ZN9rocsolver6v33100L18trti2_kernel_smallILi4E19rocblas_complex_numIdEPKPS3_EEv13rocblas_fill_17rocblas_diagonal_T1_iil,"axG",@progbits,_ZN9rocsolver6v33100L18trti2_kernel_smallILi4E19rocblas_complex_numIdEPKPS3_EEv13rocblas_fill_17rocblas_diagonal_T1_iil,comdat
	.globl	_ZN9rocsolver6v33100L18trti2_kernel_smallILi4E19rocblas_complex_numIdEPKPS3_EEv13rocblas_fill_17rocblas_diagonal_T1_iil ; -- Begin function _ZN9rocsolver6v33100L18trti2_kernel_smallILi4E19rocblas_complex_numIdEPKPS3_EEv13rocblas_fill_17rocblas_diagonal_T1_iil
	.p2align	8
	.type	_ZN9rocsolver6v33100L18trti2_kernel_smallILi4E19rocblas_complex_numIdEPKPS3_EEv13rocblas_fill_17rocblas_diagonal_T1_iil,@function
_ZN9rocsolver6v33100L18trti2_kernel_smallILi4E19rocblas_complex_numIdEPKPS3_EEv13rocblas_fill_17rocblas_diagonal_T1_iil: ; @_ZN9rocsolver6v33100L18trti2_kernel_smallILi4E19rocblas_complex_numIdEPKPS3_EEv13rocblas_fill_17rocblas_diagonal_T1_iil
; %bb.0:
	v_cmp_gt_u32_e32 vcc, 4, v0
	s_and_saveexec_b64 s[4:5], vcc
	s_cbranch_execz .LBB67_51
; %bb.1:
	s_load_dwordx2 s[8:9], s[0:1], 0x10
	s_load_dwordx4 s[4:7], s[0:1], 0x0
	s_ashr_i32 s3, s2, 31
	s_lshl_b64 s[0:1], s[2:3], 3
	v_lshlrev_b32_e32 v22, 4, v0
	s_waitcnt lgkmcnt(0)
	s_ashr_i32 s3, s8, 31
	s_add_u32 s0, s6, s0
	s_addc_u32 s1, s7, s1
	s_load_dwordx2 s[0:1], s[0:1], 0x0
	s_mov_b32 s2, s8
	s_lshl_b64 s[2:3], s[2:3], 4
	v_mov_b32_e32 v23, 0
	v_mov_b32_e32 v1, 0
	s_waitcnt lgkmcnt(0)
	s_add_u32 s0, s0, s2
	s_addc_u32 s1, s1, s3
	s_ashr_i32 s3, s9, 31
	v_lshl_add_u64 v[14:15], s[0:1], 0, v[22:23]
	s_mov_b32 s2, s9
	v_lshl_add_u64 v[16:17], s[2:3], 4, v[14:15]
	s_add_i32 s2, s9, s9
	v_add_u32_e32 v20, s2, v0
	v_ashrrev_i32_e32 v21, 31, v20
	v_lshl_add_u64 v[18:19], v[20:21], 4, s[0:1]
	v_add_u32_e32 v20, s9, v20
	v_ashrrev_i32_e32 v21, 31, v20
	v_lshl_add_u64 v[20:21], v[20:21], 4, s[0:1]
	global_load_dwordx4 v[2:5], v[16:17], off
	global_load_dwordx4 v[6:9], v[18:19], off
	global_load_dwordx4 v[10:13], v22, s[0:1]
	global_load_dwordx4 v[24:27], v[20:21], off
	s_cmpk_lg_i32 s5, 0x84
	s_cselect_b64 s[6:7], -1, 0
	s_cmpk_eq_i32 s5, 0x84
	s_waitcnt vmcnt(1)
	scratch_store_dwordx4 off, v[10:13], off
	scratch_store_dwordx4 off, v[2:5], off offset:16
	scratch_store_dwordx4 off, v[6:9], off offset:32
	s_waitcnt vmcnt(3)
	scratch_store_dwordx4 off, v[24:27], off offset:48
	s_cbranch_scc1 .LBB67_7
; %bb.2:
	scratch_load_dwordx4 v[2:5], v22, off
                                        ; implicit-def: $vgpr10_vgpr11
	s_waitcnt vmcnt(0)
	v_xor_b32_e32 v7, 0x80000000, v3
	v_cmp_gt_f64_e32 vcc, 0, v[2:3]
	v_xor_b32_e32 v8, 0x80000000, v5
	v_mov_b32_e32 v6, v2
	v_cndmask_b32_e32 v7, v3, v7, vcc
	v_cmp_gt_f64_e32 vcc, 0, v[4:5]
	s_nop 1
	v_cndmask_b32_e32 v9, v5, v8, vcc
	v_mov_b32_e32 v8, v4
	v_cmp_ngt_f64_e32 vcc, v[6:7], v[8:9]
                                        ; implicit-def: $vgpr6_vgpr7
	s_and_saveexec_b64 s[0:1], vcc
	s_xor_b64 s[0:1], exec, s[0:1]
	s_cbranch_execz .LBB67_4
; %bb.3:
	v_div_scale_f64 v[6:7], s[2:3], v[4:5], v[4:5], v[2:3]
	v_rcp_f64_e32 v[8:9], v[6:7]
	v_div_scale_f64 v[10:11], vcc, v[2:3], v[4:5], v[2:3]
	v_fma_f64 v[12:13], -v[6:7], v[8:9], 1.0
	v_fmac_f64_e32 v[8:9], v[8:9], v[12:13]
	v_fma_f64 v[12:13], -v[6:7], v[8:9], 1.0
	v_fmac_f64_e32 v[8:9], v[8:9], v[12:13]
	v_mul_f64 v[12:13], v[10:11], v[8:9]
	v_fma_f64 v[6:7], -v[6:7], v[12:13], v[10:11]
	v_div_fmas_f64 v[6:7], v[6:7], v[8:9], v[12:13]
	v_div_fixup_f64 v[6:7], v[6:7], v[4:5], v[2:3]
	v_fmac_f64_e32 v[4:5], v[2:3], v[6:7]
	v_div_scale_f64 v[2:3], s[2:3], v[4:5], v[4:5], 1.0
	v_rcp_f64_e32 v[8:9], v[2:3]
	s_nop 0
	v_fma_f64 v[10:11], -v[2:3], v[8:9], 1.0
	v_fmac_f64_e32 v[8:9], v[8:9], v[10:11]
	v_fma_f64 v[10:11], -v[2:3], v[8:9], 1.0
	v_fmac_f64_e32 v[8:9], v[8:9], v[10:11]
	v_div_scale_f64 v[10:11], vcc, 1.0, v[4:5], 1.0
	v_mul_f64 v[12:13], v[10:11], v[8:9]
	v_fma_f64 v[2:3], -v[2:3], v[12:13], v[10:11]
	s_nop 1
	v_div_fmas_f64 v[2:3], v[2:3], v[8:9], v[12:13]
	v_div_fixup_f64 v[8:9], v[2:3], v[4:5], 1.0
	v_mul_f64 v[6:7], v[6:7], v[8:9]
	v_xor_b32_e32 v9, 0x80000000, v9
	v_xor_b32_e32 v11, 0x80000000, v7
	v_mov_b32_e32 v10, v6
                                        ; implicit-def: $vgpr2_vgpr3
.LBB67_4:
	s_or_saveexec_b64 s[0:1], s[0:1]
	v_add_u32_e32 v12, 0, v22
	s_xor_b64 exec, exec, s[0:1]
	s_cbranch_execz .LBB67_6
; %bb.5:
	v_div_scale_f64 v[6:7], s[2:3], v[2:3], v[2:3], v[4:5]
	v_rcp_f64_e32 v[8:9], v[6:7]
	v_div_scale_f64 v[10:11], vcc, v[4:5], v[2:3], v[4:5]
	v_fma_f64 v[24:25], -v[6:7], v[8:9], 1.0
	v_fmac_f64_e32 v[8:9], v[8:9], v[24:25]
	v_fma_f64 v[24:25], -v[6:7], v[8:9], 1.0
	v_fmac_f64_e32 v[8:9], v[8:9], v[24:25]
	v_mul_f64 v[24:25], v[10:11], v[8:9]
	v_fma_f64 v[6:7], -v[6:7], v[24:25], v[10:11]
	v_div_fmas_f64 v[6:7], v[6:7], v[8:9], v[24:25]
	v_div_fixup_f64 v[8:9], v[6:7], v[2:3], v[4:5]
	v_fmac_f64_e32 v[2:3], v[4:5], v[8:9]
	v_div_scale_f64 v[4:5], s[2:3], v[2:3], v[2:3], 1.0
	v_rcp_f64_e32 v[6:7], v[4:5]
	s_nop 0
	v_fma_f64 v[10:11], -v[4:5], v[6:7], 1.0
	v_fmac_f64_e32 v[6:7], v[6:7], v[10:11]
	v_fma_f64 v[10:11], -v[4:5], v[6:7], 1.0
	v_fmac_f64_e32 v[6:7], v[6:7], v[10:11]
	v_div_scale_f64 v[10:11], vcc, 1.0, v[2:3], 1.0
	v_mul_f64 v[24:25], v[10:11], v[6:7]
	v_fma_f64 v[4:5], -v[4:5], v[24:25], v[10:11]
	s_nop 1
	v_div_fmas_f64 v[4:5], v[4:5], v[6:7], v[24:25]
	v_div_fixup_f64 v[6:7], v[4:5], v[2:3], 1.0
	v_xor_b32_e32 v11, 0x80000000, v7
	v_mov_b32_e32 v10, v6
	v_mul_f64 v[8:9], v[8:9], -v[6:7]
.LBB67_6:
	s_or_b64 exec, exec, s[0:1]
	scratch_store_dwordx4 v12, v[6:9], off
	s_nop 1
	v_xor_b32_e32 v9, 0x80000000, v9
	s_branch .LBB67_8
.LBB67_7:
	v_mov_b64_e32 v[8:9], 0
	v_mov_b64_e32 v[10:11], -1.0
.LBB67_8:
	v_add_u32_e32 v23, 16, v1
	v_add_u32_e32 v25, 32, v1
	;; [unrolled: 1-line block ×3, first 2 shown]
	v_mov_b32_e32 v12, v8
	v_mov_b32_e32 v13, v9
	s_cmpk_eq_i32 s4, 0x79
	v_add_u32_e32 v8, 64, v22
	v_add_u32_e32 v9, 0, v22
	ds_write_b128 v22, v[10:13]
	s_cbranch_scc1 .LBB67_28
; %bb.9:
	scratch_load_dwordx4 v[2:5], v25, off
	v_cmp_eq_u32_e64 s[2:3], 3, v0
	s_waitcnt vmcnt(0)
	ds_write_b128 v8, v[2:5]
	s_waitcnt lgkmcnt(0)
	; wave barrier
	s_waitcnt lgkmcnt(0)
	s_and_saveexec_b64 s[0:1], s[2:3]
	s_cbranch_execz .LBB67_13
; %bb.10:
	ds_read_b128 v[2:5], v8
	s_andn2_b64 vcc, exec, s[6:7]
	s_cbranch_vccnz .LBB67_12
; %bb.11:
	scratch_load_dwordx4 v[10:13], v9, off
	s_waitcnt vmcnt(0) lgkmcnt(0)
	v_mul_f64 v[6:7], v[4:5], v[12:13]
	v_mul_f64 v[12:13], v[2:3], v[12:13]
	v_fmac_f64_e32 v[12:13], v[4:5], v[10:11]
	v_fma_f64 v[2:3], v[2:3], v[10:11], -v[6:7]
	v_mov_b64_e32 v[4:5], v[12:13]
.LBB67_12:
	v_mov_b32_e32 v1, 0
	ds_read_b128 v[10:13], v1 offset:32
	s_waitcnt lgkmcnt(0)
	v_mul_f64 v[6:7], v[4:5], v[12:13]
	v_mul_f64 v[28:29], v[2:3], v[12:13]
	v_fma_f64 v[26:27], v[2:3], v[10:11], -v[6:7]
	v_fmac_f64_e32 v[28:29], v[4:5], v[10:11]
	scratch_store_dwordx4 off, v[26:29], off offset:32
.LBB67_13:
	s_or_b64 exec, exec, s[0:1]
	scratch_load_dwordx4 v[2:5], v23, off
	v_cmp_lt_u32_e64 s[0:1], 1, v0
	s_waitcnt vmcnt(0)
	ds_write_b128 v8, v[2:5]
	s_waitcnt lgkmcnt(0)
	; wave barrier
	s_waitcnt lgkmcnt(0)
	s_and_saveexec_b64 s[4:5], s[0:1]
	s_cbranch_execz .LBB67_19
; %bb.14:
	ds_read_b128 v[2:5], v8
	s_andn2_b64 vcc, exec, s[6:7]
	s_cbranch_vccnz .LBB67_16
; %bb.15:
	scratch_load_dwordx4 v[10:13], v9, off
	s_waitcnt vmcnt(0) lgkmcnt(0)
	v_mul_f64 v[6:7], v[4:5], v[12:13]
	v_mul_f64 v[12:13], v[2:3], v[12:13]
	v_fmac_f64_e32 v[12:13], v[4:5], v[10:11]
	v_fma_f64 v[2:3], v[2:3], v[10:11], -v[6:7]
	v_mov_b64_e32 v[4:5], v[12:13]
.LBB67_16:
	s_and_saveexec_b64 s[8:9], s[2:3]
	s_cbranch_execz .LBB67_18
; %bb.17:
	scratch_load_dwordx4 v[10:13], off, off offset:32
	v_mov_b32_e32 v1, 0
	ds_read_b128 v[26:29], v1 offset:96
	s_waitcnt vmcnt(0) lgkmcnt(0)
	v_mul_f64 v[6:7], v[26:27], v[12:13]
	v_mul_f64 v[12:13], v[28:29], v[12:13]
	v_fmac_f64_e32 v[6:7], v[28:29], v[10:11]
	v_fma_f64 v[10:11], v[26:27], v[10:11], -v[12:13]
	v_add_f64 v[4:5], v[4:5], v[6:7]
	v_add_f64 v[2:3], v[2:3], v[10:11]
.LBB67_18:
	s_or_b64 exec, exec, s[8:9]
	v_mov_b32_e32 v1, 0
	ds_read_b128 v[10:13], v1 offset:16
	s_waitcnt lgkmcnt(0)
	v_mul_f64 v[6:7], v[4:5], v[12:13]
	v_mul_f64 v[28:29], v[2:3], v[12:13]
	v_fma_f64 v[26:27], v[2:3], v[10:11], -v[6:7]
	v_fmac_f64_e32 v[28:29], v[4:5], v[10:11]
	scratch_store_dwordx4 off, v[26:29], off offset:16
.LBB67_19:
	s_or_b64 exec, exec, s[4:5]
	scratch_load_dwordx4 v[2:5], off, off
	v_cmp_ne_u32_e32 vcc, 0, v0
	s_mov_b64 s[2:3], 0
	s_mov_b64 s[8:9], 0
                                        ; implicit-def: $vgpr6_vgpr7
                                        ; implicit-def: $vgpr10
	s_waitcnt vmcnt(0)
	ds_write_b128 v8, v[2:5]
	s_waitcnt lgkmcnt(0)
	; wave barrier
	s_waitcnt lgkmcnt(0)
	s_and_saveexec_b64 s[4:5], vcc
	s_cbranch_execz .LBB67_27
; %bb.20:
	ds_read_b128 v[2:5], v8
	s_andn2_b64 vcc, exec, s[6:7]
	s_cbranch_vccnz .LBB67_22
; %bb.21:
	scratch_load_dwordx4 v[10:13], v9, off
	s_waitcnt vmcnt(0) lgkmcnt(0)
	v_mul_f64 v[6:7], v[4:5], v[12:13]
	v_mul_f64 v[12:13], v[2:3], v[12:13]
	v_fmac_f64_e32 v[12:13], v[4:5], v[10:11]
	v_fma_f64 v[2:3], v[2:3], v[10:11], -v[6:7]
	v_mov_b64_e32 v[4:5], v[12:13]
.LBB67_22:
	s_and_saveexec_b64 s[8:9], s[0:1]
	s_cbranch_execz .LBB67_26
; %bb.23:
	v_mov_b32_e32 v6, 0
	v_add_u32_e32 v1, -1, v0
	v_add_u32_e32 v6, 24, v6
	s_movk_i32 s10, 0x50
	s_mov_b64 s[0:1], 0
.LBB67_24:                              ; =>This Inner Loop Header: Depth=1
	v_add_u32_e32 v7, -8, v6
	scratch_load_dwordx4 v[10:13], v7, off
	v_mov_b32_e32 v7, s10
	ds_read_b128 v[26:29], v7
	v_add_u32_e32 v1, -1, v1
	s_add_i32 s10, s10, 16
	v_cmp_eq_u32_e32 vcc, 0, v1
	v_add_u32_e32 v6, 16, v6
	s_or_b64 s[0:1], vcc, s[0:1]
	s_waitcnt vmcnt(0) lgkmcnt(0)
	v_mul_f64 v[30:31], v[28:29], v[12:13]
	v_mul_f64 v[12:13], v[26:27], v[12:13]
	v_fma_f64 v[26:27], v[26:27], v[10:11], -v[30:31]
	v_fmac_f64_e32 v[12:13], v[28:29], v[10:11]
	v_add_f64 v[2:3], v[2:3], v[26:27]
	v_add_f64 v[4:5], v[4:5], v[12:13]
	s_andn2_b64 exec, exec, s[0:1]
	s_cbranch_execnz .LBB67_24
; %bb.25:
	s_or_b64 exec, exec, s[0:1]
.LBB67_26:
	s_or_b64 exec, exec, s[8:9]
	v_mov_b32_e32 v1, 0
	ds_read_b128 v[26:29], v1
	v_mov_b32_e32 v1, 0
	s_mov_b64 s[8:9], exec
	v_or_b32_e32 v10, 8, v1
	s_waitcnt lgkmcnt(0)
	v_mul_f64 v[12:13], v[4:5], v[28:29]
	v_mul_f64 v[6:7], v[2:3], v[28:29]
	v_fma_f64 v[2:3], v[2:3], v[26:27], -v[12:13]
	v_fmac_f64_e32 v[6:7], v[4:5], v[26:27]
	scratch_store_dwordx2 off, v[2:3], off
.LBB67_27:
	s_or_b64 exec, exec, s[4:5]
	s_and_b64 vcc, exec, s[2:3]
	s_cbranch_vccnz .LBB67_29
	s_branch .LBB67_48
.LBB67_28:
	s_mov_b64 s[8:9], 0
                                        ; implicit-def: $vgpr6_vgpr7
                                        ; implicit-def: $vgpr10
	s_cbranch_execz .LBB67_48
.LBB67_29:
	scratch_load_dwordx4 v[2:5], v23, off
	v_cndmask_b32_e64 v1, 0, 1, s[6:7]
	v_cmp_eq_u32_e64 s[0:1], 0, v0
	v_cmp_ne_u32_e64 s[2:3], 1, v1
	s_waitcnt vmcnt(0)
	ds_write_b128 v8, v[2:5]
	s_waitcnt lgkmcnt(0)
	; wave barrier
	s_waitcnt lgkmcnt(0)
	s_and_saveexec_b64 s[4:5], s[0:1]
	s_cbranch_execz .LBB67_33
; %bb.30:
	ds_read_b128 v[2:5], v8
	s_and_b64 vcc, exec, s[2:3]
	s_cbranch_vccnz .LBB67_32
; %bb.31:
	scratch_load_dwordx4 v[10:13], v9, off
	s_waitcnt vmcnt(0) lgkmcnt(0)
	v_mul_f64 v[6:7], v[4:5], v[12:13]
	v_mul_f64 v[12:13], v[2:3], v[12:13]
	v_fmac_f64_e32 v[12:13], v[4:5], v[10:11]
	v_fma_f64 v[2:3], v[2:3], v[10:11], -v[6:7]
	v_mov_b64_e32 v[4:5], v[12:13]
.LBB67_32:
	v_mov_b32_e32 v1, 0
	ds_read_b128 v[10:13], v1 offset:16
	s_waitcnt lgkmcnt(0)
	v_mul_f64 v[6:7], v[4:5], v[12:13]
	v_mul_f64 v[28:29], v[2:3], v[12:13]
	v_fma_f64 v[26:27], v[2:3], v[10:11], -v[6:7]
	v_fmac_f64_e32 v[28:29], v[4:5], v[10:11]
	scratch_store_dwordx4 off, v[26:29], off offset:16
.LBB67_33:
	s_or_b64 exec, exec, s[4:5]
	scratch_load_dwordx4 v[2:5], v25, off
	v_cmp_gt_u32_e64 s[4:5], 2, v0
	s_waitcnt vmcnt(0)
	ds_write_b128 v8, v[2:5]
	s_waitcnt lgkmcnt(0)
	; wave barrier
	s_waitcnt lgkmcnt(0)
	s_and_saveexec_b64 s[6:7], s[4:5]
	s_cbranch_execz .LBB67_39
; %bb.34:
	ds_read_b128 v[2:5], v8
	s_and_b64 vcc, exec, s[2:3]
	s_cbranch_vccnz .LBB67_36
; %bb.35:
	scratch_load_dwordx4 v[10:13], v9, off
	s_waitcnt vmcnt(0) lgkmcnt(0)
	v_mul_f64 v[6:7], v[4:5], v[12:13]
	v_mul_f64 v[12:13], v[2:3], v[12:13]
	v_fmac_f64_e32 v[12:13], v[4:5], v[10:11]
	v_fma_f64 v[2:3], v[2:3], v[10:11], -v[6:7]
	v_mov_b64_e32 v[4:5], v[12:13]
.LBB67_36:
	s_and_saveexec_b64 s[10:11], s[0:1]
	s_cbranch_execz .LBB67_38
; %bb.37:
	scratch_load_dwordx4 v[10:13], v9, off offset:16
	ds_read_b128 v[26:29], v8 offset:16
	s_waitcnt vmcnt(0) lgkmcnt(0)
	v_mul_f64 v[6:7], v[28:29], v[12:13]
	v_mul_f64 v[12:13], v[26:27], v[12:13]
	v_fma_f64 v[6:7], v[26:27], v[10:11], -v[6:7]
	v_fmac_f64_e32 v[12:13], v[28:29], v[10:11]
	v_add_f64 v[2:3], v[2:3], v[6:7]
	v_add_f64 v[4:5], v[4:5], v[12:13]
.LBB67_38:
	s_or_b64 exec, exec, s[10:11]
	v_mov_b32_e32 v1, 0
	ds_read_b128 v[10:13], v1 offset:32
	s_waitcnt lgkmcnt(0)
	v_mul_f64 v[6:7], v[4:5], v[12:13]
	v_mul_f64 v[28:29], v[2:3], v[12:13]
	v_fma_f64 v[26:27], v[2:3], v[10:11], -v[6:7]
	v_fmac_f64_e32 v[28:29], v[4:5], v[10:11]
	scratch_store_dwordx4 off, v[26:29], off offset:32
.LBB67_39:
	s_or_b64 exec, exec, s[6:7]
	scratch_load_dwordx4 v[2:5], v24, off
	v_cmp_ne_u32_e32 vcc, 3, v0
                                        ; implicit-def: $vgpr6_vgpr7
                                        ; implicit-def: $vgpr10
	s_waitcnt vmcnt(0)
	ds_write_b128 v8, v[2:5]
	s_waitcnt lgkmcnt(0)
	; wave barrier
	s_waitcnt lgkmcnt(0)
	s_and_saveexec_b64 s[6:7], vcc
	s_cbranch_execz .LBB67_47
; %bb.40:
	ds_read_b128 v[0:3], v8
	s_and_b64 vcc, exec, s[2:3]
	s_cbranch_vccnz .LBB67_42
; %bb.41:
	scratch_load_dwordx4 v[4:7], v9, off
	s_waitcnt vmcnt(0) lgkmcnt(0)
	v_mul_f64 v[10:11], v[2:3], v[6:7]
	v_mul_f64 v[6:7], v[0:1], v[6:7]
	v_fmac_f64_e32 v[6:7], v[2:3], v[4:5]
	v_fma_f64 v[0:1], v[0:1], v[4:5], -v[10:11]
	v_mov_b64_e32 v[2:3], v[6:7]
.LBB67_42:
	s_and_saveexec_b64 s[2:3], s[4:5]
	s_cbranch_execz .LBB67_46
; %bb.43:
	scratch_load_dwordx4 v[4:7], v9, off offset:16
	ds_read_b128 v[8:11], v8 offset:16
	s_waitcnt vmcnt(0) lgkmcnt(0)
	v_mul_f64 v[12:13], v[10:11], v[6:7]
	v_mul_f64 v[6:7], v[8:9], v[6:7]
	v_fma_f64 v[8:9], v[8:9], v[4:5], -v[12:13]
	v_fmac_f64_e32 v[6:7], v[10:11], v[4:5]
	v_add_f64 v[0:1], v[0:1], v[8:9]
	v_add_f64 v[2:3], v[2:3], v[6:7]
	s_and_saveexec_b64 s[4:5], s[0:1]
	s_cbranch_execz .LBB67_45
; %bb.44:
	scratch_load_dwordx4 v[4:7], off, off offset:32
	v_mov_b32_e32 v8, 0
	ds_read_b128 v[8:11], v8 offset:96
	s_waitcnt vmcnt(0) lgkmcnt(0)
	v_mul_f64 v[12:13], v[8:9], v[6:7]
	v_mul_f64 v[6:7], v[10:11], v[6:7]
	v_fmac_f64_e32 v[12:13], v[10:11], v[4:5]
	v_fma_f64 v[4:5], v[8:9], v[4:5], -v[6:7]
	v_add_f64 v[2:3], v[2:3], v[12:13]
	v_add_f64 v[0:1], v[0:1], v[4:5]
.LBB67_45:
	s_or_b64 exec, exec, s[4:5]
.LBB67_46:
	s_or_b64 exec, exec, s[2:3]
	v_mov_b32_e32 v4, 0
	ds_read_b128 v[4:7], v4 offset:48
	v_mov_b32_e32 v8, 0
	v_add_u32_e32 v10, 56, v8
	s_or_b64 s[8:9], s[8:9], exec
	s_waitcnt lgkmcnt(0)
	v_mul_f64 v[8:9], v[2:3], v[6:7]
	v_mul_f64 v[6:7], v[0:1], v[6:7]
	v_fma_f64 v[0:1], v[0:1], v[4:5], -v[8:9]
	v_fmac_f64_e32 v[6:7], v[2:3], v[4:5]
	scratch_store_dwordx2 off, v[0:1], off offset:48
.LBB67_47:
	s_or_b64 exec, exec, s[6:7]
.LBB67_48:
	s_and_saveexec_b64 s[0:1], s[8:9]
	s_cbranch_execz .LBB67_50
; %bb.49:
	scratch_store_dwordx2 v10, v[6:7], off
.LBB67_50:
	s_or_b64 exec, exec, s[0:1]
	scratch_load_dwordx4 v[0:3], off, off
	scratch_load_dwordx4 v[4:7], v23, off
	scratch_load_dwordx4 v[8:11], v25, off
	scratch_load_dwordx4 v[26:29], v24, off
	s_waitcnt vmcnt(3)
	global_store_dwordx4 v[14:15], v[0:3], off
	s_waitcnt vmcnt(3)
	global_store_dwordx4 v[16:17], v[4:7], off
	;; [unrolled: 2-line block ×4, first 2 shown]
.LBB67_51:
	s_endpgm
	.section	.rodata,"a",@progbits
	.p2align	6, 0x0
	.amdhsa_kernel _ZN9rocsolver6v33100L18trti2_kernel_smallILi4E19rocblas_complex_numIdEPKPS3_EEv13rocblas_fill_17rocblas_diagonal_T1_iil
		.amdhsa_group_segment_fixed_size 128
		.amdhsa_private_segment_fixed_size 80
		.amdhsa_kernarg_size 32
		.amdhsa_user_sgpr_count 2
		.amdhsa_user_sgpr_dispatch_ptr 0
		.amdhsa_user_sgpr_queue_ptr 0
		.amdhsa_user_sgpr_kernarg_segment_ptr 1
		.amdhsa_user_sgpr_dispatch_id 0
		.amdhsa_user_sgpr_kernarg_preload_length 0
		.amdhsa_user_sgpr_kernarg_preload_offset 0
		.amdhsa_user_sgpr_private_segment_size 0
		.amdhsa_uses_dynamic_stack 0
		.amdhsa_enable_private_segment 1
		.amdhsa_system_sgpr_workgroup_id_x 1
		.amdhsa_system_sgpr_workgroup_id_y 0
		.amdhsa_system_sgpr_workgroup_id_z 0
		.amdhsa_system_sgpr_workgroup_info 0
		.amdhsa_system_vgpr_workitem_id 0
		.amdhsa_next_free_vgpr 32
		.amdhsa_next_free_sgpr 12
		.amdhsa_accum_offset 32
		.amdhsa_reserve_vcc 1
		.amdhsa_float_round_mode_32 0
		.amdhsa_float_round_mode_16_64 0
		.amdhsa_float_denorm_mode_32 3
		.amdhsa_float_denorm_mode_16_64 3
		.amdhsa_dx10_clamp 1
		.amdhsa_ieee_mode 1
		.amdhsa_fp16_overflow 0
		.amdhsa_tg_split 0
		.amdhsa_exception_fp_ieee_invalid_op 0
		.amdhsa_exception_fp_denorm_src 0
		.amdhsa_exception_fp_ieee_div_zero 0
		.amdhsa_exception_fp_ieee_overflow 0
		.amdhsa_exception_fp_ieee_underflow 0
		.amdhsa_exception_fp_ieee_inexact 0
		.amdhsa_exception_int_div_zero 0
	.end_amdhsa_kernel
	.section	.text._ZN9rocsolver6v33100L18trti2_kernel_smallILi4E19rocblas_complex_numIdEPKPS3_EEv13rocblas_fill_17rocblas_diagonal_T1_iil,"axG",@progbits,_ZN9rocsolver6v33100L18trti2_kernel_smallILi4E19rocblas_complex_numIdEPKPS3_EEv13rocblas_fill_17rocblas_diagonal_T1_iil,comdat
.Lfunc_end67:
	.size	_ZN9rocsolver6v33100L18trti2_kernel_smallILi4E19rocblas_complex_numIdEPKPS3_EEv13rocblas_fill_17rocblas_diagonal_T1_iil, .Lfunc_end67-_ZN9rocsolver6v33100L18trti2_kernel_smallILi4E19rocblas_complex_numIdEPKPS3_EEv13rocblas_fill_17rocblas_diagonal_T1_iil
                                        ; -- End function
	.section	.AMDGPU.csdata,"",@progbits
; Kernel info:
; codeLenInByte = 2356
; NumSgprs: 18
; NumVgprs: 32
; NumAgprs: 0
; TotalNumVgprs: 32
; ScratchSize: 80
; MemoryBound: 0
; FloatMode: 240
; IeeeMode: 1
; LDSByteSize: 128 bytes/workgroup (compile time only)
; SGPRBlocks: 2
; VGPRBlocks: 3
; NumSGPRsForWavesPerEU: 18
; NumVGPRsForWavesPerEU: 32
; AccumOffset: 32
; Occupancy: 8
; WaveLimiterHint : 1
; COMPUTE_PGM_RSRC2:SCRATCH_EN: 1
; COMPUTE_PGM_RSRC2:USER_SGPR: 2
; COMPUTE_PGM_RSRC2:TRAP_HANDLER: 0
; COMPUTE_PGM_RSRC2:TGID_X_EN: 1
; COMPUTE_PGM_RSRC2:TGID_Y_EN: 0
; COMPUTE_PGM_RSRC2:TGID_Z_EN: 0
; COMPUTE_PGM_RSRC2:TIDIG_COMP_CNT: 0
; COMPUTE_PGM_RSRC3_GFX90A:ACCUM_OFFSET: 7
; COMPUTE_PGM_RSRC3_GFX90A:TG_SPLIT: 0
	.section	.text._ZN9rocsolver6v33100L18trti2_kernel_smallILi5E19rocblas_complex_numIdEPKPS3_EEv13rocblas_fill_17rocblas_diagonal_T1_iil,"axG",@progbits,_ZN9rocsolver6v33100L18trti2_kernel_smallILi5E19rocblas_complex_numIdEPKPS3_EEv13rocblas_fill_17rocblas_diagonal_T1_iil,comdat
	.globl	_ZN9rocsolver6v33100L18trti2_kernel_smallILi5E19rocblas_complex_numIdEPKPS3_EEv13rocblas_fill_17rocblas_diagonal_T1_iil ; -- Begin function _ZN9rocsolver6v33100L18trti2_kernel_smallILi5E19rocblas_complex_numIdEPKPS3_EEv13rocblas_fill_17rocblas_diagonal_T1_iil
	.p2align	8
	.type	_ZN9rocsolver6v33100L18trti2_kernel_smallILi5E19rocblas_complex_numIdEPKPS3_EEv13rocblas_fill_17rocblas_diagonal_T1_iil,@function
_ZN9rocsolver6v33100L18trti2_kernel_smallILi5E19rocblas_complex_numIdEPKPS3_EEv13rocblas_fill_17rocblas_diagonal_T1_iil: ; @_ZN9rocsolver6v33100L18trti2_kernel_smallILi5E19rocblas_complex_numIdEPKPS3_EEv13rocblas_fill_17rocblas_diagonal_T1_iil
; %bb.0:
	v_cmp_gt_u32_e32 vcc, 5, v0
	s_and_saveexec_b64 s[4:5], vcc
	s_cbranch_execz .LBB68_67
; %bb.1:
	s_load_dwordx2 s[8:9], s[0:1], 0x10
	s_load_dwordx4 s[4:7], s[0:1], 0x0
	s_ashr_i32 s3, s2, 31
	s_lshl_b64 s[0:1], s[2:3], 3
	v_lshlrev_b32_e32 v24, 4, v0
	s_waitcnt lgkmcnt(0)
	s_ashr_i32 s3, s8, 31
	s_add_u32 s0, s6, s0
	s_addc_u32 s1, s7, s1
	s_load_dwordx2 s[0:1], s[0:1], 0x0
	s_mov_b32 s2, s8
	s_lshl_b64 s[2:3], s[2:3], 4
	v_mov_b32_e32 v25, 0
	v_mov_b32_e32 v12, 0
	s_waitcnt lgkmcnt(0)
	s_add_u32 s0, s0, s2
	s_addc_u32 s1, s1, s3
	v_lshl_add_u64 v[14:15], s[0:1], 0, v[24:25]
	s_ashr_i32 s3, s9, 31
	s_mov_b32 s2, s9
	v_lshl_add_u64 v[16:17], s[2:3], 4, v[14:15]
	s_add_i32 s2, s9, s9
	v_add_u32_e32 v10, s2, v0
	v_ashrrev_i32_e32 v11, 31, v10
	v_lshl_add_u64 v[18:19], v[10:11], 4, s[0:1]
	v_add_u32_e32 v10, s9, v10
	v_ashrrev_i32_e32 v11, 31, v10
	v_lshl_add_u64 v[20:21], v[10:11], 4, s[0:1]
	v_add_u32_e32 v10, s9, v10
	v_ashrrev_i32_e32 v11, 31, v10
	v_lshl_add_u64 v[22:23], v[10:11], 4, s[0:1]
	global_load_dwordx4 v[2:5], v24, s[0:1]
	global_load_dwordx4 v[6:9], v[16:17], off
	global_load_dwordx4 v[26:29], v[18:19], off
	;; [unrolled: 1-line block ×4, first 2 shown]
	s_cmpk_lg_i32 s5, 0x84
	s_cselect_b64 s[6:7], -1, 0
	s_cmpk_eq_i32 s5, 0x84
	s_waitcnt vmcnt(4)
	scratch_store_dwordx4 off, v[2:5], off
	s_waitcnt vmcnt(4)
	scratch_store_dwordx4 off, v[6:9], off offset:16
	s_waitcnt vmcnt(4)
	scratch_store_dwordx4 off, v[26:29], off offset:32
	;; [unrolled: 2-line block ×4, first 2 shown]
	s_cbranch_scc1 .LBB68_7
; %bb.2:
	scratch_load_dwordx4 v[2:5], v24, off
                                        ; implicit-def: $vgpr10_vgpr11
	s_waitcnt vmcnt(0)
	v_xor_b32_e32 v1, 0x80000000, v3
	v_cmp_gt_f64_e32 vcc, 0, v[2:3]
	v_xor_b32_e32 v8, 0x80000000, v5
	v_mov_b32_e32 v6, v2
	v_cndmask_b32_e32 v7, v3, v1, vcc
	v_cmp_gt_f64_e32 vcc, 0, v[4:5]
	s_nop 1
	v_cndmask_b32_e32 v9, v5, v8, vcc
	v_mov_b32_e32 v8, v4
	v_cmp_ngt_f64_e32 vcc, v[6:7], v[8:9]
                                        ; implicit-def: $vgpr6_vgpr7
	s_and_saveexec_b64 s[0:1], vcc
	s_xor_b64 s[0:1], exec, s[0:1]
	s_cbranch_execz .LBB68_4
; %bb.3:
	v_div_scale_f64 v[6:7], s[2:3], v[4:5], v[4:5], v[2:3]
	v_rcp_f64_e32 v[8:9], v[6:7]
	v_div_scale_f64 v[10:11], vcc, v[2:3], v[4:5], v[2:3]
	v_fma_f64 v[26:27], -v[6:7], v[8:9], 1.0
	v_fmac_f64_e32 v[8:9], v[8:9], v[26:27]
	v_fma_f64 v[26:27], -v[6:7], v[8:9], 1.0
	v_fmac_f64_e32 v[8:9], v[8:9], v[26:27]
	v_mul_f64 v[26:27], v[10:11], v[8:9]
	v_fma_f64 v[6:7], -v[6:7], v[26:27], v[10:11]
	v_div_fmas_f64 v[6:7], v[6:7], v[8:9], v[26:27]
	v_div_fixup_f64 v[6:7], v[6:7], v[4:5], v[2:3]
	v_fmac_f64_e32 v[4:5], v[2:3], v[6:7]
	v_div_scale_f64 v[2:3], s[2:3], v[4:5], v[4:5], 1.0
	v_rcp_f64_e32 v[8:9], v[2:3]
	s_nop 0
	v_fma_f64 v[10:11], -v[2:3], v[8:9], 1.0
	v_fmac_f64_e32 v[8:9], v[8:9], v[10:11]
	v_fma_f64 v[10:11], -v[2:3], v[8:9], 1.0
	v_fmac_f64_e32 v[8:9], v[8:9], v[10:11]
	v_div_scale_f64 v[10:11], vcc, 1.0, v[4:5], 1.0
	v_mul_f64 v[26:27], v[10:11], v[8:9]
	v_fma_f64 v[2:3], -v[2:3], v[26:27], v[10:11]
	s_nop 1
	v_div_fmas_f64 v[2:3], v[2:3], v[8:9], v[26:27]
	v_div_fixup_f64 v[8:9], v[2:3], v[4:5], 1.0
	v_mul_f64 v[6:7], v[6:7], v[8:9]
	v_xor_b32_e32 v9, 0x80000000, v9
	v_xor_b32_e32 v11, 0x80000000, v7
	v_mov_b32_e32 v10, v6
                                        ; implicit-def: $vgpr2_vgpr3
.LBB68_4:
	s_or_saveexec_b64 s[0:1], s[0:1]
	v_add_u32_e32 v1, 0, v24
	s_xor_b64 exec, exec, s[0:1]
	s_cbranch_execz .LBB68_6
; %bb.5:
	v_div_scale_f64 v[6:7], s[2:3], v[2:3], v[2:3], v[4:5]
	v_rcp_f64_e32 v[8:9], v[6:7]
	v_div_scale_f64 v[10:11], vcc, v[4:5], v[2:3], v[4:5]
	v_fma_f64 v[26:27], -v[6:7], v[8:9], 1.0
	v_fmac_f64_e32 v[8:9], v[8:9], v[26:27]
	v_fma_f64 v[26:27], -v[6:7], v[8:9], 1.0
	v_fmac_f64_e32 v[8:9], v[8:9], v[26:27]
	v_mul_f64 v[26:27], v[10:11], v[8:9]
	v_fma_f64 v[6:7], -v[6:7], v[26:27], v[10:11]
	v_div_fmas_f64 v[6:7], v[6:7], v[8:9], v[26:27]
	v_div_fixup_f64 v[8:9], v[6:7], v[2:3], v[4:5]
	v_fmac_f64_e32 v[2:3], v[4:5], v[8:9]
	v_div_scale_f64 v[4:5], s[2:3], v[2:3], v[2:3], 1.0
	v_rcp_f64_e32 v[6:7], v[4:5]
	s_nop 0
	v_fma_f64 v[10:11], -v[4:5], v[6:7], 1.0
	v_fmac_f64_e32 v[6:7], v[6:7], v[10:11]
	v_fma_f64 v[10:11], -v[4:5], v[6:7], 1.0
	v_fmac_f64_e32 v[6:7], v[6:7], v[10:11]
	v_div_scale_f64 v[10:11], vcc, 1.0, v[2:3], 1.0
	v_mul_f64 v[26:27], v[10:11], v[6:7]
	v_fma_f64 v[4:5], -v[4:5], v[26:27], v[10:11]
	s_nop 1
	v_div_fmas_f64 v[4:5], v[4:5], v[6:7], v[26:27]
	v_div_fixup_f64 v[6:7], v[4:5], v[2:3], 1.0
	v_xor_b32_e32 v11, 0x80000000, v7
	v_mov_b32_e32 v10, v6
	v_mul_f64 v[8:9], v[8:9], -v[6:7]
.LBB68_6:
	s_or_b64 exec, exec, s[0:1]
	scratch_store_dwordx4 v1, v[6:9], off
	s_nop 1
	v_xor_b32_e32 v9, 0x80000000, v9
	s_branch .LBB68_8
.LBB68_7:
	v_mov_b64_e32 v[8:9], 0
	v_mov_b64_e32 v[10:11], -1.0
.LBB68_8:
	v_add_u32_e32 v25, 16, v12
	v_add_u32_e32 v1, 32, v12
	;; [unrolled: 1-line block ×4, first 2 shown]
	v_mov_b32_e32 v12, v8
	v_mov_b32_e32 v13, v9
	s_cmpk_eq_i32 s4, 0x79
	v_add_u32_e32 v9, 0x50, v24
	v_add_u32_e32 v8, 0, v24
	ds_write_b128 v24, v[10:13]
	s_cbranch_scc1 .LBB68_36
; %bb.9:
	scratch_load_dwordx4 v[2:5], v26, off
	v_cmp_eq_u32_e64 s[0:1], 4, v0
	s_waitcnt vmcnt(0)
	ds_write_b128 v9, v[2:5]
	s_waitcnt lgkmcnt(0)
	; wave barrier
	s_waitcnt lgkmcnt(0)
	s_and_saveexec_b64 s[2:3], s[0:1]
	s_cbranch_execz .LBB68_13
; %bb.10:
	ds_read_b128 v[2:5], v9
	s_andn2_b64 vcc, exec, s[6:7]
	s_cbranch_vccnz .LBB68_12
; %bb.11:
	scratch_load_dwordx4 v[10:13], v8, off
	s_waitcnt vmcnt(0) lgkmcnt(0)
	v_mul_f64 v[6:7], v[4:5], v[12:13]
	v_mul_f64 v[12:13], v[2:3], v[12:13]
	v_fmac_f64_e32 v[12:13], v[4:5], v[10:11]
	v_fma_f64 v[2:3], v[2:3], v[10:11], -v[6:7]
	v_mov_b64_e32 v[4:5], v[12:13]
.LBB68_12:
	v_mov_b32_e32 v6, 0
	ds_read_b128 v[10:13], v6 offset:48
	s_waitcnt lgkmcnt(0)
	v_mul_f64 v[6:7], v[4:5], v[12:13]
	v_mul_f64 v[30:31], v[2:3], v[12:13]
	v_fma_f64 v[28:29], v[2:3], v[10:11], -v[6:7]
	v_fmac_f64_e32 v[30:31], v[4:5], v[10:11]
	scratch_store_dwordx4 off, v[28:31], off offset:48
.LBB68_13:
	s_or_b64 exec, exec, s[2:3]
	scratch_load_dwordx4 v[2:5], v1, off
	v_cmp_lt_u32_e64 s[2:3], 2, v0
	s_waitcnt vmcnt(0)
	ds_write_b128 v9, v[2:5]
	s_waitcnt lgkmcnt(0)
	; wave barrier
	s_waitcnt lgkmcnt(0)
	s_and_saveexec_b64 s[4:5], s[2:3]
	s_cbranch_execz .LBB68_19
; %bb.14:
	ds_read_b128 v[2:5], v9
	s_andn2_b64 vcc, exec, s[6:7]
	s_cbranch_vccnz .LBB68_16
; %bb.15:
	scratch_load_dwordx4 v[10:13], v8, off
	s_waitcnt vmcnt(0) lgkmcnt(0)
	v_mul_f64 v[6:7], v[4:5], v[12:13]
	v_mul_f64 v[12:13], v[2:3], v[12:13]
	v_fmac_f64_e32 v[12:13], v[4:5], v[10:11]
	v_fma_f64 v[2:3], v[2:3], v[10:11], -v[6:7]
	v_mov_b64_e32 v[4:5], v[12:13]
.LBB68_16:
	s_and_saveexec_b64 s[8:9], s[0:1]
	s_cbranch_execz .LBB68_18
; %bb.17:
	scratch_load_dwordx4 v[10:13], off, off offset:48
	v_mov_b32_e32 v6, 0
	ds_read_b128 v[28:31], v6 offset:128
	s_waitcnt vmcnt(0) lgkmcnt(0)
	v_mul_f64 v[6:7], v[28:29], v[12:13]
	v_mul_f64 v[12:13], v[30:31], v[12:13]
	v_fmac_f64_e32 v[6:7], v[30:31], v[10:11]
	v_fma_f64 v[10:11], v[28:29], v[10:11], -v[12:13]
	v_add_f64 v[4:5], v[4:5], v[6:7]
	v_add_f64 v[2:3], v[2:3], v[10:11]
.LBB68_18:
	s_or_b64 exec, exec, s[8:9]
	v_mov_b32_e32 v6, 0
	ds_read_b128 v[10:13], v6 offset:32
	s_waitcnt lgkmcnt(0)
	v_mul_f64 v[6:7], v[4:5], v[12:13]
	v_mul_f64 v[30:31], v[2:3], v[12:13]
	v_fma_f64 v[28:29], v[2:3], v[10:11], -v[6:7]
	v_fmac_f64_e32 v[30:31], v[4:5], v[10:11]
	scratch_store_dwordx4 off, v[28:31], off offset:32
.LBB68_19:
	s_or_b64 exec, exec, s[4:5]
	scratch_load_dwordx4 v[2:5], v25, off
	v_cmp_lt_u32_e64 s[0:1], 1, v0
	s_waitcnt vmcnt(0)
	ds_write_b128 v9, v[2:5]
	s_waitcnt lgkmcnt(0)
	; wave barrier
	s_waitcnt lgkmcnt(0)
	s_and_saveexec_b64 s[4:5], s[0:1]
	s_cbranch_execz .LBB68_27
; %bb.20:
	ds_read_b128 v[2:5], v9
	s_andn2_b64 vcc, exec, s[6:7]
	s_cbranch_vccnz .LBB68_22
; %bb.21:
	scratch_load_dwordx4 v[10:13], v8, off
	s_waitcnt vmcnt(0) lgkmcnt(0)
	v_mul_f64 v[6:7], v[4:5], v[12:13]
	v_mul_f64 v[12:13], v[2:3], v[12:13]
	v_fmac_f64_e32 v[12:13], v[4:5], v[10:11]
	v_fma_f64 v[2:3], v[2:3], v[10:11], -v[6:7]
	v_mov_b64_e32 v[4:5], v[12:13]
.LBB68_22:
	s_and_saveexec_b64 s[8:9], s[2:3]
	s_cbranch_execz .LBB68_26
; %bb.23:
	v_mov_b32_e32 v7, 0
	v_add_u32_e32 v6, -2, v0
	v_add_u32_e32 v7, 40, v7
	s_movk_i32 s10, 0x70
	s_mov_b64 s[2:3], 0
.LBB68_24:                              ; =>This Inner Loop Header: Depth=1
	v_add_u32_e32 v10, -8, v7
	scratch_load_dwordx4 v[10:13], v10, off
	v_mov_b32_e32 v28, s10
	ds_read_b128 v[28:31], v28
	v_add_u32_e32 v6, -1, v6
	s_add_i32 s10, s10, 16
	v_cmp_eq_u32_e32 vcc, 0, v6
	v_add_u32_e32 v7, 16, v7
	s_or_b64 s[2:3], vcc, s[2:3]
	s_waitcnt vmcnt(0) lgkmcnt(0)
	v_mul_f64 v[32:33], v[30:31], v[12:13]
	v_mul_f64 v[12:13], v[28:29], v[12:13]
	v_fma_f64 v[28:29], v[28:29], v[10:11], -v[32:33]
	v_fmac_f64_e32 v[12:13], v[30:31], v[10:11]
	v_add_f64 v[2:3], v[2:3], v[28:29]
	v_add_f64 v[4:5], v[4:5], v[12:13]
	s_andn2_b64 exec, exec, s[2:3]
	s_cbranch_execnz .LBB68_24
; %bb.25:
	s_or_b64 exec, exec, s[2:3]
.LBB68_26:
	s_or_b64 exec, exec, s[8:9]
	v_mov_b32_e32 v6, 0
	ds_read_b128 v[10:13], v6 offset:16
	s_waitcnt lgkmcnt(0)
	v_mul_f64 v[6:7], v[4:5], v[12:13]
	v_mul_f64 v[30:31], v[2:3], v[12:13]
	v_fma_f64 v[28:29], v[2:3], v[10:11], -v[6:7]
	v_fmac_f64_e32 v[30:31], v[4:5], v[10:11]
	scratch_store_dwordx4 off, v[28:31], off offset:16
.LBB68_27:
	s_or_b64 exec, exec, s[4:5]
	scratch_load_dwordx4 v[2:5], off, off
	v_cmp_ne_u32_e32 vcc, 0, v0
	s_mov_b64 s[2:3], 0
	s_mov_b64 s[8:9], 0
                                        ; implicit-def: $vgpr6_vgpr7
                                        ; implicit-def: $vgpr10
	s_waitcnt vmcnt(0)
	ds_write_b128 v9, v[2:5]
	s_waitcnt lgkmcnt(0)
	; wave barrier
	s_waitcnt lgkmcnt(0)
	s_and_saveexec_b64 s[4:5], vcc
	s_cbranch_execz .LBB68_35
; %bb.28:
	ds_read_b128 v[2:5], v9
	s_andn2_b64 vcc, exec, s[6:7]
	s_cbranch_vccnz .LBB68_30
; %bb.29:
	scratch_load_dwordx4 v[10:13], v8, off
	s_waitcnt vmcnt(0) lgkmcnt(0)
	v_mul_f64 v[6:7], v[4:5], v[12:13]
	v_mul_f64 v[12:13], v[2:3], v[12:13]
	v_fmac_f64_e32 v[12:13], v[4:5], v[10:11]
	v_fma_f64 v[2:3], v[2:3], v[10:11], -v[6:7]
	v_mov_b64_e32 v[4:5], v[12:13]
.LBB68_30:
	s_and_saveexec_b64 s[8:9], s[0:1]
	s_cbranch_execz .LBB68_34
; %bb.31:
	v_mov_b32_e32 v7, 0
	v_add_u32_e32 v6, -1, v0
	v_add_u32_e32 v7, 24, v7
	s_movk_i32 s10, 0x60
	s_mov_b64 s[0:1], 0
.LBB68_32:                              ; =>This Inner Loop Header: Depth=1
	v_add_u32_e32 v10, -8, v7
	scratch_load_dwordx4 v[10:13], v10, off
	v_mov_b32_e32 v28, s10
	ds_read_b128 v[28:31], v28
	v_add_u32_e32 v6, -1, v6
	s_add_i32 s10, s10, 16
	v_cmp_eq_u32_e32 vcc, 0, v6
	v_add_u32_e32 v7, 16, v7
	s_or_b64 s[0:1], vcc, s[0:1]
	s_waitcnt vmcnt(0) lgkmcnt(0)
	v_mul_f64 v[32:33], v[30:31], v[12:13]
	v_mul_f64 v[12:13], v[28:29], v[12:13]
	v_fma_f64 v[28:29], v[28:29], v[10:11], -v[32:33]
	v_fmac_f64_e32 v[12:13], v[30:31], v[10:11]
	v_add_f64 v[2:3], v[2:3], v[28:29]
	v_add_f64 v[4:5], v[4:5], v[12:13]
	s_andn2_b64 exec, exec, s[0:1]
	s_cbranch_execnz .LBB68_32
; %bb.33:
	s_or_b64 exec, exec, s[0:1]
.LBB68_34:
	s_or_b64 exec, exec, s[8:9]
	v_mov_b32_e32 v6, 0
	ds_read_b128 v[28:31], v6
	v_mov_b32_e32 v6, 0
	v_or_b32_e32 v10, 8, v6
	s_mov_b64 s[8:9], exec
	s_waitcnt lgkmcnt(0)
	v_mul_f64 v[12:13], v[4:5], v[30:31]
	v_mul_f64 v[6:7], v[2:3], v[30:31]
	v_fma_f64 v[2:3], v[2:3], v[28:29], -v[12:13]
	v_fmac_f64_e32 v[6:7], v[4:5], v[28:29]
	scratch_store_dwordx2 off, v[2:3], off
.LBB68_35:
	s_or_b64 exec, exec, s[4:5]
	s_and_b64 vcc, exec, s[2:3]
	s_cbranch_vccnz .LBB68_37
	s_branch .LBB68_64
.LBB68_36:
	s_mov_b64 s[8:9], 0
                                        ; implicit-def: $vgpr6_vgpr7
                                        ; implicit-def: $vgpr10
	s_cbranch_execz .LBB68_64
.LBB68_37:
	scratch_load_dwordx4 v[2:5], v25, off
	v_cndmask_b32_e64 v6, 0, 1, s[6:7]
	v_cmp_eq_u32_e64 s[2:3], 0, v0
	v_cmp_ne_u32_e64 s[0:1], 1, v6
	s_waitcnt vmcnt(0)
	ds_write_b128 v9, v[2:5]
	s_waitcnt lgkmcnt(0)
	; wave barrier
	s_waitcnt lgkmcnt(0)
	s_and_saveexec_b64 s[4:5], s[2:3]
	s_cbranch_execz .LBB68_41
; %bb.38:
	ds_read_b128 v[2:5], v9
	s_and_b64 vcc, exec, s[0:1]
	s_cbranch_vccnz .LBB68_40
; %bb.39:
	scratch_load_dwordx4 v[10:13], v8, off
	s_waitcnt vmcnt(0) lgkmcnt(0)
	v_mul_f64 v[6:7], v[4:5], v[12:13]
	v_mul_f64 v[12:13], v[2:3], v[12:13]
	v_fmac_f64_e32 v[12:13], v[4:5], v[10:11]
	v_fma_f64 v[2:3], v[2:3], v[10:11], -v[6:7]
	v_mov_b64_e32 v[4:5], v[12:13]
.LBB68_40:
	v_mov_b32_e32 v6, 0
	ds_read_b128 v[10:13], v6 offset:16
	s_waitcnt lgkmcnt(0)
	v_mul_f64 v[6:7], v[4:5], v[12:13]
	v_mul_f64 v[30:31], v[2:3], v[12:13]
	v_fma_f64 v[28:29], v[2:3], v[10:11], -v[6:7]
	v_fmac_f64_e32 v[30:31], v[4:5], v[10:11]
	scratch_store_dwordx4 off, v[28:31], off offset:16
.LBB68_41:
	s_or_b64 exec, exec, s[4:5]
	scratch_load_dwordx4 v[2:5], v1, off
	v_cmp_gt_u32_e32 vcc, 2, v0
	s_waitcnt vmcnt(0)
	ds_write_b128 v9, v[2:5]
	s_waitcnt lgkmcnt(0)
	; wave barrier
	s_waitcnt lgkmcnt(0)
	s_and_saveexec_b64 s[4:5], vcc
	s_cbranch_execz .LBB68_47
; %bb.42:
	ds_read_b128 v[2:5], v9
	s_and_b64 vcc, exec, s[0:1]
	s_cbranch_vccnz .LBB68_44
; %bb.43:
	scratch_load_dwordx4 v[10:13], v8, off
	s_waitcnt vmcnt(0) lgkmcnt(0)
	v_mul_f64 v[6:7], v[4:5], v[12:13]
	v_mul_f64 v[12:13], v[2:3], v[12:13]
	v_fmac_f64_e32 v[12:13], v[4:5], v[10:11]
	v_fma_f64 v[2:3], v[2:3], v[10:11], -v[6:7]
	v_mov_b64_e32 v[4:5], v[12:13]
.LBB68_44:
	s_and_saveexec_b64 s[6:7], s[2:3]
	s_cbranch_execz .LBB68_46
; %bb.45:
	scratch_load_dwordx4 v[10:13], v8, off offset:16
	ds_read_b128 v[28:31], v9 offset:16
	s_waitcnt vmcnt(0) lgkmcnt(0)
	v_mul_f64 v[6:7], v[30:31], v[12:13]
	v_mul_f64 v[12:13], v[28:29], v[12:13]
	v_fma_f64 v[6:7], v[28:29], v[10:11], -v[6:7]
	v_fmac_f64_e32 v[12:13], v[30:31], v[10:11]
	v_add_f64 v[2:3], v[2:3], v[6:7]
	v_add_f64 v[4:5], v[4:5], v[12:13]
.LBB68_46:
	s_or_b64 exec, exec, s[6:7]
	v_mov_b32_e32 v6, 0
	ds_read_b128 v[10:13], v6 offset:32
	s_waitcnt lgkmcnt(0)
	v_mul_f64 v[6:7], v[4:5], v[12:13]
	v_mul_f64 v[30:31], v[2:3], v[12:13]
	v_fma_f64 v[28:29], v[2:3], v[10:11], -v[6:7]
	v_fmac_f64_e32 v[30:31], v[4:5], v[10:11]
	scratch_store_dwordx4 off, v[28:31], off offset:32
.LBB68_47:
	s_or_b64 exec, exec, s[4:5]
	scratch_load_dwordx4 v[2:5], v26, off
	v_cmp_gt_u32_e64 s[4:5], 3, v0
	s_waitcnt vmcnt(0)
	ds_write_b128 v9, v[2:5]
	s_waitcnt lgkmcnt(0)
	; wave barrier
	s_waitcnt lgkmcnt(0)
	s_and_saveexec_b64 s[6:7], s[4:5]
	s_cbranch_execz .LBB68_55
; %bb.48:
	ds_read_b128 v[2:5], v9
	s_and_b64 vcc, exec, s[0:1]
	s_cbranch_vccnz .LBB68_50
; %bb.49:
	scratch_load_dwordx4 v[10:13], v8, off
	s_waitcnt vmcnt(0) lgkmcnt(0)
	v_mul_f64 v[6:7], v[4:5], v[12:13]
	v_mul_f64 v[12:13], v[2:3], v[12:13]
	v_fmac_f64_e32 v[12:13], v[4:5], v[10:11]
	v_fma_f64 v[2:3], v[2:3], v[10:11], -v[6:7]
	v_mov_b64_e32 v[4:5], v[12:13]
.LBB68_50:
	v_cmp_ne_u32_e32 vcc, 2, v0
	s_and_saveexec_b64 s[10:11], vcc
	s_cbranch_execz .LBB68_54
; %bb.51:
	scratch_load_dwordx4 v[10:13], v8, off offset:16
	ds_read_b128 v[28:31], v9 offset:16
	s_waitcnt vmcnt(0) lgkmcnt(0)
	v_mul_f64 v[6:7], v[30:31], v[12:13]
	v_mul_f64 v[12:13], v[28:29], v[12:13]
	v_fma_f64 v[6:7], v[28:29], v[10:11], -v[6:7]
	v_fmac_f64_e32 v[12:13], v[30:31], v[10:11]
	v_add_f64 v[2:3], v[2:3], v[6:7]
	v_add_f64 v[4:5], v[4:5], v[12:13]
	s_and_saveexec_b64 s[12:13], s[2:3]
	s_cbranch_execz .LBB68_53
; %bb.52:
	scratch_load_dwordx4 v[10:13], off, off offset:32
	v_mov_b32_e32 v6, 0
	ds_read_b128 v[28:31], v6 offset:112
	s_waitcnt vmcnt(0) lgkmcnt(0)
	v_mul_f64 v[6:7], v[28:29], v[12:13]
	v_mul_f64 v[12:13], v[30:31], v[12:13]
	v_fmac_f64_e32 v[6:7], v[30:31], v[10:11]
	v_fma_f64 v[10:11], v[28:29], v[10:11], -v[12:13]
	v_add_f64 v[4:5], v[4:5], v[6:7]
	v_add_f64 v[2:3], v[2:3], v[10:11]
.LBB68_53:
	s_or_b64 exec, exec, s[12:13]
.LBB68_54:
	s_or_b64 exec, exec, s[10:11]
	v_mov_b32_e32 v6, 0
	ds_read_b128 v[10:13], v6 offset:48
	s_waitcnt lgkmcnt(0)
	v_mul_f64 v[6:7], v[4:5], v[12:13]
	v_mul_f64 v[30:31], v[2:3], v[12:13]
	v_fma_f64 v[28:29], v[2:3], v[10:11], -v[6:7]
	v_fmac_f64_e32 v[30:31], v[4:5], v[10:11]
	scratch_store_dwordx4 off, v[28:31], off offset:48
.LBB68_55:
	s_or_b64 exec, exec, s[6:7]
	scratch_load_dwordx4 v[2:5], v27, off
	v_cmp_ne_u32_e32 vcc, 4, v0
                                        ; implicit-def: $vgpr6_vgpr7
                                        ; implicit-def: $vgpr10
	s_waitcnt vmcnt(0)
	ds_write_b128 v9, v[2:5]
	s_waitcnt lgkmcnt(0)
	; wave barrier
	s_waitcnt lgkmcnt(0)
	s_and_saveexec_b64 s[2:3], vcc
	s_cbranch_execz .LBB68_63
; %bb.56:
	ds_read_b128 v[2:5], v9
	s_and_b64 vcc, exec, s[0:1]
	s_cbranch_vccnz .LBB68_58
; %bb.57:
	scratch_load_dwordx4 v[6:9], v8, off
	s_waitcnt vmcnt(0) lgkmcnt(0)
	v_mul_f64 v[10:11], v[4:5], v[8:9]
	v_mul_f64 v[8:9], v[2:3], v[8:9]
	v_fmac_f64_e32 v[8:9], v[4:5], v[6:7]
	v_fma_f64 v[2:3], v[2:3], v[6:7], -v[10:11]
	v_mov_b64_e32 v[4:5], v[8:9]
.LBB68_58:
	s_and_saveexec_b64 s[0:1], s[4:5]
	s_cbranch_execz .LBB68_62
; %bb.59:
	v_mov_b32_e32 v7, 0
	v_add_u32_e32 v6, 0x60, v24
	v_add3_u32 v7, v24, v7, 24
	s_mov_b64 s[4:5], 0
.LBB68_60:                              ; =>This Inner Loop Header: Depth=1
	v_add_u32_e32 v8, -8, v7
	scratch_load_dwordx4 v[8:11], v8, off
	ds_read_b128 v[28:31], v6
	v_add_u32_e32 v0, 1, v0
	v_cmp_lt_u32_e32 vcc, 2, v0
	v_add_u32_e32 v6, 16, v6
	v_add_u32_e32 v7, 16, v7
	s_or_b64 s[4:5], vcc, s[4:5]
	s_waitcnt vmcnt(0) lgkmcnt(0)
	v_mul_f64 v[12:13], v[30:31], v[10:11]
	v_mul_f64 v[10:11], v[28:29], v[10:11]
	v_fma_f64 v[12:13], v[28:29], v[8:9], -v[12:13]
	v_fmac_f64_e32 v[10:11], v[30:31], v[8:9]
	v_add_f64 v[2:3], v[2:3], v[12:13]
	v_add_f64 v[4:5], v[4:5], v[10:11]
	s_andn2_b64 exec, exec, s[4:5]
	s_cbranch_execnz .LBB68_60
; %bb.61:
	s_or_b64 exec, exec, s[4:5]
.LBB68_62:
	s_or_b64 exec, exec, s[0:1]
	v_mov_b32_e32 v0, 0
	ds_read_b128 v[28:31], v0 offset:64
	v_mov_b32_e32 v0, 0
	v_add_u32_e32 v10, 0x48, v0
	s_or_b64 s[8:9], s[8:9], exec
	s_waitcnt lgkmcnt(0)
	v_mul_f64 v[8:9], v[4:5], v[30:31]
	v_mul_f64 v[6:7], v[2:3], v[30:31]
	v_fma_f64 v[2:3], v[2:3], v[28:29], -v[8:9]
	v_fmac_f64_e32 v[6:7], v[4:5], v[28:29]
	scratch_store_dwordx2 off, v[2:3], off offset:64
.LBB68_63:
	s_or_b64 exec, exec, s[2:3]
.LBB68_64:
	s_and_saveexec_b64 s[0:1], s[8:9]
	s_cbranch_execz .LBB68_66
; %bb.65:
	scratch_store_dwordx2 v10, v[6:7], off
.LBB68_66:
	s_or_b64 exec, exec, s[0:1]
	scratch_load_dwordx4 v[2:5], off, off
	scratch_load_dwordx4 v[6:9], v25, off
	scratch_load_dwordx4 v[10:13], v1, off
	;; [unrolled: 1-line block ×4, first 2 shown]
	s_waitcnt vmcnt(4)
	global_store_dwordx4 v[14:15], v[2:5], off
	s_waitcnt vmcnt(4)
	global_store_dwordx4 v[16:17], v[6:9], off
	;; [unrolled: 2-line block ×5, first 2 shown]
.LBB68_67:
	s_endpgm
	.section	.rodata,"a",@progbits
	.p2align	6, 0x0
	.amdhsa_kernel _ZN9rocsolver6v33100L18trti2_kernel_smallILi5E19rocblas_complex_numIdEPKPS3_EEv13rocblas_fill_17rocblas_diagonal_T1_iil
		.amdhsa_group_segment_fixed_size 160
		.amdhsa_private_segment_fixed_size 96
		.amdhsa_kernarg_size 32
		.amdhsa_user_sgpr_count 2
		.amdhsa_user_sgpr_dispatch_ptr 0
		.amdhsa_user_sgpr_queue_ptr 0
		.amdhsa_user_sgpr_kernarg_segment_ptr 1
		.amdhsa_user_sgpr_dispatch_id 0
		.amdhsa_user_sgpr_kernarg_preload_length 0
		.amdhsa_user_sgpr_kernarg_preload_offset 0
		.amdhsa_user_sgpr_private_segment_size 0
		.amdhsa_uses_dynamic_stack 0
		.amdhsa_enable_private_segment 1
		.amdhsa_system_sgpr_workgroup_id_x 1
		.amdhsa_system_sgpr_workgroup_id_y 0
		.amdhsa_system_sgpr_workgroup_id_z 0
		.amdhsa_system_sgpr_workgroup_info 0
		.amdhsa_system_vgpr_workitem_id 0
		.amdhsa_next_free_vgpr 38
		.amdhsa_next_free_sgpr 14
		.amdhsa_accum_offset 40
		.amdhsa_reserve_vcc 1
		.amdhsa_float_round_mode_32 0
		.amdhsa_float_round_mode_16_64 0
		.amdhsa_float_denorm_mode_32 3
		.amdhsa_float_denorm_mode_16_64 3
		.amdhsa_dx10_clamp 1
		.amdhsa_ieee_mode 1
		.amdhsa_fp16_overflow 0
		.amdhsa_tg_split 0
		.amdhsa_exception_fp_ieee_invalid_op 0
		.amdhsa_exception_fp_denorm_src 0
		.amdhsa_exception_fp_ieee_div_zero 0
		.amdhsa_exception_fp_ieee_overflow 0
		.amdhsa_exception_fp_ieee_underflow 0
		.amdhsa_exception_fp_ieee_inexact 0
		.amdhsa_exception_int_div_zero 0
	.end_amdhsa_kernel
	.section	.text._ZN9rocsolver6v33100L18trti2_kernel_smallILi5E19rocblas_complex_numIdEPKPS3_EEv13rocblas_fill_17rocblas_diagonal_T1_iil,"axG",@progbits,_ZN9rocsolver6v33100L18trti2_kernel_smallILi5E19rocblas_complex_numIdEPKPS3_EEv13rocblas_fill_17rocblas_diagonal_T1_iil,comdat
.Lfunc_end68:
	.size	_ZN9rocsolver6v33100L18trti2_kernel_smallILi5E19rocblas_complex_numIdEPKPS3_EEv13rocblas_fill_17rocblas_diagonal_T1_iil, .Lfunc_end68-_ZN9rocsolver6v33100L18trti2_kernel_smallILi5E19rocblas_complex_numIdEPKPS3_EEv13rocblas_fill_17rocblas_diagonal_T1_iil
                                        ; -- End function
	.section	.AMDGPU.csdata,"",@progbits
; Kernel info:
; codeLenInByte = 3024
; NumSgprs: 20
; NumVgprs: 38
; NumAgprs: 0
; TotalNumVgprs: 38
; ScratchSize: 96
; MemoryBound: 0
; FloatMode: 240
; IeeeMode: 1
; LDSByteSize: 160 bytes/workgroup (compile time only)
; SGPRBlocks: 2
; VGPRBlocks: 4
; NumSGPRsForWavesPerEU: 20
; NumVGPRsForWavesPerEU: 38
; AccumOffset: 40
; Occupancy: 8
; WaveLimiterHint : 1
; COMPUTE_PGM_RSRC2:SCRATCH_EN: 1
; COMPUTE_PGM_RSRC2:USER_SGPR: 2
; COMPUTE_PGM_RSRC2:TRAP_HANDLER: 0
; COMPUTE_PGM_RSRC2:TGID_X_EN: 1
; COMPUTE_PGM_RSRC2:TGID_Y_EN: 0
; COMPUTE_PGM_RSRC2:TGID_Z_EN: 0
; COMPUTE_PGM_RSRC2:TIDIG_COMP_CNT: 0
; COMPUTE_PGM_RSRC3_GFX90A:ACCUM_OFFSET: 9
; COMPUTE_PGM_RSRC3_GFX90A:TG_SPLIT: 0
	.section	.text._ZN9rocsolver6v33100L18trti2_kernel_smallILi6E19rocblas_complex_numIdEPKPS3_EEv13rocblas_fill_17rocblas_diagonal_T1_iil,"axG",@progbits,_ZN9rocsolver6v33100L18trti2_kernel_smallILi6E19rocblas_complex_numIdEPKPS3_EEv13rocblas_fill_17rocblas_diagonal_T1_iil,comdat
	.globl	_ZN9rocsolver6v33100L18trti2_kernel_smallILi6E19rocblas_complex_numIdEPKPS3_EEv13rocblas_fill_17rocblas_diagonal_T1_iil ; -- Begin function _ZN9rocsolver6v33100L18trti2_kernel_smallILi6E19rocblas_complex_numIdEPKPS3_EEv13rocblas_fill_17rocblas_diagonal_T1_iil
	.p2align	8
	.type	_ZN9rocsolver6v33100L18trti2_kernel_smallILi6E19rocblas_complex_numIdEPKPS3_EEv13rocblas_fill_17rocblas_diagonal_T1_iil,@function
_ZN9rocsolver6v33100L18trti2_kernel_smallILi6E19rocblas_complex_numIdEPKPS3_EEv13rocblas_fill_17rocblas_diagonal_T1_iil: ; @_ZN9rocsolver6v33100L18trti2_kernel_smallILi6E19rocblas_complex_numIdEPKPS3_EEv13rocblas_fill_17rocblas_diagonal_T1_iil
; %bb.0:
	v_cmp_gt_u32_e32 vcc, 6, v0
	s_and_saveexec_b64 s[4:5], vcc
	s_cbranch_execz .LBB69_83
; %bb.1:
	s_load_dwordx2 s[8:9], s[0:1], 0x10
	s_load_dwordx4 s[4:7], s[0:1], 0x0
	s_ashr_i32 s3, s2, 31
	s_lshl_b64 s[0:1], s[2:3], 3
	v_lshlrev_b32_e32 v26, 4, v0
	s_waitcnt lgkmcnt(0)
	s_ashr_i32 s3, s8, 31
	s_add_u32 s0, s6, s0
	s_addc_u32 s1, s7, s1
	s_load_dwordx2 s[0:1], s[0:1], 0x0
	s_mov_b32 s2, s8
	s_lshl_b64 s[2:3], s[2:3], 4
	v_mov_b32_e32 v27, 0
	v_mov_b32_e32 v12, 0
	s_waitcnt lgkmcnt(0)
	s_add_u32 s0, s0, s2
	s_addc_u32 s1, s1, s3
	v_lshl_add_u64 v[14:15], s[0:1], 0, v[26:27]
	s_ashr_i32 s3, s9, 31
	s_mov_b32 s2, s9
	v_lshl_add_u64 v[16:17], s[2:3], 4, v[14:15]
	s_add_i32 s2, s9, s9
	v_add_u32_e32 v10, s2, v0
	v_ashrrev_i32_e32 v11, 31, v10
	v_lshl_add_u64 v[18:19], v[10:11], 4, s[0:1]
	v_add_u32_e32 v10, s9, v10
	v_ashrrev_i32_e32 v11, 31, v10
	v_lshl_add_u64 v[20:21], v[10:11], 4, s[0:1]
	v_add_u32_e32 v10, s9, v10
	v_ashrrev_i32_e32 v11, 31, v10
	v_lshl_add_u64 v[22:23], v[10:11], 4, s[0:1]
	v_add_u32_e32 v10, s9, v10
	v_ashrrev_i32_e32 v11, 31, v10
	v_lshl_add_u64 v[24:25], v[10:11], 4, s[0:1]
	global_load_dwordx4 v[2:5], v26, s[0:1]
	global_load_dwordx4 v[6:9], v[16:17], off
	global_load_dwordx4 v[28:31], v[18:19], off
	;; [unrolled: 1-line block ×5, first 2 shown]
	s_cmpk_lg_i32 s5, 0x84
	s_cselect_b64 s[6:7], -1, 0
	s_cmpk_eq_i32 s5, 0x84
	s_waitcnt vmcnt(5)
	scratch_store_dwordx4 off, v[2:5], off
	s_waitcnt vmcnt(5)
	scratch_store_dwordx4 off, v[6:9], off offset:16
	s_waitcnt vmcnt(5)
	scratch_store_dwordx4 off, v[28:31], off offset:32
	;; [unrolled: 2-line block ×5, first 2 shown]
	s_cbranch_scc1 .LBB69_7
; %bb.2:
	scratch_load_dwordx4 v[2:5], v26, off
                                        ; implicit-def: $vgpr10_vgpr11
	s_waitcnt vmcnt(0)
	v_xor_b32_e32 v1, 0x80000000, v3
	v_cmp_gt_f64_e32 vcc, 0, v[2:3]
	v_xor_b32_e32 v8, 0x80000000, v5
	v_mov_b32_e32 v6, v2
	v_cndmask_b32_e32 v7, v3, v1, vcc
	v_cmp_gt_f64_e32 vcc, 0, v[4:5]
	s_nop 1
	v_cndmask_b32_e32 v9, v5, v8, vcc
	v_mov_b32_e32 v8, v4
	v_cmp_ngt_f64_e32 vcc, v[6:7], v[8:9]
                                        ; implicit-def: $vgpr6_vgpr7
	s_and_saveexec_b64 s[0:1], vcc
	s_xor_b64 s[0:1], exec, s[0:1]
	s_cbranch_execz .LBB69_4
; %bb.3:
	v_div_scale_f64 v[6:7], s[2:3], v[4:5], v[4:5], v[2:3]
	v_rcp_f64_e32 v[8:9], v[6:7]
	v_div_scale_f64 v[10:11], vcc, v[2:3], v[4:5], v[2:3]
	v_fma_f64 v[28:29], -v[6:7], v[8:9], 1.0
	v_fmac_f64_e32 v[8:9], v[8:9], v[28:29]
	v_fma_f64 v[28:29], -v[6:7], v[8:9], 1.0
	v_fmac_f64_e32 v[8:9], v[8:9], v[28:29]
	v_mul_f64 v[28:29], v[10:11], v[8:9]
	v_fma_f64 v[6:7], -v[6:7], v[28:29], v[10:11]
	v_div_fmas_f64 v[6:7], v[6:7], v[8:9], v[28:29]
	v_div_fixup_f64 v[6:7], v[6:7], v[4:5], v[2:3]
	v_fmac_f64_e32 v[4:5], v[2:3], v[6:7]
	v_div_scale_f64 v[2:3], s[2:3], v[4:5], v[4:5], 1.0
	v_rcp_f64_e32 v[8:9], v[2:3]
	s_nop 0
	v_fma_f64 v[10:11], -v[2:3], v[8:9], 1.0
	v_fmac_f64_e32 v[8:9], v[8:9], v[10:11]
	v_fma_f64 v[10:11], -v[2:3], v[8:9], 1.0
	v_fmac_f64_e32 v[8:9], v[8:9], v[10:11]
	v_div_scale_f64 v[10:11], vcc, 1.0, v[4:5], 1.0
	v_mul_f64 v[28:29], v[10:11], v[8:9]
	v_fma_f64 v[2:3], -v[2:3], v[28:29], v[10:11]
	s_nop 1
	v_div_fmas_f64 v[2:3], v[2:3], v[8:9], v[28:29]
	v_div_fixup_f64 v[8:9], v[2:3], v[4:5], 1.0
	v_mul_f64 v[6:7], v[6:7], v[8:9]
	v_xor_b32_e32 v9, 0x80000000, v9
	v_xor_b32_e32 v11, 0x80000000, v7
	v_mov_b32_e32 v10, v6
                                        ; implicit-def: $vgpr2_vgpr3
.LBB69_4:
	s_or_saveexec_b64 s[0:1], s[0:1]
	v_add_u32_e32 v1, 0, v26
	s_xor_b64 exec, exec, s[0:1]
	s_cbranch_execz .LBB69_6
; %bb.5:
	v_div_scale_f64 v[6:7], s[2:3], v[2:3], v[2:3], v[4:5]
	v_rcp_f64_e32 v[8:9], v[6:7]
	v_div_scale_f64 v[10:11], vcc, v[4:5], v[2:3], v[4:5]
	v_fma_f64 v[28:29], -v[6:7], v[8:9], 1.0
	v_fmac_f64_e32 v[8:9], v[8:9], v[28:29]
	v_fma_f64 v[28:29], -v[6:7], v[8:9], 1.0
	v_fmac_f64_e32 v[8:9], v[8:9], v[28:29]
	v_mul_f64 v[28:29], v[10:11], v[8:9]
	v_fma_f64 v[6:7], -v[6:7], v[28:29], v[10:11]
	v_div_fmas_f64 v[6:7], v[6:7], v[8:9], v[28:29]
	v_div_fixup_f64 v[8:9], v[6:7], v[2:3], v[4:5]
	v_fmac_f64_e32 v[2:3], v[4:5], v[8:9]
	v_div_scale_f64 v[4:5], s[2:3], v[2:3], v[2:3], 1.0
	v_rcp_f64_e32 v[6:7], v[4:5]
	s_nop 0
	v_fma_f64 v[10:11], -v[4:5], v[6:7], 1.0
	v_fmac_f64_e32 v[6:7], v[6:7], v[10:11]
	v_fma_f64 v[10:11], -v[4:5], v[6:7], 1.0
	v_fmac_f64_e32 v[6:7], v[6:7], v[10:11]
	v_div_scale_f64 v[10:11], vcc, 1.0, v[2:3], 1.0
	v_mul_f64 v[28:29], v[10:11], v[6:7]
	v_fma_f64 v[4:5], -v[4:5], v[28:29], v[10:11]
	s_nop 1
	v_div_fmas_f64 v[4:5], v[4:5], v[6:7], v[28:29]
	v_div_fixup_f64 v[6:7], v[4:5], v[2:3], 1.0
	v_xor_b32_e32 v11, 0x80000000, v7
	v_mov_b32_e32 v10, v6
	v_mul_f64 v[8:9], v[8:9], -v[6:7]
.LBB69_6:
	s_or_b64 exec, exec, s[0:1]
	scratch_store_dwordx4 v1, v[6:9], off
	s_nop 1
	v_xor_b32_e32 v9, 0x80000000, v9
	s_branch .LBB69_8
.LBB69_7:
	v_mov_b64_e32 v[8:9], 0
	v_mov_b64_e32 v[10:11], -1.0
.LBB69_8:
	v_add_u32_e32 v28, 16, v12
	v_add_u32_e32 v1, 32, v12
	;; [unrolled: 1-line block ×5, first 2 shown]
	v_mov_b32_e32 v12, v8
	v_mov_b32_e32 v13, v9
	s_cmpk_eq_i32 s4, 0x79
	v_add_u32_e32 v9, 0x60, v26
	v_add_u32_e32 v8, 0, v26
	ds_write_b128 v26, v[10:13]
	s_cbranch_scc1 .LBB69_44
; %bb.9:
	scratch_load_dwordx4 v[2:5], v27, off
	v_cmp_eq_u32_e64 s[2:3], 5, v0
	s_waitcnt vmcnt(0)
	ds_write_b128 v9, v[2:5]
	s_waitcnt lgkmcnt(0)
	; wave barrier
	s_waitcnt lgkmcnt(0)
	s_and_saveexec_b64 s[0:1], s[2:3]
	s_cbranch_execz .LBB69_13
; %bb.10:
	ds_read_b128 v[2:5], v9
	s_andn2_b64 vcc, exec, s[6:7]
	s_cbranch_vccnz .LBB69_12
; %bb.11:
	scratch_load_dwordx4 v[10:13], v8, off
	s_waitcnt vmcnt(0) lgkmcnt(0)
	v_mul_f64 v[6:7], v[4:5], v[12:13]
	v_mul_f64 v[12:13], v[2:3], v[12:13]
	v_fmac_f64_e32 v[12:13], v[4:5], v[10:11]
	v_fma_f64 v[2:3], v[2:3], v[10:11], -v[6:7]
	v_mov_b64_e32 v[4:5], v[12:13]
.LBB69_12:
	v_mov_b32_e32 v6, 0
	ds_read_b128 v[10:13], v6 offset:64
	s_waitcnt lgkmcnt(0)
	v_mul_f64 v[6:7], v[4:5], v[12:13]
	v_mul_f64 v[34:35], v[2:3], v[12:13]
	v_fma_f64 v[32:33], v[2:3], v[10:11], -v[6:7]
	v_fmac_f64_e32 v[34:35], v[4:5], v[10:11]
	scratch_store_dwordx4 off, v[32:35], off offset:64
.LBB69_13:
	s_or_b64 exec, exec, s[0:1]
	scratch_load_dwordx4 v[2:5], v29, off
	v_cmp_lt_u32_e64 s[0:1], 3, v0
	s_waitcnt vmcnt(0)
	ds_write_b128 v9, v[2:5]
	s_waitcnt lgkmcnt(0)
	; wave barrier
	s_waitcnt lgkmcnt(0)
	s_and_saveexec_b64 s[4:5], s[0:1]
	s_cbranch_execz .LBB69_19
; %bb.14:
	ds_read_b128 v[2:5], v9
	s_andn2_b64 vcc, exec, s[6:7]
	s_cbranch_vccnz .LBB69_16
; %bb.15:
	scratch_load_dwordx4 v[10:13], v8, off
	s_waitcnt vmcnt(0) lgkmcnt(0)
	v_mul_f64 v[6:7], v[4:5], v[12:13]
	v_mul_f64 v[12:13], v[2:3], v[12:13]
	v_fmac_f64_e32 v[12:13], v[4:5], v[10:11]
	v_fma_f64 v[2:3], v[2:3], v[10:11], -v[6:7]
	v_mov_b64_e32 v[4:5], v[12:13]
.LBB69_16:
	s_and_saveexec_b64 s[8:9], s[2:3]
	s_cbranch_execz .LBB69_18
; %bb.17:
	scratch_load_dwordx4 v[10:13], off, off offset:64
	v_mov_b32_e32 v6, 0
	ds_read_b128 v[32:35], v6 offset:160
	s_waitcnt vmcnt(0) lgkmcnt(0)
	v_mul_f64 v[6:7], v[32:33], v[12:13]
	v_mul_f64 v[12:13], v[34:35], v[12:13]
	v_fmac_f64_e32 v[6:7], v[34:35], v[10:11]
	v_fma_f64 v[10:11], v[32:33], v[10:11], -v[12:13]
	v_add_f64 v[4:5], v[4:5], v[6:7]
	v_add_f64 v[2:3], v[2:3], v[10:11]
.LBB69_18:
	s_or_b64 exec, exec, s[8:9]
	v_mov_b32_e32 v6, 0
	ds_read_b128 v[10:13], v6 offset:48
	s_waitcnt lgkmcnt(0)
	v_mul_f64 v[6:7], v[4:5], v[12:13]
	v_mul_f64 v[34:35], v[2:3], v[12:13]
	v_fma_f64 v[32:33], v[2:3], v[10:11], -v[6:7]
	v_fmac_f64_e32 v[34:35], v[4:5], v[10:11]
	scratch_store_dwordx4 off, v[32:35], off offset:48
.LBB69_19:
	s_or_b64 exec, exec, s[4:5]
	scratch_load_dwordx4 v[2:5], v1, off
	v_cmp_lt_u32_e64 s[2:3], 2, v0
	s_waitcnt vmcnt(0)
	ds_write_b128 v9, v[2:5]
	s_waitcnt lgkmcnt(0)
	; wave barrier
	s_waitcnt lgkmcnt(0)
	s_and_saveexec_b64 s[4:5], s[2:3]
	s_cbranch_execz .LBB69_27
; %bb.20:
	ds_read_b128 v[2:5], v9
	s_andn2_b64 vcc, exec, s[6:7]
	s_cbranch_vccnz .LBB69_22
; %bb.21:
	scratch_load_dwordx4 v[10:13], v8, off
	s_waitcnt vmcnt(0) lgkmcnt(0)
	v_mul_f64 v[6:7], v[4:5], v[12:13]
	v_mul_f64 v[12:13], v[2:3], v[12:13]
	v_fmac_f64_e32 v[12:13], v[4:5], v[10:11]
	v_fma_f64 v[2:3], v[2:3], v[10:11], -v[6:7]
	v_mov_b64_e32 v[4:5], v[12:13]
.LBB69_22:
	s_and_saveexec_b64 s[8:9], s[0:1]
	s_cbranch_execz .LBB69_26
; %bb.23:
	v_mov_b32_e32 v7, 0
	v_add_u32_e32 v6, -3, v0
	v_add_u32_e32 v7, 56, v7
	s_movk_i32 s10, 0x90
	s_mov_b64 s[0:1], 0
.LBB69_24:                              ; =>This Inner Loop Header: Depth=1
	v_add_u32_e32 v10, -8, v7
	scratch_load_dwordx4 v[10:13], v10, off
	v_mov_b32_e32 v31, s10
	ds_read_b128 v[32:35], v31
	v_add_u32_e32 v6, -1, v6
	s_add_i32 s10, s10, 16
	v_cmp_eq_u32_e32 vcc, 0, v6
	v_add_u32_e32 v7, 16, v7
	s_or_b64 s[0:1], vcc, s[0:1]
	s_waitcnt vmcnt(0) lgkmcnt(0)
	v_mul_f64 v[36:37], v[34:35], v[12:13]
	v_mul_f64 v[12:13], v[32:33], v[12:13]
	v_fma_f64 v[32:33], v[32:33], v[10:11], -v[36:37]
	v_fmac_f64_e32 v[12:13], v[34:35], v[10:11]
	v_add_f64 v[2:3], v[2:3], v[32:33]
	v_add_f64 v[4:5], v[4:5], v[12:13]
	s_andn2_b64 exec, exec, s[0:1]
	s_cbranch_execnz .LBB69_24
; %bb.25:
	s_or_b64 exec, exec, s[0:1]
.LBB69_26:
	s_or_b64 exec, exec, s[8:9]
	v_mov_b32_e32 v6, 0
	ds_read_b128 v[10:13], v6 offset:32
	s_waitcnt lgkmcnt(0)
	v_mul_f64 v[6:7], v[4:5], v[12:13]
	v_mul_f64 v[34:35], v[2:3], v[12:13]
	v_fma_f64 v[32:33], v[2:3], v[10:11], -v[6:7]
	v_fmac_f64_e32 v[34:35], v[4:5], v[10:11]
	scratch_store_dwordx4 off, v[32:35], off offset:32
.LBB69_27:
	s_or_b64 exec, exec, s[4:5]
	scratch_load_dwordx4 v[2:5], v28, off
	v_cmp_lt_u32_e64 s[0:1], 1, v0
	s_waitcnt vmcnt(0)
	ds_write_b128 v9, v[2:5]
	s_waitcnt lgkmcnt(0)
	; wave barrier
	s_waitcnt lgkmcnt(0)
	s_and_saveexec_b64 s[4:5], s[0:1]
	s_cbranch_execz .LBB69_35
; %bb.28:
	ds_read_b128 v[2:5], v9
	s_andn2_b64 vcc, exec, s[6:7]
	s_cbranch_vccnz .LBB69_30
; %bb.29:
	scratch_load_dwordx4 v[10:13], v8, off
	s_waitcnt vmcnt(0) lgkmcnt(0)
	v_mul_f64 v[6:7], v[4:5], v[12:13]
	v_mul_f64 v[12:13], v[2:3], v[12:13]
	v_fmac_f64_e32 v[12:13], v[4:5], v[10:11]
	v_fma_f64 v[2:3], v[2:3], v[10:11], -v[6:7]
	v_mov_b64_e32 v[4:5], v[12:13]
.LBB69_30:
	s_and_saveexec_b64 s[8:9], s[2:3]
	s_cbranch_execz .LBB69_34
; %bb.31:
	v_mov_b32_e32 v7, 0
	v_add_u32_e32 v6, -2, v0
	v_add_u32_e32 v7, 40, v7
	s_movk_i32 s10, 0x80
	s_mov_b64 s[2:3], 0
.LBB69_32:                              ; =>This Inner Loop Header: Depth=1
	v_add_u32_e32 v10, -8, v7
	scratch_load_dwordx4 v[10:13], v10, off
	v_mov_b32_e32 v31, s10
	ds_read_b128 v[32:35], v31
	v_add_u32_e32 v6, -1, v6
	s_add_i32 s10, s10, 16
	v_cmp_eq_u32_e32 vcc, 0, v6
	v_add_u32_e32 v7, 16, v7
	s_or_b64 s[2:3], vcc, s[2:3]
	s_waitcnt vmcnt(0) lgkmcnt(0)
	v_mul_f64 v[36:37], v[34:35], v[12:13]
	v_mul_f64 v[12:13], v[32:33], v[12:13]
	v_fma_f64 v[32:33], v[32:33], v[10:11], -v[36:37]
	v_fmac_f64_e32 v[12:13], v[34:35], v[10:11]
	v_add_f64 v[2:3], v[2:3], v[32:33]
	v_add_f64 v[4:5], v[4:5], v[12:13]
	s_andn2_b64 exec, exec, s[2:3]
	s_cbranch_execnz .LBB69_32
; %bb.33:
	s_or_b64 exec, exec, s[2:3]
.LBB69_34:
	s_or_b64 exec, exec, s[8:9]
	v_mov_b32_e32 v6, 0
	ds_read_b128 v[10:13], v6 offset:16
	s_waitcnt lgkmcnt(0)
	v_mul_f64 v[6:7], v[4:5], v[12:13]
	v_mul_f64 v[34:35], v[2:3], v[12:13]
	v_fma_f64 v[32:33], v[2:3], v[10:11], -v[6:7]
	v_fmac_f64_e32 v[34:35], v[4:5], v[10:11]
	scratch_store_dwordx4 off, v[32:35], off offset:16
.LBB69_35:
	s_or_b64 exec, exec, s[4:5]
	scratch_load_dwordx4 v[2:5], off, off
	v_cmp_ne_u32_e32 vcc, 0, v0
	s_mov_b64 s[2:3], 0
	s_mov_b64 s[4:5], 0
                                        ; implicit-def: $vgpr6_vgpr7
                                        ; implicit-def: $vgpr10
	s_waitcnt vmcnt(0)
	ds_write_b128 v9, v[2:5]
	s_waitcnt lgkmcnt(0)
	; wave barrier
	s_waitcnt lgkmcnt(0)
	s_and_saveexec_b64 s[8:9], vcc
	s_cbranch_execz .LBB69_43
; %bb.36:
	ds_read_b128 v[2:5], v9
	s_andn2_b64 vcc, exec, s[6:7]
	s_cbranch_vccnz .LBB69_38
; %bb.37:
	scratch_load_dwordx4 v[10:13], v8, off
	s_waitcnt vmcnt(0) lgkmcnt(0)
	v_mul_f64 v[6:7], v[4:5], v[12:13]
	v_mul_f64 v[12:13], v[2:3], v[12:13]
	v_fmac_f64_e32 v[12:13], v[4:5], v[10:11]
	v_fma_f64 v[2:3], v[2:3], v[10:11], -v[6:7]
	v_mov_b64_e32 v[4:5], v[12:13]
.LBB69_38:
	s_and_saveexec_b64 s[4:5], s[0:1]
	s_cbranch_execz .LBB69_42
; %bb.39:
	v_mov_b32_e32 v7, 0
	v_add_u32_e32 v6, -1, v0
	v_add_u32_e32 v7, 24, v7
	s_movk_i32 s10, 0x70
	s_mov_b64 s[0:1], 0
.LBB69_40:                              ; =>This Inner Loop Header: Depth=1
	v_add_u32_e32 v10, -8, v7
	scratch_load_dwordx4 v[10:13], v10, off
	v_mov_b32_e32 v31, s10
	ds_read_b128 v[32:35], v31
	v_add_u32_e32 v6, -1, v6
	s_add_i32 s10, s10, 16
	v_cmp_eq_u32_e32 vcc, 0, v6
	v_add_u32_e32 v7, 16, v7
	s_or_b64 s[0:1], vcc, s[0:1]
	s_waitcnt vmcnt(0) lgkmcnt(0)
	v_mul_f64 v[36:37], v[34:35], v[12:13]
	v_mul_f64 v[12:13], v[32:33], v[12:13]
	v_fma_f64 v[32:33], v[32:33], v[10:11], -v[36:37]
	v_fmac_f64_e32 v[12:13], v[34:35], v[10:11]
	v_add_f64 v[2:3], v[2:3], v[32:33]
	v_add_f64 v[4:5], v[4:5], v[12:13]
	s_andn2_b64 exec, exec, s[0:1]
	s_cbranch_execnz .LBB69_40
; %bb.41:
	s_or_b64 exec, exec, s[0:1]
.LBB69_42:
	s_or_b64 exec, exec, s[4:5]
	v_mov_b32_e32 v6, 0
	ds_read_b128 v[32:35], v6
	v_mov_b32_e32 v6, 0
	v_or_b32_e32 v10, 8, v6
	s_mov_b64 s[4:5], exec
	s_waitcnt lgkmcnt(0)
	v_mul_f64 v[12:13], v[4:5], v[34:35]
	v_mul_f64 v[6:7], v[2:3], v[34:35]
	v_fma_f64 v[2:3], v[2:3], v[32:33], -v[12:13]
	v_fmac_f64_e32 v[6:7], v[4:5], v[32:33]
	scratch_store_dwordx2 off, v[2:3], off
.LBB69_43:
	s_or_b64 exec, exec, s[8:9]
	s_and_b64 vcc, exec, s[2:3]
	s_cbranch_vccnz .LBB69_45
	s_branch .LBB69_80
.LBB69_44:
	s_mov_b64 s[4:5], 0
                                        ; implicit-def: $vgpr6_vgpr7
                                        ; implicit-def: $vgpr10
	s_cbranch_execz .LBB69_80
.LBB69_45:
	scratch_load_dwordx4 v[2:5], v28, off
	v_cndmask_b32_e64 v6, 0, 1, s[6:7]
	v_cmp_eq_u32_e64 s[2:3], 0, v0
	v_cmp_ne_u32_e64 s[0:1], 1, v6
	s_waitcnt vmcnt(0)
	ds_write_b128 v9, v[2:5]
	s_waitcnt lgkmcnt(0)
	; wave barrier
	s_waitcnt lgkmcnt(0)
	s_and_saveexec_b64 s[6:7], s[2:3]
	s_cbranch_execz .LBB69_49
; %bb.46:
	ds_read_b128 v[2:5], v9
	s_and_b64 vcc, exec, s[0:1]
	s_cbranch_vccnz .LBB69_48
; %bb.47:
	scratch_load_dwordx4 v[10:13], v8, off
	s_waitcnt vmcnt(0) lgkmcnt(0)
	v_mul_f64 v[6:7], v[4:5], v[12:13]
	v_mul_f64 v[12:13], v[2:3], v[12:13]
	v_fmac_f64_e32 v[12:13], v[4:5], v[10:11]
	v_fma_f64 v[2:3], v[2:3], v[10:11], -v[6:7]
	v_mov_b64_e32 v[4:5], v[12:13]
.LBB69_48:
	v_mov_b32_e32 v6, 0
	ds_read_b128 v[10:13], v6 offset:16
	s_waitcnt lgkmcnt(0)
	v_mul_f64 v[6:7], v[4:5], v[12:13]
	v_mul_f64 v[34:35], v[2:3], v[12:13]
	v_fma_f64 v[32:33], v[2:3], v[10:11], -v[6:7]
	v_fmac_f64_e32 v[34:35], v[4:5], v[10:11]
	scratch_store_dwordx4 off, v[32:35], off offset:16
.LBB69_49:
	s_or_b64 exec, exec, s[6:7]
	scratch_load_dwordx4 v[2:5], v1, off
	v_cmp_gt_u32_e32 vcc, 2, v0
	s_waitcnt vmcnt(0)
	ds_write_b128 v9, v[2:5]
	s_waitcnt lgkmcnt(0)
	; wave barrier
	s_waitcnt lgkmcnt(0)
	s_and_saveexec_b64 s[6:7], vcc
	s_cbranch_execz .LBB69_55
; %bb.50:
	ds_read_b128 v[2:5], v9
	s_and_b64 vcc, exec, s[0:1]
	s_cbranch_vccnz .LBB69_52
; %bb.51:
	scratch_load_dwordx4 v[10:13], v8, off
	s_waitcnt vmcnt(0) lgkmcnt(0)
	v_mul_f64 v[6:7], v[4:5], v[12:13]
	v_mul_f64 v[12:13], v[2:3], v[12:13]
	v_fmac_f64_e32 v[12:13], v[4:5], v[10:11]
	v_fma_f64 v[2:3], v[2:3], v[10:11], -v[6:7]
	v_mov_b64_e32 v[4:5], v[12:13]
.LBB69_52:
	s_and_saveexec_b64 s[8:9], s[2:3]
	s_cbranch_execz .LBB69_54
; %bb.53:
	scratch_load_dwordx4 v[10:13], v8, off offset:16
	ds_read_b128 v[32:35], v9 offset:16
	s_waitcnt vmcnt(0) lgkmcnt(0)
	v_mul_f64 v[6:7], v[34:35], v[12:13]
	v_mul_f64 v[12:13], v[32:33], v[12:13]
	v_fma_f64 v[6:7], v[32:33], v[10:11], -v[6:7]
	v_fmac_f64_e32 v[12:13], v[34:35], v[10:11]
	v_add_f64 v[2:3], v[2:3], v[6:7]
	v_add_f64 v[4:5], v[4:5], v[12:13]
.LBB69_54:
	s_or_b64 exec, exec, s[8:9]
	v_mov_b32_e32 v6, 0
	ds_read_b128 v[10:13], v6 offset:32
	s_waitcnt lgkmcnt(0)
	v_mul_f64 v[6:7], v[4:5], v[12:13]
	v_mul_f64 v[34:35], v[2:3], v[12:13]
	v_fma_f64 v[32:33], v[2:3], v[10:11], -v[6:7]
	v_fmac_f64_e32 v[34:35], v[4:5], v[10:11]
	scratch_store_dwordx4 off, v[32:35], off offset:32
.LBB69_55:
	s_or_b64 exec, exec, s[6:7]
	scratch_load_dwordx4 v[2:5], v29, off
	v_cmp_gt_u32_e32 vcc, 3, v0
	s_waitcnt vmcnt(0)
	ds_write_b128 v9, v[2:5]
	s_waitcnt lgkmcnt(0)
	; wave barrier
	s_waitcnt lgkmcnt(0)
	s_and_saveexec_b64 s[6:7], vcc
	s_cbranch_execz .LBB69_63
; %bb.56:
	ds_read_b128 v[2:5], v9
	s_and_b64 vcc, exec, s[0:1]
	s_cbranch_vccnz .LBB69_58
; %bb.57:
	scratch_load_dwordx4 v[10:13], v8, off
	s_waitcnt vmcnt(0) lgkmcnt(0)
	v_mul_f64 v[6:7], v[4:5], v[12:13]
	v_mul_f64 v[12:13], v[2:3], v[12:13]
	v_fmac_f64_e32 v[12:13], v[4:5], v[10:11]
	v_fma_f64 v[2:3], v[2:3], v[10:11], -v[6:7]
	v_mov_b64_e32 v[4:5], v[12:13]
.LBB69_58:
	v_cmp_ne_u32_e32 vcc, 2, v0
	s_and_saveexec_b64 s[8:9], vcc
	s_cbranch_execz .LBB69_62
; %bb.59:
	scratch_load_dwordx4 v[10:13], v8, off offset:16
	ds_read_b128 v[32:35], v9 offset:16
	s_waitcnt vmcnt(0) lgkmcnt(0)
	v_mul_f64 v[6:7], v[34:35], v[12:13]
	v_mul_f64 v[12:13], v[32:33], v[12:13]
	v_fma_f64 v[6:7], v[32:33], v[10:11], -v[6:7]
	v_fmac_f64_e32 v[12:13], v[34:35], v[10:11]
	v_add_f64 v[2:3], v[2:3], v[6:7]
	v_add_f64 v[4:5], v[4:5], v[12:13]
	s_and_saveexec_b64 s[10:11], s[2:3]
	s_cbranch_execz .LBB69_61
; %bb.60:
	scratch_load_dwordx4 v[10:13], off, off offset:32
	v_mov_b32_e32 v6, 0
	ds_read_b128 v[32:35], v6 offset:128
	s_waitcnt vmcnt(0) lgkmcnt(0)
	v_mul_f64 v[6:7], v[32:33], v[12:13]
	v_mul_f64 v[12:13], v[34:35], v[12:13]
	v_fmac_f64_e32 v[6:7], v[34:35], v[10:11]
	v_fma_f64 v[10:11], v[32:33], v[10:11], -v[12:13]
	v_add_f64 v[4:5], v[4:5], v[6:7]
	v_add_f64 v[2:3], v[2:3], v[10:11]
.LBB69_61:
	s_or_b64 exec, exec, s[10:11]
.LBB69_62:
	s_or_b64 exec, exec, s[8:9]
	v_mov_b32_e32 v6, 0
	ds_read_b128 v[10:13], v6 offset:48
	s_waitcnt lgkmcnt(0)
	v_mul_f64 v[6:7], v[4:5], v[12:13]
	v_mul_f64 v[34:35], v[2:3], v[12:13]
	v_fma_f64 v[32:33], v[2:3], v[10:11], -v[6:7]
	v_fmac_f64_e32 v[34:35], v[4:5], v[10:11]
	scratch_store_dwordx4 off, v[32:35], off offset:48
.LBB69_63:
	s_or_b64 exec, exec, s[6:7]
	scratch_load_dwordx4 v[2:5], v27, off
	v_cmp_gt_u32_e64 s[2:3], 4, v0
	s_waitcnt vmcnt(0)
	ds_write_b128 v9, v[2:5]
	s_waitcnt lgkmcnt(0)
	; wave barrier
	s_waitcnt lgkmcnt(0)
	s_and_saveexec_b64 s[6:7], s[2:3]
	s_cbranch_execz .LBB69_71
; %bb.64:
	ds_read_b128 v[2:5], v9
	s_and_b64 vcc, exec, s[0:1]
	s_cbranch_vccnz .LBB69_66
; %bb.65:
	scratch_load_dwordx4 v[10:13], v8, off
	s_waitcnt vmcnt(0) lgkmcnt(0)
	v_mul_f64 v[6:7], v[4:5], v[12:13]
	v_mul_f64 v[12:13], v[2:3], v[12:13]
	v_fmac_f64_e32 v[12:13], v[4:5], v[10:11]
	v_fma_f64 v[2:3], v[2:3], v[10:11], -v[6:7]
	v_mov_b64_e32 v[4:5], v[12:13]
.LBB69_66:
	v_cmp_ne_u32_e32 vcc, 3, v0
	s_and_saveexec_b64 s[8:9], vcc
	s_cbranch_execz .LBB69_70
; %bb.67:
	v_mov_b32_e32 v7, 0
	v_add_u32_e32 v6, 0x70, v26
	v_add3_u32 v7, v26, v7, 24
	s_mov_b64 s[10:11], 0
	v_mov_b32_e32 v10, v0
.LBB69_68:                              ; =>This Inner Loop Header: Depth=1
	v_add_u32_e32 v11, -8, v7
	scratch_load_dwordx4 v[32:35], v11, off
	ds_read_b128 v[36:39], v6
	v_add_u32_e32 v10, 1, v10
	v_cmp_lt_u32_e32 vcc, 2, v10
	v_add_u32_e32 v6, 16, v6
	v_add_u32_e32 v7, 16, v7
	s_or_b64 s[10:11], vcc, s[10:11]
	s_waitcnt vmcnt(0) lgkmcnt(0)
	v_mul_f64 v[12:13], v[38:39], v[34:35]
	v_mul_f64 v[34:35], v[36:37], v[34:35]
	v_fma_f64 v[12:13], v[36:37], v[32:33], -v[12:13]
	v_fmac_f64_e32 v[34:35], v[38:39], v[32:33]
	v_add_f64 v[2:3], v[2:3], v[12:13]
	v_add_f64 v[4:5], v[4:5], v[34:35]
	s_andn2_b64 exec, exec, s[10:11]
	s_cbranch_execnz .LBB69_68
; %bb.69:
	s_or_b64 exec, exec, s[10:11]
.LBB69_70:
	s_or_b64 exec, exec, s[8:9]
	v_mov_b32_e32 v6, 0
	ds_read_b128 v[10:13], v6 offset:64
	s_waitcnt lgkmcnt(0)
	v_mul_f64 v[6:7], v[4:5], v[12:13]
	v_mul_f64 v[34:35], v[2:3], v[12:13]
	v_fma_f64 v[32:33], v[2:3], v[10:11], -v[6:7]
	v_fmac_f64_e32 v[34:35], v[4:5], v[10:11]
	scratch_store_dwordx4 off, v[32:35], off offset:64
.LBB69_71:
	s_or_b64 exec, exec, s[6:7]
	scratch_load_dwordx4 v[2:5], v30, off
	v_cmp_ne_u32_e32 vcc, 5, v0
                                        ; implicit-def: $vgpr6_vgpr7
                                        ; implicit-def: $vgpr10
	s_waitcnt vmcnt(0)
	ds_write_b128 v9, v[2:5]
	s_waitcnt lgkmcnt(0)
	; wave barrier
	s_waitcnt lgkmcnt(0)
	s_and_saveexec_b64 s[6:7], vcc
	s_cbranch_execz .LBB69_79
; %bb.72:
	ds_read_b128 v[2:5], v9
	s_and_b64 vcc, exec, s[0:1]
	s_cbranch_vccnz .LBB69_74
; %bb.73:
	scratch_load_dwordx4 v[6:9], v8, off
	s_waitcnt vmcnt(0) lgkmcnt(0)
	v_mul_f64 v[10:11], v[4:5], v[8:9]
	v_mul_f64 v[8:9], v[2:3], v[8:9]
	v_fmac_f64_e32 v[8:9], v[4:5], v[6:7]
	v_fma_f64 v[2:3], v[2:3], v[6:7], -v[10:11]
	v_mov_b64_e32 v[4:5], v[8:9]
.LBB69_74:
	s_and_saveexec_b64 s[0:1], s[2:3]
	s_cbranch_execz .LBB69_78
; %bb.75:
	v_mov_b32_e32 v7, 0
	v_add_u32_e32 v6, 0x70, v26
	v_add3_u32 v7, v26, v7, 24
	s_mov_b64 s[2:3], 0
.LBB69_76:                              ; =>This Inner Loop Header: Depth=1
	v_add_u32_e32 v8, -8, v7
	scratch_load_dwordx4 v[8:11], v8, off
	ds_read_b128 v[32:35], v6
	v_add_u32_e32 v0, 1, v0
	v_cmp_lt_u32_e32 vcc, 3, v0
	v_add_u32_e32 v6, 16, v6
	v_add_u32_e32 v7, 16, v7
	s_or_b64 s[2:3], vcc, s[2:3]
	s_waitcnt vmcnt(0) lgkmcnt(0)
	v_mul_f64 v[12:13], v[34:35], v[10:11]
	v_mul_f64 v[10:11], v[32:33], v[10:11]
	v_fma_f64 v[12:13], v[32:33], v[8:9], -v[12:13]
	v_fmac_f64_e32 v[10:11], v[34:35], v[8:9]
	v_add_f64 v[2:3], v[2:3], v[12:13]
	v_add_f64 v[4:5], v[4:5], v[10:11]
	s_andn2_b64 exec, exec, s[2:3]
	s_cbranch_execnz .LBB69_76
; %bb.77:
	s_or_b64 exec, exec, s[2:3]
.LBB69_78:
	s_or_b64 exec, exec, s[0:1]
	v_mov_b32_e32 v0, 0
	ds_read_b128 v[32:35], v0 offset:80
	v_mov_b32_e32 v0, 0
	v_add_u32_e32 v10, 0x58, v0
	s_or_b64 s[4:5], s[4:5], exec
	s_waitcnt lgkmcnt(0)
	v_mul_f64 v[8:9], v[4:5], v[34:35]
	v_mul_f64 v[6:7], v[2:3], v[34:35]
	v_fma_f64 v[2:3], v[2:3], v[32:33], -v[8:9]
	v_fmac_f64_e32 v[6:7], v[4:5], v[32:33]
	scratch_store_dwordx2 off, v[2:3], off offset:80
.LBB69_79:
	s_or_b64 exec, exec, s[6:7]
.LBB69_80:
	s_and_saveexec_b64 s[0:1], s[4:5]
	s_cbranch_execz .LBB69_82
; %bb.81:
	scratch_store_dwordx2 v10, v[6:7], off
.LBB69_82:
	s_or_b64 exec, exec, s[0:1]
	scratch_load_dwordx4 v[2:5], off, off
	scratch_load_dwordx4 v[6:9], v28, off
	scratch_load_dwordx4 v[10:13], v1, off
	scratch_load_dwordx4 v[32:35], v29, off
	scratch_load_dwordx4 v[36:39], v27, off
	scratch_load_dwordx4 v[40:43], v30, off
	s_waitcnt vmcnt(5)
	global_store_dwordx4 v[14:15], v[2:5], off
	s_waitcnt vmcnt(5)
	global_store_dwordx4 v[16:17], v[6:9], off
	s_waitcnt vmcnt(5)
	global_store_dwordx4 v[18:19], v[10:13], off
	s_waitcnt vmcnt(5)
	global_store_dwordx4 v[20:21], v[32:35], off
	s_waitcnt vmcnt(5)
	global_store_dwordx4 v[22:23], v[36:39], off
	s_waitcnt vmcnt(5)
	global_store_dwordx4 v[24:25], v[40:43], off
.LBB69_83:
	s_endpgm
	.section	.rodata,"a",@progbits
	.p2align	6, 0x0
	.amdhsa_kernel _ZN9rocsolver6v33100L18trti2_kernel_smallILi6E19rocblas_complex_numIdEPKPS3_EEv13rocblas_fill_17rocblas_diagonal_T1_iil
		.amdhsa_group_segment_fixed_size 192
		.amdhsa_private_segment_fixed_size 112
		.amdhsa_kernarg_size 32
		.amdhsa_user_sgpr_count 2
		.amdhsa_user_sgpr_dispatch_ptr 0
		.amdhsa_user_sgpr_queue_ptr 0
		.amdhsa_user_sgpr_kernarg_segment_ptr 1
		.amdhsa_user_sgpr_dispatch_id 0
		.amdhsa_user_sgpr_kernarg_preload_length 0
		.amdhsa_user_sgpr_kernarg_preload_offset 0
		.amdhsa_user_sgpr_private_segment_size 0
		.amdhsa_uses_dynamic_stack 0
		.amdhsa_enable_private_segment 1
		.amdhsa_system_sgpr_workgroup_id_x 1
		.amdhsa_system_sgpr_workgroup_id_y 0
		.amdhsa_system_sgpr_workgroup_id_z 0
		.amdhsa_system_sgpr_workgroup_info 0
		.amdhsa_system_vgpr_workitem_id 0
		.amdhsa_next_free_vgpr 44
		.amdhsa_next_free_sgpr 12
		.amdhsa_accum_offset 44
		.amdhsa_reserve_vcc 1
		.amdhsa_float_round_mode_32 0
		.amdhsa_float_round_mode_16_64 0
		.amdhsa_float_denorm_mode_32 3
		.amdhsa_float_denorm_mode_16_64 3
		.amdhsa_dx10_clamp 1
		.amdhsa_ieee_mode 1
		.amdhsa_fp16_overflow 0
		.amdhsa_tg_split 0
		.amdhsa_exception_fp_ieee_invalid_op 0
		.amdhsa_exception_fp_denorm_src 0
		.amdhsa_exception_fp_ieee_div_zero 0
		.amdhsa_exception_fp_ieee_overflow 0
		.amdhsa_exception_fp_ieee_underflow 0
		.amdhsa_exception_fp_ieee_inexact 0
		.amdhsa_exception_int_div_zero 0
	.end_amdhsa_kernel
	.section	.text._ZN9rocsolver6v33100L18trti2_kernel_smallILi6E19rocblas_complex_numIdEPKPS3_EEv13rocblas_fill_17rocblas_diagonal_T1_iil,"axG",@progbits,_ZN9rocsolver6v33100L18trti2_kernel_smallILi6E19rocblas_complex_numIdEPKPS3_EEv13rocblas_fill_17rocblas_diagonal_T1_iil,comdat
.Lfunc_end69:
	.size	_ZN9rocsolver6v33100L18trti2_kernel_smallILi6E19rocblas_complex_numIdEPKPS3_EEv13rocblas_fill_17rocblas_diagonal_T1_iil, .Lfunc_end69-_ZN9rocsolver6v33100L18trti2_kernel_smallILi6E19rocblas_complex_numIdEPKPS3_EEv13rocblas_fill_17rocblas_diagonal_T1_iil
                                        ; -- End function
	.section	.AMDGPU.csdata,"",@progbits
; Kernel info:
; codeLenInByte = 3684
; NumSgprs: 18
; NumVgprs: 44
; NumAgprs: 0
; TotalNumVgprs: 44
; ScratchSize: 112
; MemoryBound: 0
; FloatMode: 240
; IeeeMode: 1
; LDSByteSize: 192 bytes/workgroup (compile time only)
; SGPRBlocks: 2
; VGPRBlocks: 5
; NumSGPRsForWavesPerEU: 18
; NumVGPRsForWavesPerEU: 44
; AccumOffset: 44
; Occupancy: 8
; WaveLimiterHint : 1
; COMPUTE_PGM_RSRC2:SCRATCH_EN: 1
; COMPUTE_PGM_RSRC2:USER_SGPR: 2
; COMPUTE_PGM_RSRC2:TRAP_HANDLER: 0
; COMPUTE_PGM_RSRC2:TGID_X_EN: 1
; COMPUTE_PGM_RSRC2:TGID_Y_EN: 0
; COMPUTE_PGM_RSRC2:TGID_Z_EN: 0
; COMPUTE_PGM_RSRC2:TIDIG_COMP_CNT: 0
; COMPUTE_PGM_RSRC3_GFX90A:ACCUM_OFFSET: 10
; COMPUTE_PGM_RSRC3_GFX90A:TG_SPLIT: 0
	.section	.text._ZN9rocsolver6v33100L18trti2_kernel_smallILi7E19rocblas_complex_numIdEPKPS3_EEv13rocblas_fill_17rocblas_diagonal_T1_iil,"axG",@progbits,_ZN9rocsolver6v33100L18trti2_kernel_smallILi7E19rocblas_complex_numIdEPKPS3_EEv13rocblas_fill_17rocblas_diagonal_T1_iil,comdat
	.globl	_ZN9rocsolver6v33100L18trti2_kernel_smallILi7E19rocblas_complex_numIdEPKPS3_EEv13rocblas_fill_17rocblas_diagonal_T1_iil ; -- Begin function _ZN9rocsolver6v33100L18trti2_kernel_smallILi7E19rocblas_complex_numIdEPKPS3_EEv13rocblas_fill_17rocblas_diagonal_T1_iil
	.p2align	8
	.type	_ZN9rocsolver6v33100L18trti2_kernel_smallILi7E19rocblas_complex_numIdEPKPS3_EEv13rocblas_fill_17rocblas_diagonal_T1_iil,@function
_ZN9rocsolver6v33100L18trti2_kernel_smallILi7E19rocblas_complex_numIdEPKPS3_EEv13rocblas_fill_17rocblas_diagonal_T1_iil: ; @_ZN9rocsolver6v33100L18trti2_kernel_smallILi7E19rocblas_complex_numIdEPKPS3_EEv13rocblas_fill_17rocblas_diagonal_T1_iil
; %bb.0:
	v_cmp_gt_u32_e32 vcc, 7, v0
	s_and_saveexec_b64 s[4:5], vcc
	s_cbranch_execz .LBB70_99
; %bb.1:
	s_load_dwordx2 s[8:9], s[0:1], 0x10
	s_load_dwordx4 s[4:7], s[0:1], 0x0
	s_ashr_i32 s3, s2, 31
	s_lshl_b64 s[0:1], s[2:3], 3
	v_lshlrev_b32_e32 v28, 4, v0
	s_waitcnt lgkmcnt(0)
	s_ashr_i32 s3, s8, 31
	s_add_u32 s0, s6, s0
	s_addc_u32 s1, s7, s1
	s_load_dwordx2 s[0:1], s[0:1], 0x0
	s_mov_b32 s2, s8
	s_lshl_b64 s[2:3], s[2:3], 4
	v_mov_b32_e32 v29, 0
	v_mov_b32_e32 v12, 0
	s_waitcnt lgkmcnt(0)
	s_add_u32 s0, s0, s2
	s_addc_u32 s1, s1, s3
	v_lshl_add_u64 v[14:15], s[0:1], 0, v[28:29]
	s_ashr_i32 s3, s9, 31
	s_mov_b32 s2, s9
	v_lshl_add_u64 v[16:17], s[2:3], 4, v[14:15]
	s_add_i32 s2, s9, s9
	v_add_u32_e32 v10, s2, v0
	v_ashrrev_i32_e32 v11, 31, v10
	v_lshl_add_u64 v[18:19], v[10:11], 4, s[0:1]
	v_add_u32_e32 v10, s9, v10
	v_ashrrev_i32_e32 v11, 31, v10
	v_lshl_add_u64 v[20:21], v[10:11], 4, s[0:1]
	;; [unrolled: 3-line block ×5, first 2 shown]
	global_load_dwordx4 v[2:5], v28, s[0:1]
	global_load_dwordx4 v[6:9], v[16:17], off
	global_load_dwordx4 v[30:33], v[18:19], off
	;; [unrolled: 1-line block ×6, first 2 shown]
	s_cmpk_lg_i32 s5, 0x84
	s_cselect_b64 s[6:7], -1, 0
	s_cmpk_eq_i32 s5, 0x84
	s_waitcnt vmcnt(6)
	scratch_store_dwordx4 off, v[2:5], off
	s_waitcnt vmcnt(6)
	scratch_store_dwordx4 off, v[6:9], off offset:16
	s_waitcnt vmcnt(6)
	scratch_store_dwordx4 off, v[30:33], off offset:32
	;; [unrolled: 2-line block ×6, first 2 shown]
	s_cbranch_scc1 .LBB70_7
; %bb.2:
	scratch_load_dwordx4 v[2:5], v28, off
                                        ; implicit-def: $vgpr10_vgpr11
	s_waitcnt vmcnt(0)
	v_xor_b32_e32 v1, 0x80000000, v3
	v_cmp_gt_f64_e32 vcc, 0, v[2:3]
	v_xor_b32_e32 v8, 0x80000000, v5
	v_mov_b32_e32 v6, v2
	v_cndmask_b32_e32 v7, v3, v1, vcc
	v_cmp_gt_f64_e32 vcc, 0, v[4:5]
	s_nop 1
	v_cndmask_b32_e32 v9, v5, v8, vcc
	v_mov_b32_e32 v8, v4
	v_cmp_ngt_f64_e32 vcc, v[6:7], v[8:9]
                                        ; implicit-def: $vgpr6_vgpr7
	s_and_saveexec_b64 s[0:1], vcc
	s_xor_b64 s[0:1], exec, s[0:1]
	s_cbranch_execz .LBB70_4
; %bb.3:
	v_div_scale_f64 v[6:7], s[2:3], v[4:5], v[4:5], v[2:3]
	v_rcp_f64_e32 v[8:9], v[6:7]
	v_div_scale_f64 v[10:11], vcc, v[2:3], v[4:5], v[2:3]
	v_fma_f64 v[30:31], -v[6:7], v[8:9], 1.0
	v_fmac_f64_e32 v[8:9], v[8:9], v[30:31]
	v_fma_f64 v[30:31], -v[6:7], v[8:9], 1.0
	v_fmac_f64_e32 v[8:9], v[8:9], v[30:31]
	v_mul_f64 v[30:31], v[10:11], v[8:9]
	v_fma_f64 v[6:7], -v[6:7], v[30:31], v[10:11]
	v_div_fmas_f64 v[6:7], v[6:7], v[8:9], v[30:31]
	v_div_fixup_f64 v[6:7], v[6:7], v[4:5], v[2:3]
	v_fmac_f64_e32 v[4:5], v[2:3], v[6:7]
	v_div_scale_f64 v[2:3], s[2:3], v[4:5], v[4:5], 1.0
	v_rcp_f64_e32 v[8:9], v[2:3]
	s_nop 0
	v_fma_f64 v[10:11], -v[2:3], v[8:9], 1.0
	v_fmac_f64_e32 v[8:9], v[8:9], v[10:11]
	v_fma_f64 v[10:11], -v[2:3], v[8:9], 1.0
	v_fmac_f64_e32 v[8:9], v[8:9], v[10:11]
	v_div_scale_f64 v[10:11], vcc, 1.0, v[4:5], 1.0
	v_mul_f64 v[30:31], v[10:11], v[8:9]
	v_fma_f64 v[2:3], -v[2:3], v[30:31], v[10:11]
	s_nop 1
	v_div_fmas_f64 v[2:3], v[2:3], v[8:9], v[30:31]
	v_div_fixup_f64 v[8:9], v[2:3], v[4:5], 1.0
	v_mul_f64 v[6:7], v[6:7], v[8:9]
	v_xor_b32_e32 v9, 0x80000000, v9
	v_xor_b32_e32 v11, 0x80000000, v7
	v_mov_b32_e32 v10, v6
                                        ; implicit-def: $vgpr2_vgpr3
.LBB70_4:
	s_or_saveexec_b64 s[0:1], s[0:1]
	v_add_u32_e32 v1, 0, v28
	s_xor_b64 exec, exec, s[0:1]
	s_cbranch_execz .LBB70_6
; %bb.5:
	v_div_scale_f64 v[6:7], s[2:3], v[2:3], v[2:3], v[4:5]
	v_rcp_f64_e32 v[8:9], v[6:7]
	v_div_scale_f64 v[10:11], vcc, v[4:5], v[2:3], v[4:5]
	v_fma_f64 v[30:31], -v[6:7], v[8:9], 1.0
	v_fmac_f64_e32 v[8:9], v[8:9], v[30:31]
	v_fma_f64 v[30:31], -v[6:7], v[8:9], 1.0
	v_fmac_f64_e32 v[8:9], v[8:9], v[30:31]
	v_mul_f64 v[30:31], v[10:11], v[8:9]
	v_fma_f64 v[6:7], -v[6:7], v[30:31], v[10:11]
	v_div_fmas_f64 v[6:7], v[6:7], v[8:9], v[30:31]
	v_div_fixup_f64 v[8:9], v[6:7], v[2:3], v[4:5]
	v_fmac_f64_e32 v[2:3], v[4:5], v[8:9]
	v_div_scale_f64 v[4:5], s[2:3], v[2:3], v[2:3], 1.0
	v_rcp_f64_e32 v[6:7], v[4:5]
	s_nop 0
	v_fma_f64 v[10:11], -v[4:5], v[6:7], 1.0
	v_fmac_f64_e32 v[6:7], v[6:7], v[10:11]
	v_fma_f64 v[10:11], -v[4:5], v[6:7], 1.0
	v_fmac_f64_e32 v[6:7], v[6:7], v[10:11]
	v_div_scale_f64 v[10:11], vcc, 1.0, v[2:3], 1.0
	v_mul_f64 v[30:31], v[10:11], v[6:7]
	v_fma_f64 v[4:5], -v[4:5], v[30:31], v[10:11]
	s_nop 1
	v_div_fmas_f64 v[4:5], v[4:5], v[6:7], v[30:31]
	v_div_fixup_f64 v[6:7], v[4:5], v[2:3], 1.0
	v_xor_b32_e32 v11, 0x80000000, v7
	v_mov_b32_e32 v10, v6
	v_mul_f64 v[8:9], v[8:9], -v[6:7]
.LBB70_6:
	s_or_b64 exec, exec, s[0:1]
	scratch_store_dwordx4 v1, v[6:9], off
	s_nop 1
	v_xor_b32_e32 v9, 0x80000000, v9
	s_branch .LBB70_8
.LBB70_7:
	v_mov_b64_e32 v[8:9], 0
	v_mov_b64_e32 v[10:11], -1.0
.LBB70_8:
	v_add_u32_e32 v1, 16, v12
	v_add_u32_e32 v29, 32, v12
	;; [unrolled: 1-line block ×6, first 2 shown]
	v_mov_b32_e32 v12, v8
	v_mov_b32_e32 v13, v9
	s_cmpk_eq_i32 s4, 0x79
	v_add_u32_e32 v9, 0x70, v28
	v_add_u32_e32 v8, 0, v28
	ds_write_b128 v28, v[10:13]
	s_cbranch_scc1 .LBB70_52
; %bb.9:
	scratch_load_dwordx4 v[2:5], v33, off
	v_cmp_eq_u32_e64 s[0:1], 6, v0
	s_waitcnt vmcnt(0)
	ds_write_b128 v9, v[2:5]
	s_waitcnt lgkmcnt(0)
	; wave barrier
	s_waitcnt lgkmcnt(0)
	s_and_saveexec_b64 s[2:3], s[0:1]
	s_cbranch_execz .LBB70_13
; %bb.10:
	ds_read_b128 v[2:5], v9
	s_andn2_b64 vcc, exec, s[6:7]
	s_cbranch_vccnz .LBB70_12
; %bb.11:
	scratch_load_dwordx4 v[10:13], v8, off
	s_waitcnt vmcnt(0) lgkmcnt(0)
	v_mul_f64 v[6:7], v[4:5], v[12:13]
	v_mul_f64 v[12:13], v[2:3], v[12:13]
	v_fmac_f64_e32 v[12:13], v[4:5], v[10:11]
	v_fma_f64 v[2:3], v[2:3], v[10:11], -v[6:7]
	v_mov_b64_e32 v[4:5], v[12:13]
.LBB70_12:
	v_mov_b32_e32 v6, 0
	ds_read_b128 v[10:13], v6 offset:80
	s_waitcnt lgkmcnt(0)
	v_mul_f64 v[6:7], v[4:5], v[12:13]
	v_mul_f64 v[36:37], v[2:3], v[12:13]
	v_fma_f64 v[34:35], v[2:3], v[10:11], -v[6:7]
	v_fmac_f64_e32 v[36:37], v[4:5], v[10:11]
	scratch_store_dwordx4 off, v[34:37], off offset:80
.LBB70_13:
	s_or_b64 exec, exec, s[2:3]
	scratch_load_dwordx4 v[2:5], v30, off
	v_cmp_lt_u32_e64 s[2:3], 4, v0
	s_waitcnt vmcnt(0)
	ds_write_b128 v9, v[2:5]
	s_waitcnt lgkmcnt(0)
	; wave barrier
	s_waitcnt lgkmcnt(0)
	s_and_saveexec_b64 s[4:5], s[2:3]
	s_cbranch_execz .LBB70_19
; %bb.14:
	ds_read_b128 v[2:5], v9
	s_andn2_b64 vcc, exec, s[6:7]
	s_cbranch_vccnz .LBB70_16
; %bb.15:
	scratch_load_dwordx4 v[10:13], v8, off
	s_waitcnt vmcnt(0) lgkmcnt(0)
	v_mul_f64 v[6:7], v[4:5], v[12:13]
	v_mul_f64 v[12:13], v[2:3], v[12:13]
	v_fmac_f64_e32 v[12:13], v[4:5], v[10:11]
	v_fma_f64 v[2:3], v[2:3], v[10:11], -v[6:7]
	v_mov_b64_e32 v[4:5], v[12:13]
.LBB70_16:
	s_and_saveexec_b64 s[8:9], s[0:1]
	s_cbranch_execz .LBB70_18
; %bb.17:
	scratch_load_dwordx4 v[10:13], off, off offset:80
	v_mov_b32_e32 v6, 0
	ds_read_b128 v[34:37], v6 offset:192
	s_waitcnt vmcnt(0) lgkmcnt(0)
	v_mul_f64 v[6:7], v[34:35], v[12:13]
	v_mul_f64 v[12:13], v[36:37], v[12:13]
	v_fmac_f64_e32 v[6:7], v[36:37], v[10:11]
	v_fma_f64 v[10:11], v[34:35], v[10:11], -v[12:13]
	v_add_f64 v[4:5], v[4:5], v[6:7]
	v_add_f64 v[2:3], v[2:3], v[10:11]
.LBB70_18:
	s_or_b64 exec, exec, s[8:9]
	v_mov_b32_e32 v6, 0
	ds_read_b128 v[10:13], v6 offset:64
	s_waitcnt lgkmcnt(0)
	v_mul_f64 v[6:7], v[4:5], v[12:13]
	v_mul_f64 v[36:37], v[2:3], v[12:13]
	v_fma_f64 v[34:35], v[2:3], v[10:11], -v[6:7]
	v_fmac_f64_e32 v[36:37], v[4:5], v[10:11]
	scratch_store_dwordx4 off, v[34:37], off offset:64
.LBB70_19:
	s_or_b64 exec, exec, s[4:5]
	scratch_load_dwordx4 v[2:5], v32, off
	v_cmp_lt_u32_e64 s[0:1], 3, v0
	s_waitcnt vmcnt(0)
	ds_write_b128 v9, v[2:5]
	s_waitcnt lgkmcnt(0)
	; wave barrier
	s_waitcnt lgkmcnt(0)
	s_and_saveexec_b64 s[4:5], s[0:1]
	s_cbranch_execz .LBB70_27
; %bb.20:
	ds_read_b128 v[2:5], v9
	s_andn2_b64 vcc, exec, s[6:7]
	s_cbranch_vccnz .LBB70_22
; %bb.21:
	scratch_load_dwordx4 v[10:13], v8, off
	s_waitcnt vmcnt(0) lgkmcnt(0)
	v_mul_f64 v[6:7], v[4:5], v[12:13]
	v_mul_f64 v[12:13], v[2:3], v[12:13]
	v_fmac_f64_e32 v[12:13], v[4:5], v[10:11]
	v_fma_f64 v[2:3], v[2:3], v[10:11], -v[6:7]
	v_mov_b64_e32 v[4:5], v[12:13]
.LBB70_22:
	s_and_saveexec_b64 s[8:9], s[2:3]
	s_cbranch_execz .LBB70_26
; %bb.23:
	v_mov_b32_e32 v7, 0
	v_add_u32_e32 v6, -4, v0
	v_add_u32_e32 v7, 0x48, v7
	s_movk_i32 s10, 0xb0
	s_mov_b64 s[2:3], 0
.LBB70_24:                              ; =>This Inner Loop Header: Depth=1
	v_add_u32_e32 v10, -8, v7
	scratch_load_dwordx4 v[10:13], v10, off
	v_mov_b32_e32 v34, s10
	ds_read_b128 v[34:37], v34
	v_add_u32_e32 v6, -1, v6
	s_add_i32 s10, s10, 16
	v_cmp_eq_u32_e32 vcc, 0, v6
	v_add_u32_e32 v7, 16, v7
	s_or_b64 s[2:3], vcc, s[2:3]
	s_waitcnt vmcnt(0) lgkmcnt(0)
	v_mul_f64 v[38:39], v[36:37], v[12:13]
	v_mul_f64 v[12:13], v[34:35], v[12:13]
	v_fma_f64 v[34:35], v[34:35], v[10:11], -v[38:39]
	v_fmac_f64_e32 v[12:13], v[36:37], v[10:11]
	v_add_f64 v[2:3], v[2:3], v[34:35]
	v_add_f64 v[4:5], v[4:5], v[12:13]
	s_andn2_b64 exec, exec, s[2:3]
	s_cbranch_execnz .LBB70_24
; %bb.25:
	s_or_b64 exec, exec, s[2:3]
.LBB70_26:
	s_or_b64 exec, exec, s[8:9]
	v_mov_b32_e32 v6, 0
	ds_read_b128 v[10:13], v6 offset:48
	s_waitcnt lgkmcnt(0)
	v_mul_f64 v[6:7], v[4:5], v[12:13]
	v_mul_f64 v[36:37], v[2:3], v[12:13]
	v_fma_f64 v[34:35], v[2:3], v[10:11], -v[6:7]
	v_fmac_f64_e32 v[36:37], v[4:5], v[10:11]
	scratch_store_dwordx4 off, v[34:37], off offset:48
.LBB70_27:
	s_or_b64 exec, exec, s[4:5]
	scratch_load_dwordx4 v[2:5], v29, off
	v_cmp_lt_u32_e64 s[2:3], 2, v0
	s_waitcnt vmcnt(0)
	ds_write_b128 v9, v[2:5]
	s_waitcnt lgkmcnt(0)
	; wave barrier
	s_waitcnt lgkmcnt(0)
	s_and_saveexec_b64 s[4:5], s[2:3]
	s_cbranch_execz .LBB70_35
; %bb.28:
	ds_read_b128 v[2:5], v9
	s_andn2_b64 vcc, exec, s[6:7]
	s_cbranch_vccnz .LBB70_30
; %bb.29:
	scratch_load_dwordx4 v[10:13], v8, off
	s_waitcnt vmcnt(0) lgkmcnt(0)
	v_mul_f64 v[6:7], v[4:5], v[12:13]
	v_mul_f64 v[12:13], v[2:3], v[12:13]
	v_fmac_f64_e32 v[12:13], v[4:5], v[10:11]
	v_fma_f64 v[2:3], v[2:3], v[10:11], -v[6:7]
	v_mov_b64_e32 v[4:5], v[12:13]
.LBB70_30:
	s_and_saveexec_b64 s[8:9], s[0:1]
	s_cbranch_execz .LBB70_34
; %bb.31:
	v_mov_b32_e32 v7, 0
	v_add_u32_e32 v6, -3, v0
	v_add_u32_e32 v7, 56, v7
	s_movk_i32 s10, 0xa0
	s_mov_b64 s[0:1], 0
.LBB70_32:                              ; =>This Inner Loop Header: Depth=1
	v_add_u32_e32 v10, -8, v7
	scratch_load_dwordx4 v[10:13], v10, off
	v_mov_b32_e32 v34, s10
	ds_read_b128 v[34:37], v34
	v_add_u32_e32 v6, -1, v6
	s_add_i32 s10, s10, 16
	v_cmp_eq_u32_e32 vcc, 0, v6
	v_add_u32_e32 v7, 16, v7
	s_or_b64 s[0:1], vcc, s[0:1]
	s_waitcnt vmcnt(0) lgkmcnt(0)
	v_mul_f64 v[38:39], v[36:37], v[12:13]
	v_mul_f64 v[12:13], v[34:35], v[12:13]
	v_fma_f64 v[34:35], v[34:35], v[10:11], -v[38:39]
	v_fmac_f64_e32 v[12:13], v[36:37], v[10:11]
	v_add_f64 v[2:3], v[2:3], v[34:35]
	v_add_f64 v[4:5], v[4:5], v[12:13]
	s_andn2_b64 exec, exec, s[0:1]
	s_cbranch_execnz .LBB70_32
; %bb.33:
	s_or_b64 exec, exec, s[0:1]
.LBB70_34:
	s_or_b64 exec, exec, s[8:9]
	v_mov_b32_e32 v6, 0
	ds_read_b128 v[10:13], v6 offset:32
	s_waitcnt lgkmcnt(0)
	v_mul_f64 v[6:7], v[4:5], v[12:13]
	v_mul_f64 v[36:37], v[2:3], v[12:13]
	v_fma_f64 v[34:35], v[2:3], v[10:11], -v[6:7]
	v_fmac_f64_e32 v[36:37], v[4:5], v[10:11]
	scratch_store_dwordx4 off, v[34:37], off offset:32
.LBB70_35:
	s_or_b64 exec, exec, s[4:5]
	scratch_load_dwordx4 v[2:5], v1, off
	v_cmp_lt_u32_e64 s[0:1], 1, v0
	s_waitcnt vmcnt(0)
	ds_write_b128 v9, v[2:5]
	s_waitcnt lgkmcnt(0)
	; wave barrier
	s_waitcnt lgkmcnt(0)
	s_and_saveexec_b64 s[4:5], s[0:1]
	s_cbranch_execz .LBB70_43
; %bb.36:
	ds_read_b128 v[2:5], v9
	s_andn2_b64 vcc, exec, s[6:7]
	s_cbranch_vccnz .LBB70_38
; %bb.37:
	scratch_load_dwordx4 v[10:13], v8, off
	s_waitcnt vmcnt(0) lgkmcnt(0)
	v_mul_f64 v[6:7], v[4:5], v[12:13]
	v_mul_f64 v[12:13], v[2:3], v[12:13]
	v_fmac_f64_e32 v[12:13], v[4:5], v[10:11]
	v_fma_f64 v[2:3], v[2:3], v[10:11], -v[6:7]
	v_mov_b64_e32 v[4:5], v[12:13]
.LBB70_38:
	s_and_saveexec_b64 s[8:9], s[2:3]
	s_cbranch_execz .LBB70_42
; %bb.39:
	v_mov_b32_e32 v7, 0
	v_add_u32_e32 v6, -2, v0
	v_add_u32_e32 v7, 40, v7
	s_movk_i32 s10, 0x90
	s_mov_b64 s[2:3], 0
.LBB70_40:                              ; =>This Inner Loop Header: Depth=1
	v_add_u32_e32 v10, -8, v7
	scratch_load_dwordx4 v[10:13], v10, off
	v_mov_b32_e32 v34, s10
	ds_read_b128 v[34:37], v34
	v_add_u32_e32 v6, -1, v6
	s_add_i32 s10, s10, 16
	v_cmp_eq_u32_e32 vcc, 0, v6
	v_add_u32_e32 v7, 16, v7
	s_or_b64 s[2:3], vcc, s[2:3]
	s_waitcnt vmcnt(0) lgkmcnt(0)
	v_mul_f64 v[38:39], v[36:37], v[12:13]
	v_mul_f64 v[12:13], v[34:35], v[12:13]
	v_fma_f64 v[34:35], v[34:35], v[10:11], -v[38:39]
	v_fmac_f64_e32 v[12:13], v[36:37], v[10:11]
	v_add_f64 v[2:3], v[2:3], v[34:35]
	v_add_f64 v[4:5], v[4:5], v[12:13]
	s_andn2_b64 exec, exec, s[2:3]
	s_cbranch_execnz .LBB70_40
; %bb.41:
	s_or_b64 exec, exec, s[2:3]
.LBB70_42:
	s_or_b64 exec, exec, s[8:9]
	v_mov_b32_e32 v6, 0
	ds_read_b128 v[10:13], v6 offset:16
	s_waitcnt lgkmcnt(0)
	v_mul_f64 v[6:7], v[4:5], v[12:13]
	v_mul_f64 v[36:37], v[2:3], v[12:13]
	v_fma_f64 v[34:35], v[2:3], v[10:11], -v[6:7]
	v_fmac_f64_e32 v[36:37], v[4:5], v[10:11]
	scratch_store_dwordx4 off, v[34:37], off offset:16
.LBB70_43:
	s_or_b64 exec, exec, s[4:5]
	scratch_load_dwordx4 v[2:5], off, off
	v_cmp_ne_u32_e32 vcc, 0, v0
	s_mov_b64 s[2:3], 0
	s_mov_b64 s[4:5], 0
                                        ; implicit-def: $vgpr6_vgpr7
                                        ; implicit-def: $vgpr10
	s_waitcnt vmcnt(0)
	ds_write_b128 v9, v[2:5]
	s_waitcnt lgkmcnt(0)
	; wave barrier
	s_waitcnt lgkmcnt(0)
	s_and_saveexec_b64 s[8:9], vcc
	s_cbranch_execz .LBB70_51
; %bb.44:
	ds_read_b128 v[2:5], v9
	s_andn2_b64 vcc, exec, s[6:7]
	s_cbranch_vccnz .LBB70_46
; %bb.45:
	scratch_load_dwordx4 v[10:13], v8, off
	s_waitcnt vmcnt(0) lgkmcnt(0)
	v_mul_f64 v[6:7], v[4:5], v[12:13]
	v_mul_f64 v[12:13], v[2:3], v[12:13]
	v_fmac_f64_e32 v[12:13], v[4:5], v[10:11]
	v_fma_f64 v[2:3], v[2:3], v[10:11], -v[6:7]
	v_mov_b64_e32 v[4:5], v[12:13]
.LBB70_46:
	s_and_saveexec_b64 s[4:5], s[0:1]
	s_cbranch_execz .LBB70_50
; %bb.47:
	v_mov_b32_e32 v7, 0
	v_add_u32_e32 v6, -1, v0
	v_add_u32_e32 v7, 24, v7
	s_movk_i32 s10, 0x80
	s_mov_b64 s[0:1], 0
.LBB70_48:                              ; =>This Inner Loop Header: Depth=1
	v_add_u32_e32 v10, -8, v7
	scratch_load_dwordx4 v[10:13], v10, off
	v_mov_b32_e32 v34, s10
	ds_read_b128 v[34:37], v34
	v_add_u32_e32 v6, -1, v6
	s_add_i32 s10, s10, 16
	v_cmp_eq_u32_e32 vcc, 0, v6
	v_add_u32_e32 v7, 16, v7
	s_or_b64 s[0:1], vcc, s[0:1]
	s_waitcnt vmcnt(0) lgkmcnt(0)
	v_mul_f64 v[38:39], v[36:37], v[12:13]
	v_mul_f64 v[12:13], v[34:35], v[12:13]
	v_fma_f64 v[34:35], v[34:35], v[10:11], -v[38:39]
	v_fmac_f64_e32 v[12:13], v[36:37], v[10:11]
	v_add_f64 v[2:3], v[2:3], v[34:35]
	v_add_f64 v[4:5], v[4:5], v[12:13]
	s_andn2_b64 exec, exec, s[0:1]
	s_cbranch_execnz .LBB70_48
; %bb.49:
	s_or_b64 exec, exec, s[0:1]
.LBB70_50:
	s_or_b64 exec, exec, s[4:5]
	v_mov_b32_e32 v6, 0
	ds_read_b128 v[34:37], v6
	v_mov_b32_e32 v6, 0
	v_or_b32_e32 v10, 8, v6
	s_mov_b64 s[4:5], exec
	s_waitcnt lgkmcnt(0)
	v_mul_f64 v[12:13], v[4:5], v[36:37]
	v_mul_f64 v[6:7], v[2:3], v[36:37]
	v_fma_f64 v[2:3], v[2:3], v[34:35], -v[12:13]
	v_fmac_f64_e32 v[6:7], v[4:5], v[34:35]
	scratch_store_dwordx2 off, v[2:3], off
.LBB70_51:
	s_or_b64 exec, exec, s[8:9]
	s_and_b64 vcc, exec, s[2:3]
	s_cbranch_vccnz .LBB70_53
	s_branch .LBB70_96
.LBB70_52:
	s_mov_b64 s[4:5], 0
                                        ; implicit-def: $vgpr6_vgpr7
                                        ; implicit-def: $vgpr10
	s_cbranch_execz .LBB70_96
.LBB70_53:
	scratch_load_dwordx4 v[2:5], v1, off
	v_cndmask_b32_e64 v6, 0, 1, s[6:7]
	v_cmp_eq_u32_e64 s[2:3], 0, v0
	v_cmp_ne_u32_e64 s[0:1], 1, v6
	s_waitcnt vmcnt(0)
	ds_write_b128 v9, v[2:5]
	s_waitcnt lgkmcnt(0)
	; wave barrier
	s_waitcnt lgkmcnt(0)
	s_and_saveexec_b64 s[6:7], s[2:3]
	s_cbranch_execz .LBB70_57
; %bb.54:
	ds_read_b128 v[2:5], v9
	s_and_b64 vcc, exec, s[0:1]
	s_cbranch_vccnz .LBB70_56
; %bb.55:
	scratch_load_dwordx4 v[10:13], v8, off
	s_waitcnt vmcnt(0) lgkmcnt(0)
	v_mul_f64 v[6:7], v[4:5], v[12:13]
	v_mul_f64 v[12:13], v[2:3], v[12:13]
	v_fmac_f64_e32 v[12:13], v[4:5], v[10:11]
	v_fma_f64 v[2:3], v[2:3], v[10:11], -v[6:7]
	v_mov_b64_e32 v[4:5], v[12:13]
.LBB70_56:
	v_mov_b32_e32 v6, 0
	ds_read_b128 v[10:13], v6 offset:16
	s_waitcnt lgkmcnt(0)
	v_mul_f64 v[6:7], v[4:5], v[12:13]
	v_mul_f64 v[36:37], v[2:3], v[12:13]
	v_fma_f64 v[34:35], v[2:3], v[10:11], -v[6:7]
	v_fmac_f64_e32 v[36:37], v[4:5], v[10:11]
	scratch_store_dwordx4 off, v[34:37], off offset:16
.LBB70_57:
	s_or_b64 exec, exec, s[6:7]
	scratch_load_dwordx4 v[2:5], v29, off
	v_cmp_gt_u32_e32 vcc, 2, v0
	s_waitcnt vmcnt(0)
	ds_write_b128 v9, v[2:5]
	s_waitcnt lgkmcnt(0)
	; wave barrier
	s_waitcnt lgkmcnt(0)
	s_and_saveexec_b64 s[6:7], vcc
	s_cbranch_execz .LBB70_63
; %bb.58:
	ds_read_b128 v[2:5], v9
	s_and_b64 vcc, exec, s[0:1]
	s_cbranch_vccnz .LBB70_60
; %bb.59:
	scratch_load_dwordx4 v[10:13], v8, off
	s_waitcnt vmcnt(0) lgkmcnt(0)
	v_mul_f64 v[6:7], v[4:5], v[12:13]
	v_mul_f64 v[12:13], v[2:3], v[12:13]
	v_fmac_f64_e32 v[12:13], v[4:5], v[10:11]
	v_fma_f64 v[2:3], v[2:3], v[10:11], -v[6:7]
	v_mov_b64_e32 v[4:5], v[12:13]
.LBB70_60:
	s_and_saveexec_b64 s[8:9], s[2:3]
	s_cbranch_execz .LBB70_62
; %bb.61:
	scratch_load_dwordx4 v[10:13], v8, off offset:16
	ds_read_b128 v[34:37], v9 offset:16
	s_waitcnt vmcnt(0) lgkmcnt(0)
	v_mul_f64 v[6:7], v[36:37], v[12:13]
	v_mul_f64 v[12:13], v[34:35], v[12:13]
	v_fma_f64 v[6:7], v[34:35], v[10:11], -v[6:7]
	v_fmac_f64_e32 v[12:13], v[36:37], v[10:11]
	v_add_f64 v[2:3], v[2:3], v[6:7]
	v_add_f64 v[4:5], v[4:5], v[12:13]
.LBB70_62:
	s_or_b64 exec, exec, s[8:9]
	v_mov_b32_e32 v6, 0
	ds_read_b128 v[10:13], v6 offset:32
	s_waitcnt lgkmcnt(0)
	v_mul_f64 v[6:7], v[4:5], v[12:13]
	v_mul_f64 v[36:37], v[2:3], v[12:13]
	v_fma_f64 v[34:35], v[2:3], v[10:11], -v[6:7]
	v_fmac_f64_e32 v[36:37], v[4:5], v[10:11]
	scratch_store_dwordx4 off, v[34:37], off offset:32
.LBB70_63:
	s_or_b64 exec, exec, s[6:7]
	scratch_load_dwordx4 v[2:5], v32, off
	v_cmp_gt_u32_e32 vcc, 3, v0
	s_waitcnt vmcnt(0)
	ds_write_b128 v9, v[2:5]
	s_waitcnt lgkmcnt(0)
	; wave barrier
	s_waitcnt lgkmcnt(0)
	s_and_saveexec_b64 s[6:7], vcc
	s_cbranch_execz .LBB70_71
; %bb.64:
	ds_read_b128 v[2:5], v9
	s_and_b64 vcc, exec, s[0:1]
	s_cbranch_vccnz .LBB70_66
; %bb.65:
	scratch_load_dwordx4 v[10:13], v8, off
	s_waitcnt vmcnt(0) lgkmcnt(0)
	v_mul_f64 v[6:7], v[4:5], v[12:13]
	v_mul_f64 v[12:13], v[2:3], v[12:13]
	v_fmac_f64_e32 v[12:13], v[4:5], v[10:11]
	v_fma_f64 v[2:3], v[2:3], v[10:11], -v[6:7]
	v_mov_b64_e32 v[4:5], v[12:13]
.LBB70_66:
	v_cmp_ne_u32_e32 vcc, 2, v0
	s_and_saveexec_b64 s[8:9], vcc
	s_cbranch_execz .LBB70_70
; %bb.67:
	scratch_load_dwordx4 v[10:13], v8, off offset:16
	ds_read_b128 v[34:37], v9 offset:16
	s_waitcnt vmcnt(0) lgkmcnt(0)
	v_mul_f64 v[6:7], v[36:37], v[12:13]
	v_mul_f64 v[12:13], v[34:35], v[12:13]
	v_fma_f64 v[6:7], v[34:35], v[10:11], -v[6:7]
	v_fmac_f64_e32 v[12:13], v[36:37], v[10:11]
	v_add_f64 v[2:3], v[2:3], v[6:7]
	v_add_f64 v[4:5], v[4:5], v[12:13]
	s_and_saveexec_b64 s[10:11], s[2:3]
	s_cbranch_execz .LBB70_69
; %bb.68:
	scratch_load_dwordx4 v[10:13], off, off offset:32
	v_mov_b32_e32 v6, 0
	ds_read_b128 v[34:37], v6 offset:144
	s_waitcnt vmcnt(0) lgkmcnt(0)
	v_mul_f64 v[6:7], v[34:35], v[12:13]
	v_mul_f64 v[12:13], v[36:37], v[12:13]
	v_fmac_f64_e32 v[6:7], v[36:37], v[10:11]
	v_fma_f64 v[10:11], v[34:35], v[10:11], -v[12:13]
	v_add_f64 v[4:5], v[4:5], v[6:7]
	v_add_f64 v[2:3], v[2:3], v[10:11]
.LBB70_69:
	s_or_b64 exec, exec, s[10:11]
.LBB70_70:
	s_or_b64 exec, exec, s[8:9]
	v_mov_b32_e32 v6, 0
	ds_read_b128 v[10:13], v6 offset:48
	s_waitcnt lgkmcnt(0)
	v_mul_f64 v[6:7], v[4:5], v[12:13]
	v_mul_f64 v[36:37], v[2:3], v[12:13]
	v_fma_f64 v[34:35], v[2:3], v[10:11], -v[6:7]
	v_fmac_f64_e32 v[36:37], v[4:5], v[10:11]
	scratch_store_dwordx4 off, v[34:37], off offset:48
.LBB70_71:
	s_or_b64 exec, exec, s[6:7]
	scratch_load_dwordx4 v[2:5], v30, off
	v_cmp_gt_u32_e32 vcc, 4, v0
	s_waitcnt vmcnt(0)
	ds_write_b128 v9, v[2:5]
	s_waitcnt lgkmcnt(0)
	; wave barrier
	s_waitcnt lgkmcnt(0)
	s_and_saveexec_b64 s[2:3], vcc
	s_cbranch_execz .LBB70_79
; %bb.72:
	ds_read_b128 v[2:5], v9
	s_and_b64 vcc, exec, s[0:1]
	s_cbranch_vccnz .LBB70_74
; %bb.73:
	scratch_load_dwordx4 v[10:13], v8, off
	s_waitcnt vmcnt(0) lgkmcnt(0)
	v_mul_f64 v[6:7], v[4:5], v[12:13]
	v_mul_f64 v[12:13], v[2:3], v[12:13]
	v_fmac_f64_e32 v[12:13], v[4:5], v[10:11]
	v_fma_f64 v[2:3], v[2:3], v[10:11], -v[6:7]
	v_mov_b64_e32 v[4:5], v[12:13]
.LBB70_74:
	v_cmp_ne_u32_e32 vcc, 3, v0
	s_and_saveexec_b64 s[6:7], vcc
	s_cbranch_execz .LBB70_78
; %bb.75:
	v_mov_b32_e32 v7, 0
	v_add_u32_e32 v6, 0x80, v28
	v_add3_u32 v7, v28, v7, 24
	s_mov_b64 s[8:9], 0
	v_mov_b32_e32 v10, v0
.LBB70_76:                              ; =>This Inner Loop Header: Depth=1
	v_add_u32_e32 v11, -8, v7
	scratch_load_dwordx4 v[34:37], v11, off
	ds_read_b128 v[38:41], v6
	v_add_u32_e32 v10, 1, v10
	v_cmp_lt_u32_e32 vcc, 2, v10
	v_add_u32_e32 v6, 16, v6
	v_add_u32_e32 v7, 16, v7
	s_or_b64 s[8:9], vcc, s[8:9]
	s_waitcnt vmcnt(0) lgkmcnt(0)
	v_mul_f64 v[12:13], v[40:41], v[36:37]
	v_mul_f64 v[36:37], v[38:39], v[36:37]
	v_fma_f64 v[12:13], v[38:39], v[34:35], -v[12:13]
	v_fmac_f64_e32 v[36:37], v[40:41], v[34:35]
	v_add_f64 v[2:3], v[2:3], v[12:13]
	v_add_f64 v[4:5], v[4:5], v[36:37]
	s_andn2_b64 exec, exec, s[8:9]
	s_cbranch_execnz .LBB70_76
; %bb.77:
	s_or_b64 exec, exec, s[8:9]
.LBB70_78:
	s_or_b64 exec, exec, s[6:7]
	v_mov_b32_e32 v6, 0
	ds_read_b128 v[10:13], v6 offset:64
	s_waitcnt lgkmcnt(0)
	v_mul_f64 v[6:7], v[4:5], v[12:13]
	v_mul_f64 v[36:37], v[2:3], v[12:13]
	v_fma_f64 v[34:35], v[2:3], v[10:11], -v[6:7]
	v_fmac_f64_e32 v[36:37], v[4:5], v[10:11]
	scratch_store_dwordx4 off, v[34:37], off offset:64
.LBB70_79:
	s_or_b64 exec, exec, s[2:3]
	scratch_load_dwordx4 v[2:5], v33, off
	v_cmp_gt_u32_e64 s[2:3], 5, v0
	s_waitcnt vmcnt(0)
	ds_write_b128 v9, v[2:5]
	s_waitcnt lgkmcnt(0)
	; wave barrier
	s_waitcnt lgkmcnt(0)
	s_and_saveexec_b64 s[6:7], s[2:3]
	s_cbranch_execz .LBB70_87
; %bb.80:
	ds_read_b128 v[2:5], v9
	s_and_b64 vcc, exec, s[0:1]
	s_cbranch_vccnz .LBB70_82
; %bb.81:
	scratch_load_dwordx4 v[10:13], v8, off
	s_waitcnt vmcnt(0) lgkmcnt(0)
	v_mul_f64 v[6:7], v[4:5], v[12:13]
	v_mul_f64 v[12:13], v[2:3], v[12:13]
	v_fmac_f64_e32 v[12:13], v[4:5], v[10:11]
	v_fma_f64 v[2:3], v[2:3], v[10:11], -v[6:7]
	v_mov_b64_e32 v[4:5], v[12:13]
.LBB70_82:
	v_cmp_ne_u32_e32 vcc, 4, v0
	s_and_saveexec_b64 s[8:9], vcc
	s_cbranch_execz .LBB70_86
; %bb.83:
	v_mov_b32_e32 v7, 0
	v_add_u32_e32 v6, 0x80, v28
	v_add3_u32 v7, v28, v7, 24
	s_mov_b64 s[10:11], 0
	v_mov_b32_e32 v10, v0
.LBB70_84:                              ; =>This Inner Loop Header: Depth=1
	v_add_u32_e32 v11, -8, v7
	scratch_load_dwordx4 v[34:37], v11, off
	ds_read_b128 v[38:41], v6
	v_add_u32_e32 v10, 1, v10
	v_cmp_lt_u32_e32 vcc, 3, v10
	v_add_u32_e32 v6, 16, v6
	v_add_u32_e32 v7, 16, v7
	s_or_b64 s[10:11], vcc, s[10:11]
	s_waitcnt vmcnt(0) lgkmcnt(0)
	v_mul_f64 v[12:13], v[40:41], v[36:37]
	v_mul_f64 v[36:37], v[38:39], v[36:37]
	v_fma_f64 v[12:13], v[38:39], v[34:35], -v[12:13]
	v_fmac_f64_e32 v[36:37], v[40:41], v[34:35]
	v_add_f64 v[2:3], v[2:3], v[12:13]
	v_add_f64 v[4:5], v[4:5], v[36:37]
	s_andn2_b64 exec, exec, s[10:11]
	s_cbranch_execnz .LBB70_84
; %bb.85:
	s_or_b64 exec, exec, s[10:11]
.LBB70_86:
	s_or_b64 exec, exec, s[8:9]
	v_mov_b32_e32 v6, 0
	ds_read_b128 v[10:13], v6 offset:80
	s_waitcnt lgkmcnt(0)
	v_mul_f64 v[6:7], v[4:5], v[12:13]
	v_mul_f64 v[36:37], v[2:3], v[12:13]
	v_fma_f64 v[34:35], v[2:3], v[10:11], -v[6:7]
	v_fmac_f64_e32 v[36:37], v[4:5], v[10:11]
	scratch_store_dwordx4 off, v[34:37], off offset:80
.LBB70_87:
	s_or_b64 exec, exec, s[6:7]
	scratch_load_dwordx4 v[2:5], v31, off
	v_cmp_ne_u32_e32 vcc, 6, v0
                                        ; implicit-def: $vgpr6_vgpr7
                                        ; implicit-def: $vgpr10
	s_waitcnt vmcnt(0)
	ds_write_b128 v9, v[2:5]
	s_waitcnt lgkmcnt(0)
	; wave barrier
	s_waitcnt lgkmcnt(0)
	s_and_saveexec_b64 s[6:7], vcc
	s_cbranch_execz .LBB70_95
; %bb.88:
	ds_read_b128 v[2:5], v9
	s_and_b64 vcc, exec, s[0:1]
	s_cbranch_vccnz .LBB70_90
; %bb.89:
	scratch_load_dwordx4 v[6:9], v8, off
	s_waitcnt vmcnt(0) lgkmcnt(0)
	v_mul_f64 v[10:11], v[4:5], v[8:9]
	v_mul_f64 v[8:9], v[2:3], v[8:9]
	v_fmac_f64_e32 v[8:9], v[4:5], v[6:7]
	v_fma_f64 v[2:3], v[2:3], v[6:7], -v[10:11]
	v_mov_b64_e32 v[4:5], v[8:9]
.LBB70_90:
	s_and_saveexec_b64 s[0:1], s[2:3]
	s_cbranch_execz .LBB70_94
; %bb.91:
	v_mov_b32_e32 v7, 0
	v_add_u32_e32 v6, 0x80, v28
	v_add3_u32 v7, v28, v7, 24
	s_mov_b64 s[2:3], 0
.LBB70_92:                              ; =>This Inner Loop Header: Depth=1
	v_add_u32_e32 v8, -8, v7
	scratch_load_dwordx4 v[8:11], v8, off
	ds_read_b128 v[34:37], v6
	v_add_u32_e32 v0, 1, v0
	v_cmp_lt_u32_e32 vcc, 4, v0
	v_add_u32_e32 v6, 16, v6
	v_add_u32_e32 v7, 16, v7
	s_or_b64 s[2:3], vcc, s[2:3]
	s_waitcnt vmcnt(0) lgkmcnt(0)
	v_mul_f64 v[12:13], v[36:37], v[10:11]
	v_mul_f64 v[10:11], v[34:35], v[10:11]
	v_fma_f64 v[12:13], v[34:35], v[8:9], -v[12:13]
	v_fmac_f64_e32 v[10:11], v[36:37], v[8:9]
	v_add_f64 v[2:3], v[2:3], v[12:13]
	v_add_f64 v[4:5], v[4:5], v[10:11]
	s_andn2_b64 exec, exec, s[2:3]
	s_cbranch_execnz .LBB70_92
; %bb.93:
	s_or_b64 exec, exec, s[2:3]
.LBB70_94:
	s_or_b64 exec, exec, s[0:1]
	v_mov_b32_e32 v0, 0
	ds_read_b128 v[34:37], v0 offset:96
	v_mov_b32_e32 v0, 0
	v_add_u32_e32 v10, 0x68, v0
	s_or_b64 s[4:5], s[4:5], exec
	s_waitcnt lgkmcnt(0)
	v_mul_f64 v[8:9], v[4:5], v[36:37]
	v_mul_f64 v[6:7], v[2:3], v[36:37]
	v_fma_f64 v[2:3], v[2:3], v[34:35], -v[8:9]
	v_fmac_f64_e32 v[6:7], v[4:5], v[34:35]
	scratch_store_dwordx2 off, v[2:3], off offset:96
.LBB70_95:
	s_or_b64 exec, exec, s[6:7]
.LBB70_96:
	s_and_saveexec_b64 s[0:1], s[4:5]
	s_cbranch_execz .LBB70_98
; %bb.97:
	scratch_store_dwordx2 v10, v[6:7], off
.LBB70_98:
	s_or_b64 exec, exec, s[0:1]
	scratch_load_dwordx4 v[2:5], off, off
	scratch_load_dwordx4 v[6:9], v1, off
	scratch_load_dwordx4 v[10:13], v29, off
	;; [unrolled: 1-line block ×6, first 2 shown]
	s_waitcnt vmcnt(6)
	global_store_dwordx4 v[14:15], v[2:5], off
	s_waitcnt vmcnt(6)
	global_store_dwordx4 v[16:17], v[6:9], off
	;; [unrolled: 2-line block ×7, first 2 shown]
.LBB70_99:
	s_endpgm
	.section	.rodata,"a",@progbits
	.p2align	6, 0x0
	.amdhsa_kernel _ZN9rocsolver6v33100L18trti2_kernel_smallILi7E19rocblas_complex_numIdEPKPS3_EEv13rocblas_fill_17rocblas_diagonal_T1_iil
		.amdhsa_group_segment_fixed_size 224
		.amdhsa_private_segment_fixed_size 128
		.amdhsa_kernarg_size 32
		.amdhsa_user_sgpr_count 2
		.amdhsa_user_sgpr_dispatch_ptr 0
		.amdhsa_user_sgpr_queue_ptr 0
		.amdhsa_user_sgpr_kernarg_segment_ptr 1
		.amdhsa_user_sgpr_dispatch_id 0
		.amdhsa_user_sgpr_kernarg_preload_length 0
		.amdhsa_user_sgpr_kernarg_preload_offset 0
		.amdhsa_user_sgpr_private_segment_size 0
		.amdhsa_uses_dynamic_stack 0
		.amdhsa_enable_private_segment 1
		.amdhsa_system_sgpr_workgroup_id_x 1
		.amdhsa_system_sgpr_workgroup_id_y 0
		.amdhsa_system_sgpr_workgroup_id_z 0
		.amdhsa_system_sgpr_workgroup_info 0
		.amdhsa_system_vgpr_workitem_id 0
		.amdhsa_next_free_vgpr 50
		.amdhsa_next_free_sgpr 12
		.amdhsa_accum_offset 52
		.amdhsa_reserve_vcc 1
		.amdhsa_float_round_mode_32 0
		.amdhsa_float_round_mode_16_64 0
		.amdhsa_float_denorm_mode_32 3
		.amdhsa_float_denorm_mode_16_64 3
		.amdhsa_dx10_clamp 1
		.amdhsa_ieee_mode 1
		.amdhsa_fp16_overflow 0
		.amdhsa_tg_split 0
		.amdhsa_exception_fp_ieee_invalid_op 0
		.amdhsa_exception_fp_denorm_src 0
		.amdhsa_exception_fp_ieee_div_zero 0
		.amdhsa_exception_fp_ieee_overflow 0
		.amdhsa_exception_fp_ieee_underflow 0
		.amdhsa_exception_fp_ieee_inexact 0
		.amdhsa_exception_int_div_zero 0
	.end_amdhsa_kernel
	.section	.text._ZN9rocsolver6v33100L18trti2_kernel_smallILi7E19rocblas_complex_numIdEPKPS3_EEv13rocblas_fill_17rocblas_diagonal_T1_iil,"axG",@progbits,_ZN9rocsolver6v33100L18trti2_kernel_smallILi7E19rocblas_complex_numIdEPKPS3_EEv13rocblas_fill_17rocblas_diagonal_T1_iil,comdat
.Lfunc_end70:
	.size	_ZN9rocsolver6v33100L18trti2_kernel_smallILi7E19rocblas_complex_numIdEPKPS3_EEv13rocblas_fill_17rocblas_diagonal_T1_iil, .Lfunc_end70-_ZN9rocsolver6v33100L18trti2_kernel_smallILi7E19rocblas_complex_numIdEPKPS3_EEv13rocblas_fill_17rocblas_diagonal_T1_iil
                                        ; -- End function
	.section	.AMDGPU.csdata,"",@progbits
; Kernel info:
; codeLenInByte = 4348
; NumSgprs: 18
; NumVgprs: 50
; NumAgprs: 0
; TotalNumVgprs: 50
; ScratchSize: 128
; MemoryBound: 0
; FloatMode: 240
; IeeeMode: 1
; LDSByteSize: 224 bytes/workgroup (compile time only)
; SGPRBlocks: 2
; VGPRBlocks: 6
; NumSGPRsForWavesPerEU: 18
; NumVGPRsForWavesPerEU: 50
; AccumOffset: 52
; Occupancy: 8
; WaveLimiterHint : 1
; COMPUTE_PGM_RSRC2:SCRATCH_EN: 1
; COMPUTE_PGM_RSRC2:USER_SGPR: 2
; COMPUTE_PGM_RSRC2:TRAP_HANDLER: 0
; COMPUTE_PGM_RSRC2:TGID_X_EN: 1
; COMPUTE_PGM_RSRC2:TGID_Y_EN: 0
; COMPUTE_PGM_RSRC2:TGID_Z_EN: 0
; COMPUTE_PGM_RSRC2:TIDIG_COMP_CNT: 0
; COMPUTE_PGM_RSRC3_GFX90A:ACCUM_OFFSET: 12
; COMPUTE_PGM_RSRC3_GFX90A:TG_SPLIT: 0
	.section	.text._ZN9rocsolver6v33100L18trti2_kernel_smallILi8E19rocblas_complex_numIdEPKPS3_EEv13rocblas_fill_17rocblas_diagonal_T1_iil,"axG",@progbits,_ZN9rocsolver6v33100L18trti2_kernel_smallILi8E19rocblas_complex_numIdEPKPS3_EEv13rocblas_fill_17rocblas_diagonal_T1_iil,comdat
	.globl	_ZN9rocsolver6v33100L18trti2_kernel_smallILi8E19rocblas_complex_numIdEPKPS3_EEv13rocblas_fill_17rocblas_diagonal_T1_iil ; -- Begin function _ZN9rocsolver6v33100L18trti2_kernel_smallILi8E19rocblas_complex_numIdEPKPS3_EEv13rocblas_fill_17rocblas_diagonal_T1_iil
	.p2align	8
	.type	_ZN9rocsolver6v33100L18trti2_kernel_smallILi8E19rocblas_complex_numIdEPKPS3_EEv13rocblas_fill_17rocblas_diagonal_T1_iil,@function
_ZN9rocsolver6v33100L18trti2_kernel_smallILi8E19rocblas_complex_numIdEPKPS3_EEv13rocblas_fill_17rocblas_diagonal_T1_iil: ; @_ZN9rocsolver6v33100L18trti2_kernel_smallILi8E19rocblas_complex_numIdEPKPS3_EEv13rocblas_fill_17rocblas_diagonal_T1_iil
; %bb.0:
	v_cmp_gt_u32_e32 vcc, 8, v0
	s_and_saveexec_b64 s[4:5], vcc
	s_cbranch_execz .LBB71_115
; %bb.1:
	s_load_dwordx2 s[8:9], s[0:1], 0x10
	s_load_dwordx4 s[4:7], s[0:1], 0x0
	s_ashr_i32 s3, s2, 31
	s_lshl_b64 s[0:1], s[2:3], 3
	v_lshlrev_b32_e32 v30, 4, v0
	s_waitcnt lgkmcnt(0)
	s_ashr_i32 s3, s8, 31
	s_add_u32 s0, s6, s0
	s_addc_u32 s1, s7, s1
	s_load_dwordx2 s[0:1], s[0:1], 0x0
	s_mov_b32 s2, s8
	s_lshl_b64 s[2:3], s[2:3], 4
	v_mov_b32_e32 v31, 0
	v_mov_b32_e32 v12, 0
	s_waitcnt lgkmcnt(0)
	s_add_u32 s0, s0, s2
	s_addc_u32 s1, s1, s3
	v_lshl_add_u64 v[14:15], s[0:1], 0, v[30:31]
	s_ashr_i32 s3, s9, 31
	s_mov_b32 s2, s9
	v_lshl_add_u64 v[16:17], s[2:3], 4, v[14:15]
	s_add_i32 s2, s9, s9
	v_add_u32_e32 v10, s2, v0
	v_ashrrev_i32_e32 v11, 31, v10
	v_lshl_add_u64 v[18:19], v[10:11], 4, s[0:1]
	v_add_u32_e32 v10, s9, v10
	v_ashrrev_i32_e32 v11, 31, v10
	v_lshl_add_u64 v[20:21], v[10:11], 4, s[0:1]
	;; [unrolled: 3-line block ×6, first 2 shown]
	global_load_dwordx4 v[2:5], v30, s[0:1]
	global_load_dwordx4 v[6:9], v[16:17], off
	global_load_dwordx4 v[32:35], v[18:19], off
	;; [unrolled: 1-line block ×7, first 2 shown]
	s_cmpk_lg_i32 s5, 0x84
	s_cselect_b64 s[6:7], -1, 0
	s_cmpk_eq_i32 s5, 0x84
	s_waitcnt vmcnt(7)
	scratch_store_dwordx4 off, v[2:5], off
	s_waitcnt vmcnt(7)
	scratch_store_dwordx4 off, v[6:9], off offset:16
	s_waitcnt vmcnt(7)
	scratch_store_dwordx4 off, v[32:35], off offset:32
	;; [unrolled: 2-line block ×7, first 2 shown]
	s_cbranch_scc1 .LBB71_7
; %bb.2:
	scratch_load_dwordx4 v[2:5], v30, off
                                        ; implicit-def: $vgpr10_vgpr11
	s_waitcnt vmcnt(0)
	v_xor_b32_e32 v1, 0x80000000, v3
	v_cmp_gt_f64_e32 vcc, 0, v[2:3]
	v_xor_b32_e32 v8, 0x80000000, v5
	v_mov_b32_e32 v6, v2
	v_cndmask_b32_e32 v7, v3, v1, vcc
	v_cmp_gt_f64_e32 vcc, 0, v[4:5]
	s_nop 1
	v_cndmask_b32_e32 v9, v5, v8, vcc
	v_mov_b32_e32 v8, v4
	v_cmp_ngt_f64_e32 vcc, v[6:7], v[8:9]
                                        ; implicit-def: $vgpr6_vgpr7
	s_and_saveexec_b64 s[0:1], vcc
	s_xor_b64 s[0:1], exec, s[0:1]
	s_cbranch_execz .LBB71_4
; %bb.3:
	v_div_scale_f64 v[6:7], s[2:3], v[4:5], v[4:5], v[2:3]
	v_rcp_f64_e32 v[8:9], v[6:7]
	v_div_scale_f64 v[10:11], vcc, v[2:3], v[4:5], v[2:3]
	v_fma_f64 v[32:33], -v[6:7], v[8:9], 1.0
	v_fmac_f64_e32 v[8:9], v[8:9], v[32:33]
	v_fma_f64 v[32:33], -v[6:7], v[8:9], 1.0
	v_fmac_f64_e32 v[8:9], v[8:9], v[32:33]
	v_mul_f64 v[32:33], v[10:11], v[8:9]
	v_fma_f64 v[6:7], -v[6:7], v[32:33], v[10:11]
	v_div_fmas_f64 v[6:7], v[6:7], v[8:9], v[32:33]
	v_div_fixup_f64 v[6:7], v[6:7], v[4:5], v[2:3]
	v_fmac_f64_e32 v[4:5], v[2:3], v[6:7]
	v_div_scale_f64 v[2:3], s[2:3], v[4:5], v[4:5], 1.0
	v_rcp_f64_e32 v[8:9], v[2:3]
	s_nop 0
	v_fma_f64 v[10:11], -v[2:3], v[8:9], 1.0
	v_fmac_f64_e32 v[8:9], v[8:9], v[10:11]
	v_fma_f64 v[10:11], -v[2:3], v[8:9], 1.0
	v_fmac_f64_e32 v[8:9], v[8:9], v[10:11]
	v_div_scale_f64 v[10:11], vcc, 1.0, v[4:5], 1.0
	v_mul_f64 v[32:33], v[10:11], v[8:9]
	v_fma_f64 v[2:3], -v[2:3], v[32:33], v[10:11]
	s_nop 1
	v_div_fmas_f64 v[2:3], v[2:3], v[8:9], v[32:33]
	v_div_fixup_f64 v[8:9], v[2:3], v[4:5], 1.0
	v_mul_f64 v[6:7], v[6:7], v[8:9]
	v_xor_b32_e32 v9, 0x80000000, v9
	v_xor_b32_e32 v11, 0x80000000, v7
	v_mov_b32_e32 v10, v6
                                        ; implicit-def: $vgpr2_vgpr3
.LBB71_4:
	s_or_saveexec_b64 s[0:1], s[0:1]
	v_add_u32_e32 v1, 0, v30
	s_xor_b64 exec, exec, s[0:1]
	s_cbranch_execz .LBB71_6
; %bb.5:
	v_div_scale_f64 v[6:7], s[2:3], v[2:3], v[2:3], v[4:5]
	v_rcp_f64_e32 v[8:9], v[6:7]
	v_div_scale_f64 v[10:11], vcc, v[4:5], v[2:3], v[4:5]
	v_fma_f64 v[32:33], -v[6:7], v[8:9], 1.0
	v_fmac_f64_e32 v[8:9], v[8:9], v[32:33]
	v_fma_f64 v[32:33], -v[6:7], v[8:9], 1.0
	v_fmac_f64_e32 v[8:9], v[8:9], v[32:33]
	v_mul_f64 v[32:33], v[10:11], v[8:9]
	v_fma_f64 v[6:7], -v[6:7], v[32:33], v[10:11]
	v_div_fmas_f64 v[6:7], v[6:7], v[8:9], v[32:33]
	v_div_fixup_f64 v[8:9], v[6:7], v[2:3], v[4:5]
	v_fmac_f64_e32 v[2:3], v[4:5], v[8:9]
	v_div_scale_f64 v[4:5], s[2:3], v[2:3], v[2:3], 1.0
	v_rcp_f64_e32 v[6:7], v[4:5]
	s_nop 0
	v_fma_f64 v[10:11], -v[4:5], v[6:7], 1.0
	v_fmac_f64_e32 v[6:7], v[6:7], v[10:11]
	v_fma_f64 v[10:11], -v[4:5], v[6:7], 1.0
	v_fmac_f64_e32 v[6:7], v[6:7], v[10:11]
	v_div_scale_f64 v[10:11], vcc, 1.0, v[2:3], 1.0
	v_mul_f64 v[32:33], v[10:11], v[6:7]
	v_fma_f64 v[4:5], -v[4:5], v[32:33], v[10:11]
	s_nop 1
	v_div_fmas_f64 v[4:5], v[4:5], v[6:7], v[32:33]
	v_div_fixup_f64 v[6:7], v[4:5], v[2:3], 1.0
	v_xor_b32_e32 v11, 0x80000000, v7
	v_mov_b32_e32 v10, v6
	v_mul_f64 v[8:9], v[8:9], -v[6:7]
.LBB71_6:
	s_or_b64 exec, exec, s[0:1]
	scratch_store_dwordx4 v1, v[6:9], off
	s_nop 1
	v_xor_b32_e32 v9, 0x80000000, v9
	s_branch .LBB71_8
.LBB71_7:
	v_mov_b64_e32 v[8:9], 0
	v_mov_b64_e32 v[10:11], -1.0
.LBB71_8:
	v_add_u32_e32 v1, 16, v12
	v_add_u32_e32 v32, 32, v12
	;; [unrolled: 1-line block ×7, first 2 shown]
	v_mov_b32_e32 v12, v8
	v_mov_b32_e32 v13, v9
	s_cmpk_eq_i32 s4, 0x79
	v_add_u32_e32 v9, 0x80, v30
	v_add_u32_e32 v8, 0, v30
	ds_write_b128 v30, v[10:13]
	s_cbranch_scc1 .LBB71_60
; %bb.9:
	scratch_load_dwordx4 v[2:5], v34, off
	v_cmp_eq_u32_e64 s[0:1], 7, v0
	s_waitcnt vmcnt(0)
	ds_write_b128 v9, v[2:5]
	s_waitcnt lgkmcnt(0)
	; wave barrier
	s_waitcnt lgkmcnt(0)
	s_and_saveexec_b64 s[2:3], s[0:1]
	s_cbranch_execz .LBB71_13
; %bb.10:
	ds_read_b128 v[2:5], v9
	s_andn2_b64 vcc, exec, s[6:7]
	s_cbranch_vccnz .LBB71_12
; %bb.11:
	scratch_load_dwordx4 v[10:13], v8, off
	s_waitcnt vmcnt(0) lgkmcnt(0)
	v_mul_f64 v[6:7], v[4:5], v[12:13]
	v_mul_f64 v[12:13], v[2:3], v[12:13]
	v_fmac_f64_e32 v[12:13], v[4:5], v[10:11]
	v_fma_f64 v[2:3], v[2:3], v[10:11], -v[6:7]
	v_mov_b64_e32 v[4:5], v[12:13]
.LBB71_12:
	v_mov_b32_e32 v6, 0
	ds_read_b128 v[10:13], v6 offset:96
	s_waitcnt lgkmcnt(0)
	v_mul_f64 v[6:7], v[4:5], v[12:13]
	v_mul_f64 v[40:41], v[2:3], v[12:13]
	v_fma_f64 v[38:39], v[2:3], v[10:11], -v[6:7]
	v_fmac_f64_e32 v[40:41], v[4:5], v[10:11]
	scratch_store_dwordx4 off, v[38:41], off offset:96
.LBB71_13:
	s_or_b64 exec, exec, s[2:3]
	scratch_load_dwordx4 v[2:5], v35, off
	v_cmp_lt_u32_e64 s[2:3], 5, v0
	s_waitcnt vmcnt(0)
	ds_write_b128 v9, v[2:5]
	s_waitcnt lgkmcnt(0)
	; wave barrier
	s_waitcnt lgkmcnt(0)
	s_and_saveexec_b64 s[4:5], s[2:3]
	s_cbranch_execz .LBB71_19
; %bb.14:
	ds_read_b128 v[2:5], v9
	s_andn2_b64 vcc, exec, s[6:7]
	s_cbranch_vccnz .LBB71_16
; %bb.15:
	scratch_load_dwordx4 v[10:13], v8, off
	s_waitcnt vmcnt(0) lgkmcnt(0)
	v_mul_f64 v[6:7], v[4:5], v[12:13]
	v_mul_f64 v[12:13], v[2:3], v[12:13]
	v_fmac_f64_e32 v[12:13], v[4:5], v[10:11]
	v_fma_f64 v[2:3], v[2:3], v[10:11], -v[6:7]
	v_mov_b64_e32 v[4:5], v[12:13]
.LBB71_16:
	s_and_saveexec_b64 s[8:9], s[0:1]
	s_cbranch_execz .LBB71_18
; %bb.17:
	scratch_load_dwordx4 v[10:13], off, off offset:96
	v_mov_b32_e32 v6, 0
	ds_read_b128 v[38:41], v6 offset:224
	s_waitcnt vmcnt(0) lgkmcnt(0)
	v_mul_f64 v[6:7], v[38:39], v[12:13]
	v_mul_f64 v[12:13], v[40:41], v[12:13]
	v_fmac_f64_e32 v[6:7], v[40:41], v[10:11]
	v_fma_f64 v[10:11], v[38:39], v[10:11], -v[12:13]
	v_add_f64 v[4:5], v[4:5], v[6:7]
	v_add_f64 v[2:3], v[2:3], v[10:11]
.LBB71_18:
	s_or_b64 exec, exec, s[8:9]
	v_mov_b32_e32 v6, 0
	ds_read_b128 v[10:13], v6 offset:80
	s_waitcnt lgkmcnt(0)
	v_mul_f64 v[6:7], v[4:5], v[12:13]
	v_mul_f64 v[40:41], v[2:3], v[12:13]
	v_fma_f64 v[38:39], v[2:3], v[10:11], -v[6:7]
	v_fmac_f64_e32 v[40:41], v[4:5], v[10:11]
	scratch_store_dwordx4 off, v[38:41], off offset:80
.LBB71_19:
	s_or_b64 exec, exec, s[4:5]
	scratch_load_dwordx4 v[2:5], v33, off
	v_cmp_lt_u32_e64 s[0:1], 4, v0
	s_waitcnt vmcnt(0)
	ds_write_b128 v9, v[2:5]
	s_waitcnt lgkmcnt(0)
	; wave barrier
	s_waitcnt lgkmcnt(0)
	s_and_saveexec_b64 s[4:5], s[0:1]
	s_cbranch_execz .LBB71_27
; %bb.20:
	ds_read_b128 v[2:5], v9
	s_andn2_b64 vcc, exec, s[6:7]
	s_cbranch_vccnz .LBB71_22
; %bb.21:
	scratch_load_dwordx4 v[10:13], v8, off
	s_waitcnt vmcnt(0) lgkmcnt(0)
	v_mul_f64 v[6:7], v[4:5], v[12:13]
	v_mul_f64 v[12:13], v[2:3], v[12:13]
	v_fmac_f64_e32 v[12:13], v[4:5], v[10:11]
	v_fma_f64 v[2:3], v[2:3], v[10:11], -v[6:7]
	v_mov_b64_e32 v[4:5], v[12:13]
.LBB71_22:
	s_and_saveexec_b64 s[8:9], s[2:3]
	s_cbranch_execz .LBB71_26
; %bb.23:
	v_mov_b32_e32 v7, 0
	v_add_u32_e32 v6, -5, v0
	v_add_u32_e32 v7, 0x58, v7
	s_movk_i32 s10, 0xd0
	s_mov_b64 s[2:3], 0
.LBB71_24:                              ; =>This Inner Loop Header: Depth=1
	v_add_u32_e32 v10, -8, v7
	scratch_load_dwordx4 v[10:13], v10, off
	v_mov_b32_e32 v37, s10
	ds_read_b128 v[38:41], v37
	v_add_u32_e32 v6, -1, v6
	s_add_i32 s10, s10, 16
	v_cmp_eq_u32_e32 vcc, 0, v6
	v_add_u32_e32 v7, 16, v7
	s_or_b64 s[2:3], vcc, s[2:3]
	s_waitcnt vmcnt(0) lgkmcnt(0)
	v_mul_f64 v[42:43], v[40:41], v[12:13]
	v_mul_f64 v[12:13], v[38:39], v[12:13]
	v_fma_f64 v[38:39], v[38:39], v[10:11], -v[42:43]
	v_fmac_f64_e32 v[12:13], v[40:41], v[10:11]
	v_add_f64 v[2:3], v[2:3], v[38:39]
	v_add_f64 v[4:5], v[4:5], v[12:13]
	s_andn2_b64 exec, exec, s[2:3]
	s_cbranch_execnz .LBB71_24
; %bb.25:
	s_or_b64 exec, exec, s[2:3]
.LBB71_26:
	s_or_b64 exec, exec, s[8:9]
	v_mov_b32_e32 v6, 0
	ds_read_b128 v[10:13], v6 offset:64
	s_waitcnt lgkmcnt(0)
	v_mul_f64 v[6:7], v[4:5], v[12:13]
	v_mul_f64 v[40:41], v[2:3], v[12:13]
	v_fma_f64 v[38:39], v[2:3], v[10:11], -v[6:7]
	v_fmac_f64_e32 v[40:41], v[4:5], v[10:11]
	scratch_store_dwordx4 off, v[38:41], off offset:64
.LBB71_27:
	s_or_b64 exec, exec, s[4:5]
	scratch_load_dwordx4 v[2:5], v31, off
	v_cmp_lt_u32_e64 s[2:3], 3, v0
	s_waitcnt vmcnt(0)
	ds_write_b128 v9, v[2:5]
	s_waitcnt lgkmcnt(0)
	; wave barrier
	s_waitcnt lgkmcnt(0)
	s_and_saveexec_b64 s[4:5], s[2:3]
	s_cbranch_execz .LBB71_35
; %bb.28:
	ds_read_b128 v[2:5], v9
	s_andn2_b64 vcc, exec, s[6:7]
	s_cbranch_vccnz .LBB71_30
; %bb.29:
	scratch_load_dwordx4 v[10:13], v8, off
	s_waitcnt vmcnt(0) lgkmcnt(0)
	v_mul_f64 v[6:7], v[4:5], v[12:13]
	v_mul_f64 v[12:13], v[2:3], v[12:13]
	v_fmac_f64_e32 v[12:13], v[4:5], v[10:11]
	v_fma_f64 v[2:3], v[2:3], v[10:11], -v[6:7]
	v_mov_b64_e32 v[4:5], v[12:13]
.LBB71_30:
	s_and_saveexec_b64 s[8:9], s[0:1]
	s_cbranch_execz .LBB71_34
; %bb.31:
	v_mov_b32_e32 v7, 0
	v_add_u32_e32 v6, -4, v0
	v_add_u32_e32 v7, 0x48, v7
	s_movk_i32 s10, 0xc0
	s_mov_b64 s[0:1], 0
.LBB71_32:                              ; =>This Inner Loop Header: Depth=1
	v_add_u32_e32 v10, -8, v7
	scratch_load_dwordx4 v[10:13], v10, off
	v_mov_b32_e32 v37, s10
	ds_read_b128 v[38:41], v37
	v_add_u32_e32 v6, -1, v6
	s_add_i32 s10, s10, 16
	v_cmp_eq_u32_e32 vcc, 0, v6
	v_add_u32_e32 v7, 16, v7
	s_or_b64 s[0:1], vcc, s[0:1]
	s_waitcnt vmcnt(0) lgkmcnt(0)
	v_mul_f64 v[42:43], v[40:41], v[12:13]
	v_mul_f64 v[12:13], v[38:39], v[12:13]
	v_fma_f64 v[38:39], v[38:39], v[10:11], -v[42:43]
	v_fmac_f64_e32 v[12:13], v[40:41], v[10:11]
	v_add_f64 v[2:3], v[2:3], v[38:39]
	v_add_f64 v[4:5], v[4:5], v[12:13]
	s_andn2_b64 exec, exec, s[0:1]
	s_cbranch_execnz .LBB71_32
; %bb.33:
	s_or_b64 exec, exec, s[0:1]
.LBB71_34:
	s_or_b64 exec, exec, s[8:9]
	v_mov_b32_e32 v6, 0
	ds_read_b128 v[10:13], v6 offset:48
	s_waitcnt lgkmcnt(0)
	v_mul_f64 v[6:7], v[4:5], v[12:13]
	v_mul_f64 v[40:41], v[2:3], v[12:13]
	v_fma_f64 v[38:39], v[2:3], v[10:11], -v[6:7]
	v_fmac_f64_e32 v[40:41], v[4:5], v[10:11]
	scratch_store_dwordx4 off, v[38:41], off offset:48
.LBB71_35:
	s_or_b64 exec, exec, s[4:5]
	scratch_load_dwordx4 v[2:5], v32, off
	v_cmp_lt_u32_e64 s[4:5], 2, v0
	s_waitcnt vmcnt(0)
	ds_write_b128 v9, v[2:5]
	s_waitcnt lgkmcnt(0)
	; wave barrier
	s_waitcnt lgkmcnt(0)
	s_and_saveexec_b64 s[0:1], s[4:5]
	s_cbranch_execz .LBB71_43
; %bb.36:
	ds_read_b128 v[2:5], v9
	s_andn2_b64 vcc, exec, s[6:7]
	s_cbranch_vccnz .LBB71_38
; %bb.37:
	scratch_load_dwordx4 v[10:13], v8, off
	s_waitcnt vmcnt(0) lgkmcnt(0)
	v_mul_f64 v[6:7], v[4:5], v[12:13]
	v_mul_f64 v[12:13], v[2:3], v[12:13]
	v_fmac_f64_e32 v[12:13], v[4:5], v[10:11]
	v_fma_f64 v[2:3], v[2:3], v[10:11], -v[6:7]
	v_mov_b64_e32 v[4:5], v[12:13]
.LBB71_38:
	s_and_saveexec_b64 s[8:9], s[2:3]
	s_cbranch_execz .LBB71_42
; %bb.39:
	v_mov_b32_e32 v7, 0
	v_add_u32_e32 v6, -3, v0
	v_add_u32_e32 v7, 56, v7
	s_movk_i32 s10, 0xb0
	s_mov_b64 s[2:3], 0
.LBB71_40:                              ; =>This Inner Loop Header: Depth=1
	v_add_u32_e32 v10, -8, v7
	scratch_load_dwordx4 v[10:13], v10, off
	v_mov_b32_e32 v37, s10
	ds_read_b128 v[38:41], v37
	v_add_u32_e32 v6, -1, v6
	s_add_i32 s10, s10, 16
	v_cmp_eq_u32_e32 vcc, 0, v6
	v_add_u32_e32 v7, 16, v7
	s_or_b64 s[2:3], vcc, s[2:3]
	s_waitcnt vmcnt(0) lgkmcnt(0)
	v_mul_f64 v[42:43], v[40:41], v[12:13]
	v_mul_f64 v[12:13], v[38:39], v[12:13]
	v_fma_f64 v[38:39], v[38:39], v[10:11], -v[42:43]
	v_fmac_f64_e32 v[12:13], v[40:41], v[10:11]
	v_add_f64 v[2:3], v[2:3], v[38:39]
	v_add_f64 v[4:5], v[4:5], v[12:13]
	s_andn2_b64 exec, exec, s[2:3]
	s_cbranch_execnz .LBB71_40
; %bb.41:
	s_or_b64 exec, exec, s[2:3]
.LBB71_42:
	s_or_b64 exec, exec, s[8:9]
	v_mov_b32_e32 v6, 0
	ds_read_b128 v[10:13], v6 offset:32
	s_waitcnt lgkmcnt(0)
	v_mul_f64 v[6:7], v[4:5], v[12:13]
	v_mul_f64 v[40:41], v[2:3], v[12:13]
	v_fma_f64 v[38:39], v[2:3], v[10:11], -v[6:7]
	v_fmac_f64_e32 v[40:41], v[4:5], v[10:11]
	scratch_store_dwordx4 off, v[38:41], off offset:32
.LBB71_43:
	s_or_b64 exec, exec, s[0:1]
	scratch_load_dwordx4 v[2:5], v1, off
	v_cmp_lt_u32_e64 s[0:1], 1, v0
	s_waitcnt vmcnt(0)
	ds_write_b128 v9, v[2:5]
	s_waitcnt lgkmcnt(0)
	; wave barrier
	s_waitcnt lgkmcnt(0)
	s_and_saveexec_b64 s[2:3], s[0:1]
	s_cbranch_execz .LBB71_51
; %bb.44:
	ds_read_b128 v[2:5], v9
	s_andn2_b64 vcc, exec, s[6:7]
	s_cbranch_vccnz .LBB71_46
; %bb.45:
	scratch_load_dwordx4 v[10:13], v8, off
	s_waitcnt vmcnt(0) lgkmcnt(0)
	v_mul_f64 v[6:7], v[4:5], v[12:13]
	v_mul_f64 v[12:13], v[2:3], v[12:13]
	v_fmac_f64_e32 v[12:13], v[4:5], v[10:11]
	v_fma_f64 v[2:3], v[2:3], v[10:11], -v[6:7]
	v_mov_b64_e32 v[4:5], v[12:13]
.LBB71_46:
	s_and_saveexec_b64 s[8:9], s[4:5]
	s_cbranch_execz .LBB71_50
; %bb.47:
	v_mov_b32_e32 v7, 0
	v_add_u32_e32 v6, -2, v0
	v_add_u32_e32 v7, 40, v7
	s_movk_i32 s10, 0xa0
	s_mov_b64 s[4:5], 0
.LBB71_48:                              ; =>This Inner Loop Header: Depth=1
	v_add_u32_e32 v10, -8, v7
	scratch_load_dwordx4 v[10:13], v10, off
	v_mov_b32_e32 v37, s10
	ds_read_b128 v[38:41], v37
	v_add_u32_e32 v6, -1, v6
	s_add_i32 s10, s10, 16
	v_cmp_eq_u32_e32 vcc, 0, v6
	v_add_u32_e32 v7, 16, v7
	s_or_b64 s[4:5], vcc, s[4:5]
	s_waitcnt vmcnt(0) lgkmcnt(0)
	v_mul_f64 v[42:43], v[40:41], v[12:13]
	v_mul_f64 v[12:13], v[38:39], v[12:13]
	v_fma_f64 v[38:39], v[38:39], v[10:11], -v[42:43]
	v_fmac_f64_e32 v[12:13], v[40:41], v[10:11]
	v_add_f64 v[2:3], v[2:3], v[38:39]
	v_add_f64 v[4:5], v[4:5], v[12:13]
	s_andn2_b64 exec, exec, s[4:5]
	s_cbranch_execnz .LBB71_48
; %bb.49:
	s_or_b64 exec, exec, s[4:5]
.LBB71_50:
	s_or_b64 exec, exec, s[8:9]
	v_mov_b32_e32 v6, 0
	ds_read_b128 v[10:13], v6 offset:16
	s_waitcnt lgkmcnt(0)
	v_mul_f64 v[6:7], v[4:5], v[12:13]
	v_mul_f64 v[40:41], v[2:3], v[12:13]
	v_fma_f64 v[38:39], v[2:3], v[10:11], -v[6:7]
	v_fmac_f64_e32 v[40:41], v[4:5], v[10:11]
	scratch_store_dwordx4 off, v[38:41], off offset:16
.LBB71_51:
	s_or_b64 exec, exec, s[2:3]
	scratch_load_dwordx4 v[2:5], off, off
	v_cmp_ne_u32_e32 vcc, 0, v0
	s_mov_b64 s[2:3], 0
	s_mov_b64 s[4:5], 0
                                        ; implicit-def: $vgpr6_vgpr7
                                        ; implicit-def: $vgpr10
	s_waitcnt vmcnt(0)
	ds_write_b128 v9, v[2:5]
	s_waitcnt lgkmcnt(0)
	; wave barrier
	s_waitcnt lgkmcnt(0)
	s_and_saveexec_b64 s[8:9], vcc
	s_cbranch_execz .LBB71_59
; %bb.52:
	ds_read_b128 v[2:5], v9
	s_andn2_b64 vcc, exec, s[6:7]
	s_cbranch_vccnz .LBB71_54
; %bb.53:
	scratch_load_dwordx4 v[10:13], v8, off
	s_waitcnt vmcnt(0) lgkmcnt(0)
	v_mul_f64 v[6:7], v[4:5], v[12:13]
	v_mul_f64 v[12:13], v[2:3], v[12:13]
	v_fmac_f64_e32 v[12:13], v[4:5], v[10:11]
	v_fma_f64 v[2:3], v[2:3], v[10:11], -v[6:7]
	v_mov_b64_e32 v[4:5], v[12:13]
.LBB71_54:
	s_and_saveexec_b64 s[4:5], s[0:1]
	s_cbranch_execz .LBB71_58
; %bb.55:
	v_mov_b32_e32 v7, 0
	v_add_u32_e32 v6, -1, v0
	v_add_u32_e32 v7, 24, v7
	s_movk_i32 s10, 0x90
	s_mov_b64 s[0:1], 0
.LBB71_56:                              ; =>This Inner Loop Header: Depth=1
	v_add_u32_e32 v10, -8, v7
	scratch_load_dwordx4 v[10:13], v10, off
	v_mov_b32_e32 v37, s10
	ds_read_b128 v[38:41], v37
	v_add_u32_e32 v6, -1, v6
	s_add_i32 s10, s10, 16
	v_cmp_eq_u32_e32 vcc, 0, v6
	v_add_u32_e32 v7, 16, v7
	s_or_b64 s[0:1], vcc, s[0:1]
	s_waitcnt vmcnt(0) lgkmcnt(0)
	v_mul_f64 v[42:43], v[40:41], v[12:13]
	v_mul_f64 v[12:13], v[38:39], v[12:13]
	v_fma_f64 v[38:39], v[38:39], v[10:11], -v[42:43]
	v_fmac_f64_e32 v[12:13], v[40:41], v[10:11]
	v_add_f64 v[2:3], v[2:3], v[38:39]
	v_add_f64 v[4:5], v[4:5], v[12:13]
	s_andn2_b64 exec, exec, s[0:1]
	s_cbranch_execnz .LBB71_56
; %bb.57:
	s_or_b64 exec, exec, s[0:1]
.LBB71_58:
	s_or_b64 exec, exec, s[4:5]
	v_mov_b32_e32 v6, 0
	ds_read_b128 v[38:41], v6
	v_mov_b32_e32 v6, 0
	v_or_b32_e32 v10, 8, v6
	s_mov_b64 s[4:5], exec
	s_waitcnt lgkmcnt(0)
	v_mul_f64 v[12:13], v[4:5], v[40:41]
	v_mul_f64 v[6:7], v[2:3], v[40:41]
	v_fma_f64 v[2:3], v[2:3], v[38:39], -v[12:13]
	v_fmac_f64_e32 v[6:7], v[4:5], v[38:39]
	scratch_store_dwordx2 off, v[2:3], off
.LBB71_59:
	s_or_b64 exec, exec, s[8:9]
	s_and_b64 vcc, exec, s[2:3]
	s_cbranch_vccnz .LBB71_61
	s_branch .LBB71_112
.LBB71_60:
	s_mov_b64 s[4:5], 0
                                        ; implicit-def: $vgpr6_vgpr7
                                        ; implicit-def: $vgpr10
	s_cbranch_execz .LBB71_112
.LBB71_61:
	scratch_load_dwordx4 v[2:5], v1, off
	v_cndmask_b32_e64 v6, 0, 1, s[6:7]
	v_cmp_eq_u32_e64 s[2:3], 0, v0
	v_cmp_ne_u32_e64 s[0:1], 1, v6
	s_waitcnt vmcnt(0)
	ds_write_b128 v9, v[2:5]
	s_waitcnt lgkmcnt(0)
	; wave barrier
	s_waitcnt lgkmcnt(0)
	s_and_saveexec_b64 s[6:7], s[2:3]
	s_cbranch_execz .LBB71_65
; %bb.62:
	ds_read_b128 v[2:5], v9
	s_and_b64 vcc, exec, s[0:1]
	s_cbranch_vccnz .LBB71_64
; %bb.63:
	scratch_load_dwordx4 v[10:13], v8, off
	s_waitcnt vmcnt(0) lgkmcnt(0)
	v_mul_f64 v[6:7], v[4:5], v[12:13]
	v_mul_f64 v[12:13], v[2:3], v[12:13]
	v_fmac_f64_e32 v[12:13], v[4:5], v[10:11]
	v_fma_f64 v[2:3], v[2:3], v[10:11], -v[6:7]
	v_mov_b64_e32 v[4:5], v[12:13]
.LBB71_64:
	v_mov_b32_e32 v6, 0
	ds_read_b128 v[10:13], v6 offset:16
	s_waitcnt lgkmcnt(0)
	v_mul_f64 v[6:7], v[4:5], v[12:13]
	v_mul_f64 v[40:41], v[2:3], v[12:13]
	v_fma_f64 v[38:39], v[2:3], v[10:11], -v[6:7]
	v_fmac_f64_e32 v[40:41], v[4:5], v[10:11]
	scratch_store_dwordx4 off, v[38:41], off offset:16
.LBB71_65:
	s_or_b64 exec, exec, s[6:7]
	scratch_load_dwordx4 v[2:5], v32, off
	v_cmp_gt_u32_e32 vcc, 2, v0
	s_waitcnt vmcnt(0)
	ds_write_b128 v9, v[2:5]
	s_waitcnt lgkmcnt(0)
	; wave barrier
	s_waitcnt lgkmcnt(0)
	s_and_saveexec_b64 s[6:7], vcc
	s_cbranch_execz .LBB71_71
; %bb.66:
	ds_read_b128 v[2:5], v9
	s_and_b64 vcc, exec, s[0:1]
	s_cbranch_vccnz .LBB71_68
; %bb.67:
	scratch_load_dwordx4 v[10:13], v8, off
	s_waitcnt vmcnt(0) lgkmcnt(0)
	v_mul_f64 v[6:7], v[4:5], v[12:13]
	v_mul_f64 v[12:13], v[2:3], v[12:13]
	v_fmac_f64_e32 v[12:13], v[4:5], v[10:11]
	v_fma_f64 v[2:3], v[2:3], v[10:11], -v[6:7]
	v_mov_b64_e32 v[4:5], v[12:13]
.LBB71_68:
	s_and_saveexec_b64 s[8:9], s[2:3]
	s_cbranch_execz .LBB71_70
; %bb.69:
	scratch_load_dwordx4 v[10:13], v8, off offset:16
	ds_read_b128 v[38:41], v9 offset:16
	s_waitcnt vmcnt(0) lgkmcnt(0)
	v_mul_f64 v[6:7], v[40:41], v[12:13]
	v_mul_f64 v[12:13], v[38:39], v[12:13]
	v_fma_f64 v[6:7], v[38:39], v[10:11], -v[6:7]
	v_fmac_f64_e32 v[12:13], v[40:41], v[10:11]
	v_add_f64 v[2:3], v[2:3], v[6:7]
	v_add_f64 v[4:5], v[4:5], v[12:13]
.LBB71_70:
	s_or_b64 exec, exec, s[8:9]
	v_mov_b32_e32 v6, 0
	ds_read_b128 v[10:13], v6 offset:32
	s_waitcnt lgkmcnt(0)
	v_mul_f64 v[6:7], v[4:5], v[12:13]
	v_mul_f64 v[40:41], v[2:3], v[12:13]
	v_fma_f64 v[38:39], v[2:3], v[10:11], -v[6:7]
	v_fmac_f64_e32 v[40:41], v[4:5], v[10:11]
	scratch_store_dwordx4 off, v[38:41], off offset:32
.LBB71_71:
	s_or_b64 exec, exec, s[6:7]
	scratch_load_dwordx4 v[2:5], v31, off
	v_cmp_gt_u32_e32 vcc, 3, v0
	s_waitcnt vmcnt(0)
	ds_write_b128 v9, v[2:5]
	s_waitcnt lgkmcnt(0)
	; wave barrier
	s_waitcnt lgkmcnt(0)
	s_and_saveexec_b64 s[6:7], vcc
	s_cbranch_execz .LBB71_79
; %bb.72:
	ds_read_b128 v[2:5], v9
	s_and_b64 vcc, exec, s[0:1]
	s_cbranch_vccnz .LBB71_74
; %bb.73:
	scratch_load_dwordx4 v[10:13], v8, off
	s_waitcnt vmcnt(0) lgkmcnt(0)
	v_mul_f64 v[6:7], v[4:5], v[12:13]
	v_mul_f64 v[12:13], v[2:3], v[12:13]
	v_fmac_f64_e32 v[12:13], v[4:5], v[10:11]
	v_fma_f64 v[2:3], v[2:3], v[10:11], -v[6:7]
	v_mov_b64_e32 v[4:5], v[12:13]
.LBB71_74:
	v_cmp_ne_u32_e32 vcc, 2, v0
	s_and_saveexec_b64 s[8:9], vcc
	s_cbranch_execz .LBB71_78
; %bb.75:
	scratch_load_dwordx4 v[10:13], v8, off offset:16
	ds_read_b128 v[38:41], v9 offset:16
	s_waitcnt vmcnt(0) lgkmcnt(0)
	v_mul_f64 v[6:7], v[40:41], v[12:13]
	v_mul_f64 v[12:13], v[38:39], v[12:13]
	v_fma_f64 v[6:7], v[38:39], v[10:11], -v[6:7]
	v_fmac_f64_e32 v[12:13], v[40:41], v[10:11]
	v_add_f64 v[2:3], v[2:3], v[6:7]
	v_add_f64 v[4:5], v[4:5], v[12:13]
	s_and_saveexec_b64 s[10:11], s[2:3]
	s_cbranch_execz .LBB71_77
; %bb.76:
	scratch_load_dwordx4 v[10:13], off, off offset:32
	v_mov_b32_e32 v6, 0
	ds_read_b128 v[38:41], v6 offset:160
	s_waitcnt vmcnt(0) lgkmcnt(0)
	v_mul_f64 v[6:7], v[38:39], v[12:13]
	v_mul_f64 v[12:13], v[40:41], v[12:13]
	v_fmac_f64_e32 v[6:7], v[40:41], v[10:11]
	v_fma_f64 v[10:11], v[38:39], v[10:11], -v[12:13]
	v_add_f64 v[4:5], v[4:5], v[6:7]
	v_add_f64 v[2:3], v[2:3], v[10:11]
.LBB71_77:
	s_or_b64 exec, exec, s[10:11]
.LBB71_78:
	s_or_b64 exec, exec, s[8:9]
	v_mov_b32_e32 v6, 0
	ds_read_b128 v[10:13], v6 offset:48
	s_waitcnt lgkmcnt(0)
	v_mul_f64 v[6:7], v[4:5], v[12:13]
	v_mul_f64 v[40:41], v[2:3], v[12:13]
	v_fma_f64 v[38:39], v[2:3], v[10:11], -v[6:7]
	v_fmac_f64_e32 v[40:41], v[4:5], v[10:11]
	scratch_store_dwordx4 off, v[38:41], off offset:48
.LBB71_79:
	s_or_b64 exec, exec, s[6:7]
	scratch_load_dwordx4 v[2:5], v33, off
	v_cmp_gt_u32_e32 vcc, 4, v0
	s_waitcnt vmcnt(0)
	ds_write_b128 v9, v[2:5]
	s_waitcnt lgkmcnt(0)
	; wave barrier
	s_waitcnt lgkmcnt(0)
	s_and_saveexec_b64 s[2:3], vcc
	s_cbranch_execz .LBB71_87
; %bb.80:
	ds_read_b128 v[2:5], v9
	s_and_b64 vcc, exec, s[0:1]
	s_cbranch_vccnz .LBB71_82
; %bb.81:
	scratch_load_dwordx4 v[10:13], v8, off
	s_waitcnt vmcnt(0) lgkmcnt(0)
	v_mul_f64 v[6:7], v[4:5], v[12:13]
	v_mul_f64 v[12:13], v[2:3], v[12:13]
	v_fmac_f64_e32 v[12:13], v[4:5], v[10:11]
	v_fma_f64 v[2:3], v[2:3], v[10:11], -v[6:7]
	v_mov_b64_e32 v[4:5], v[12:13]
.LBB71_82:
	v_cmp_ne_u32_e32 vcc, 3, v0
	s_and_saveexec_b64 s[6:7], vcc
	s_cbranch_execz .LBB71_86
; %bb.83:
	v_mov_b32_e32 v7, 0
	v_add_u32_e32 v6, 0x90, v30
	v_add3_u32 v7, v30, v7, 24
	s_mov_b64 s[8:9], 0
	v_mov_b32_e32 v10, v0
.LBB71_84:                              ; =>This Inner Loop Header: Depth=1
	v_add_u32_e32 v11, -8, v7
	scratch_load_dwordx4 v[38:41], v11, off
	ds_read_b128 v[42:45], v6
	v_add_u32_e32 v10, 1, v10
	v_cmp_lt_u32_e32 vcc, 2, v10
	v_add_u32_e32 v6, 16, v6
	v_add_u32_e32 v7, 16, v7
	s_or_b64 s[8:9], vcc, s[8:9]
	s_waitcnt vmcnt(0) lgkmcnt(0)
	v_mul_f64 v[12:13], v[44:45], v[40:41]
	v_mul_f64 v[40:41], v[42:43], v[40:41]
	v_fma_f64 v[12:13], v[42:43], v[38:39], -v[12:13]
	v_fmac_f64_e32 v[40:41], v[44:45], v[38:39]
	v_add_f64 v[2:3], v[2:3], v[12:13]
	v_add_f64 v[4:5], v[4:5], v[40:41]
	s_andn2_b64 exec, exec, s[8:9]
	s_cbranch_execnz .LBB71_84
; %bb.85:
	s_or_b64 exec, exec, s[8:9]
.LBB71_86:
	s_or_b64 exec, exec, s[6:7]
	v_mov_b32_e32 v6, 0
	ds_read_b128 v[10:13], v6 offset:64
	s_waitcnt lgkmcnt(0)
	v_mul_f64 v[6:7], v[4:5], v[12:13]
	v_mul_f64 v[40:41], v[2:3], v[12:13]
	v_fma_f64 v[38:39], v[2:3], v[10:11], -v[6:7]
	v_fmac_f64_e32 v[40:41], v[4:5], v[10:11]
	scratch_store_dwordx4 off, v[38:41], off offset:64
.LBB71_87:
	s_or_b64 exec, exec, s[2:3]
	scratch_load_dwordx4 v[2:5], v35, off
	v_cmp_gt_u32_e32 vcc, 5, v0
	s_waitcnt vmcnt(0)
	ds_write_b128 v9, v[2:5]
	s_waitcnt lgkmcnt(0)
	; wave barrier
	s_waitcnt lgkmcnt(0)
	s_and_saveexec_b64 s[2:3], vcc
	s_cbranch_execz .LBB71_95
; %bb.88:
	ds_read_b128 v[2:5], v9
	s_and_b64 vcc, exec, s[0:1]
	s_cbranch_vccnz .LBB71_90
; %bb.89:
	scratch_load_dwordx4 v[10:13], v8, off
	s_waitcnt vmcnt(0) lgkmcnt(0)
	v_mul_f64 v[6:7], v[4:5], v[12:13]
	v_mul_f64 v[12:13], v[2:3], v[12:13]
	v_fmac_f64_e32 v[12:13], v[4:5], v[10:11]
	v_fma_f64 v[2:3], v[2:3], v[10:11], -v[6:7]
	v_mov_b64_e32 v[4:5], v[12:13]
.LBB71_90:
	v_cmp_ne_u32_e32 vcc, 4, v0
	s_and_saveexec_b64 s[6:7], vcc
	s_cbranch_execz .LBB71_94
; %bb.91:
	v_mov_b32_e32 v7, 0
	v_add_u32_e32 v6, 0x90, v30
	v_add3_u32 v7, v30, v7, 24
	s_mov_b64 s[8:9], 0
	v_mov_b32_e32 v10, v0
.LBB71_92:                              ; =>This Inner Loop Header: Depth=1
	v_add_u32_e32 v11, -8, v7
	scratch_load_dwordx4 v[38:41], v11, off
	ds_read_b128 v[42:45], v6
	v_add_u32_e32 v10, 1, v10
	v_cmp_lt_u32_e32 vcc, 3, v10
	v_add_u32_e32 v6, 16, v6
	v_add_u32_e32 v7, 16, v7
	s_or_b64 s[8:9], vcc, s[8:9]
	s_waitcnt vmcnt(0) lgkmcnt(0)
	v_mul_f64 v[12:13], v[44:45], v[40:41]
	v_mul_f64 v[40:41], v[42:43], v[40:41]
	v_fma_f64 v[12:13], v[42:43], v[38:39], -v[12:13]
	v_fmac_f64_e32 v[40:41], v[44:45], v[38:39]
	v_add_f64 v[2:3], v[2:3], v[12:13]
	v_add_f64 v[4:5], v[4:5], v[40:41]
	s_andn2_b64 exec, exec, s[8:9]
	s_cbranch_execnz .LBB71_92
; %bb.93:
	s_or_b64 exec, exec, s[8:9]
.LBB71_94:
	s_or_b64 exec, exec, s[6:7]
	v_mov_b32_e32 v6, 0
	ds_read_b128 v[10:13], v6 offset:80
	s_waitcnt lgkmcnt(0)
	v_mul_f64 v[6:7], v[4:5], v[12:13]
	v_mul_f64 v[40:41], v[2:3], v[12:13]
	v_fma_f64 v[38:39], v[2:3], v[10:11], -v[6:7]
	v_fmac_f64_e32 v[40:41], v[4:5], v[10:11]
	scratch_store_dwordx4 off, v[38:41], off offset:80
.LBB71_95:
	s_or_b64 exec, exec, s[2:3]
	scratch_load_dwordx4 v[2:5], v34, off
	v_cmp_gt_u32_e64 s[2:3], 6, v0
	s_waitcnt vmcnt(0)
	ds_write_b128 v9, v[2:5]
	s_waitcnt lgkmcnt(0)
	; wave barrier
	s_waitcnt lgkmcnt(0)
	s_and_saveexec_b64 s[6:7], s[2:3]
	s_cbranch_execz .LBB71_103
; %bb.96:
	ds_read_b128 v[2:5], v9
	s_and_b64 vcc, exec, s[0:1]
	s_cbranch_vccnz .LBB71_98
; %bb.97:
	scratch_load_dwordx4 v[10:13], v8, off
	s_waitcnt vmcnt(0) lgkmcnt(0)
	v_mul_f64 v[6:7], v[4:5], v[12:13]
	v_mul_f64 v[12:13], v[2:3], v[12:13]
	v_fmac_f64_e32 v[12:13], v[4:5], v[10:11]
	v_fma_f64 v[2:3], v[2:3], v[10:11], -v[6:7]
	v_mov_b64_e32 v[4:5], v[12:13]
.LBB71_98:
	v_cmp_ne_u32_e32 vcc, 5, v0
	s_and_saveexec_b64 s[8:9], vcc
	s_cbranch_execz .LBB71_102
; %bb.99:
	v_mov_b32_e32 v7, 0
	v_add_u32_e32 v6, 0x90, v30
	v_add3_u32 v7, v30, v7, 24
	s_mov_b64 s[10:11], 0
	v_mov_b32_e32 v10, v0
.LBB71_100:                             ; =>This Inner Loop Header: Depth=1
	v_add_u32_e32 v11, -8, v7
	scratch_load_dwordx4 v[38:41], v11, off
	ds_read_b128 v[42:45], v6
	v_add_u32_e32 v10, 1, v10
	v_cmp_lt_u32_e32 vcc, 4, v10
	v_add_u32_e32 v6, 16, v6
	v_add_u32_e32 v7, 16, v7
	s_or_b64 s[10:11], vcc, s[10:11]
	s_waitcnt vmcnt(0) lgkmcnt(0)
	v_mul_f64 v[12:13], v[44:45], v[40:41]
	v_mul_f64 v[40:41], v[42:43], v[40:41]
	v_fma_f64 v[12:13], v[42:43], v[38:39], -v[12:13]
	v_fmac_f64_e32 v[40:41], v[44:45], v[38:39]
	v_add_f64 v[2:3], v[2:3], v[12:13]
	v_add_f64 v[4:5], v[4:5], v[40:41]
	s_andn2_b64 exec, exec, s[10:11]
	s_cbranch_execnz .LBB71_100
; %bb.101:
	s_or_b64 exec, exec, s[10:11]
.LBB71_102:
	s_or_b64 exec, exec, s[8:9]
	v_mov_b32_e32 v6, 0
	ds_read_b128 v[10:13], v6 offset:96
	s_waitcnt lgkmcnt(0)
	v_mul_f64 v[6:7], v[4:5], v[12:13]
	v_mul_f64 v[40:41], v[2:3], v[12:13]
	v_fma_f64 v[38:39], v[2:3], v[10:11], -v[6:7]
	v_fmac_f64_e32 v[40:41], v[4:5], v[10:11]
	scratch_store_dwordx4 off, v[38:41], off offset:96
.LBB71_103:
	s_or_b64 exec, exec, s[6:7]
	scratch_load_dwordx4 v[2:5], v36, off
	v_cmp_ne_u32_e32 vcc, 7, v0
                                        ; implicit-def: $vgpr6_vgpr7
                                        ; implicit-def: $vgpr10
	s_waitcnt vmcnt(0)
	ds_write_b128 v9, v[2:5]
	s_waitcnt lgkmcnt(0)
	; wave barrier
	s_waitcnt lgkmcnt(0)
	s_and_saveexec_b64 s[6:7], vcc
	s_cbranch_execz .LBB71_111
; %bb.104:
	ds_read_b128 v[2:5], v9
	s_and_b64 vcc, exec, s[0:1]
	s_cbranch_vccnz .LBB71_106
; %bb.105:
	scratch_load_dwordx4 v[6:9], v8, off
	s_waitcnt vmcnt(0) lgkmcnt(0)
	v_mul_f64 v[10:11], v[4:5], v[8:9]
	v_mul_f64 v[8:9], v[2:3], v[8:9]
	v_fmac_f64_e32 v[8:9], v[4:5], v[6:7]
	v_fma_f64 v[2:3], v[2:3], v[6:7], -v[10:11]
	v_mov_b64_e32 v[4:5], v[8:9]
.LBB71_106:
	s_and_saveexec_b64 s[0:1], s[2:3]
	s_cbranch_execz .LBB71_110
; %bb.107:
	v_mov_b32_e32 v7, 0
	v_add_u32_e32 v6, 0x90, v30
	v_add3_u32 v7, v30, v7, 24
	s_mov_b64 s[2:3], 0
.LBB71_108:                             ; =>This Inner Loop Header: Depth=1
	v_add_u32_e32 v8, -8, v7
	scratch_load_dwordx4 v[8:11], v8, off
	ds_read_b128 v[38:41], v6
	v_add_u32_e32 v0, 1, v0
	v_cmp_lt_u32_e32 vcc, 5, v0
	v_add_u32_e32 v6, 16, v6
	v_add_u32_e32 v7, 16, v7
	s_or_b64 s[2:3], vcc, s[2:3]
	s_waitcnt vmcnt(0) lgkmcnt(0)
	v_mul_f64 v[12:13], v[40:41], v[10:11]
	v_mul_f64 v[10:11], v[38:39], v[10:11]
	v_fma_f64 v[12:13], v[38:39], v[8:9], -v[12:13]
	v_fmac_f64_e32 v[10:11], v[40:41], v[8:9]
	v_add_f64 v[2:3], v[2:3], v[12:13]
	v_add_f64 v[4:5], v[4:5], v[10:11]
	s_andn2_b64 exec, exec, s[2:3]
	s_cbranch_execnz .LBB71_108
; %bb.109:
	s_or_b64 exec, exec, s[2:3]
.LBB71_110:
	s_or_b64 exec, exec, s[0:1]
	v_mov_b32_e32 v0, 0
	ds_read_b128 v[38:41], v0 offset:112
	v_mov_b32_e32 v0, 0
	v_add_u32_e32 v10, 0x78, v0
	s_or_b64 s[4:5], s[4:5], exec
	s_waitcnt lgkmcnt(0)
	v_mul_f64 v[8:9], v[4:5], v[40:41]
	v_mul_f64 v[6:7], v[2:3], v[40:41]
	v_fma_f64 v[2:3], v[2:3], v[38:39], -v[8:9]
	v_fmac_f64_e32 v[6:7], v[4:5], v[38:39]
	scratch_store_dwordx2 off, v[2:3], off offset:112
.LBB71_111:
	s_or_b64 exec, exec, s[6:7]
.LBB71_112:
	s_and_saveexec_b64 s[0:1], s[4:5]
	s_cbranch_execz .LBB71_114
; %bb.113:
	scratch_store_dwordx2 v10, v[6:7], off
.LBB71_114:
	s_or_b64 exec, exec, s[0:1]
	scratch_load_dwordx4 v[2:5], off, off
	scratch_load_dwordx4 v[6:9], v1, off
	scratch_load_dwordx4 v[10:13], v32, off
	;; [unrolled: 1-line block ×7, first 2 shown]
	s_waitcnt vmcnt(7)
	global_store_dwordx4 v[14:15], v[2:5], off
	s_waitcnt vmcnt(7)
	global_store_dwordx4 v[16:17], v[6:9], off
	;; [unrolled: 2-line block ×8, first 2 shown]
.LBB71_115:
	s_endpgm
	.section	.rodata,"a",@progbits
	.p2align	6, 0x0
	.amdhsa_kernel _ZN9rocsolver6v33100L18trti2_kernel_smallILi8E19rocblas_complex_numIdEPKPS3_EEv13rocblas_fill_17rocblas_diagonal_T1_iil
		.amdhsa_group_segment_fixed_size 256
		.amdhsa_private_segment_fixed_size 144
		.amdhsa_kernarg_size 32
		.amdhsa_user_sgpr_count 2
		.amdhsa_user_sgpr_dispatch_ptr 0
		.amdhsa_user_sgpr_queue_ptr 0
		.amdhsa_user_sgpr_kernarg_segment_ptr 1
		.amdhsa_user_sgpr_dispatch_id 0
		.amdhsa_user_sgpr_kernarg_preload_length 0
		.amdhsa_user_sgpr_kernarg_preload_offset 0
		.amdhsa_user_sgpr_private_segment_size 0
		.amdhsa_uses_dynamic_stack 0
		.amdhsa_enable_private_segment 1
		.amdhsa_system_sgpr_workgroup_id_x 1
		.amdhsa_system_sgpr_workgroup_id_y 0
		.amdhsa_system_sgpr_workgroup_id_z 0
		.amdhsa_system_sgpr_workgroup_info 0
		.amdhsa_system_vgpr_workitem_id 0
		.amdhsa_next_free_vgpr 58
		.amdhsa_next_free_sgpr 12
		.amdhsa_accum_offset 60
		.amdhsa_reserve_vcc 1
		.amdhsa_float_round_mode_32 0
		.amdhsa_float_round_mode_16_64 0
		.amdhsa_float_denorm_mode_32 3
		.amdhsa_float_denorm_mode_16_64 3
		.amdhsa_dx10_clamp 1
		.amdhsa_ieee_mode 1
		.amdhsa_fp16_overflow 0
		.amdhsa_tg_split 0
		.amdhsa_exception_fp_ieee_invalid_op 0
		.amdhsa_exception_fp_denorm_src 0
		.amdhsa_exception_fp_ieee_div_zero 0
		.amdhsa_exception_fp_ieee_overflow 0
		.amdhsa_exception_fp_ieee_underflow 0
		.amdhsa_exception_fp_ieee_inexact 0
		.amdhsa_exception_int_div_zero 0
	.end_amdhsa_kernel
	.section	.text._ZN9rocsolver6v33100L18trti2_kernel_smallILi8E19rocblas_complex_numIdEPKPS3_EEv13rocblas_fill_17rocblas_diagonal_T1_iil,"axG",@progbits,_ZN9rocsolver6v33100L18trti2_kernel_smallILi8E19rocblas_complex_numIdEPKPS3_EEv13rocblas_fill_17rocblas_diagonal_T1_iil,comdat
.Lfunc_end71:
	.size	_ZN9rocsolver6v33100L18trti2_kernel_smallILi8E19rocblas_complex_numIdEPKPS3_EEv13rocblas_fill_17rocblas_diagonal_T1_iil, .Lfunc_end71-_ZN9rocsolver6v33100L18trti2_kernel_smallILi8E19rocblas_complex_numIdEPKPS3_EEv13rocblas_fill_17rocblas_diagonal_T1_iil
                                        ; -- End function
	.section	.AMDGPU.csdata,"",@progbits
; Kernel info:
; codeLenInByte = 5012
; NumSgprs: 18
; NumVgprs: 58
; NumAgprs: 0
; TotalNumVgprs: 58
; ScratchSize: 144
; MemoryBound: 0
; FloatMode: 240
; IeeeMode: 1
; LDSByteSize: 256 bytes/workgroup (compile time only)
; SGPRBlocks: 2
; VGPRBlocks: 7
; NumSGPRsForWavesPerEU: 18
; NumVGPRsForWavesPerEU: 58
; AccumOffset: 60
; Occupancy: 8
; WaveLimiterHint : 1
; COMPUTE_PGM_RSRC2:SCRATCH_EN: 1
; COMPUTE_PGM_RSRC2:USER_SGPR: 2
; COMPUTE_PGM_RSRC2:TRAP_HANDLER: 0
; COMPUTE_PGM_RSRC2:TGID_X_EN: 1
; COMPUTE_PGM_RSRC2:TGID_Y_EN: 0
; COMPUTE_PGM_RSRC2:TGID_Z_EN: 0
; COMPUTE_PGM_RSRC2:TIDIG_COMP_CNT: 0
; COMPUTE_PGM_RSRC3_GFX90A:ACCUM_OFFSET: 14
; COMPUTE_PGM_RSRC3_GFX90A:TG_SPLIT: 0
	.section	.text._ZN9rocsolver6v33100L18trti2_kernel_smallILi9E19rocblas_complex_numIdEPKPS3_EEv13rocblas_fill_17rocblas_diagonal_T1_iil,"axG",@progbits,_ZN9rocsolver6v33100L18trti2_kernel_smallILi9E19rocblas_complex_numIdEPKPS3_EEv13rocblas_fill_17rocblas_diagonal_T1_iil,comdat
	.globl	_ZN9rocsolver6v33100L18trti2_kernel_smallILi9E19rocblas_complex_numIdEPKPS3_EEv13rocblas_fill_17rocblas_diagonal_T1_iil ; -- Begin function _ZN9rocsolver6v33100L18trti2_kernel_smallILi9E19rocblas_complex_numIdEPKPS3_EEv13rocblas_fill_17rocblas_diagonal_T1_iil
	.p2align	8
	.type	_ZN9rocsolver6v33100L18trti2_kernel_smallILi9E19rocblas_complex_numIdEPKPS3_EEv13rocblas_fill_17rocblas_diagonal_T1_iil,@function
_ZN9rocsolver6v33100L18trti2_kernel_smallILi9E19rocblas_complex_numIdEPKPS3_EEv13rocblas_fill_17rocblas_diagonal_T1_iil: ; @_ZN9rocsolver6v33100L18trti2_kernel_smallILi9E19rocblas_complex_numIdEPKPS3_EEv13rocblas_fill_17rocblas_diagonal_T1_iil
; %bb.0:
	v_cmp_gt_u32_e32 vcc, 9, v0
	s_and_saveexec_b64 s[4:5], vcc
	s_cbranch_execz .LBB72_131
; %bb.1:
	s_load_dwordx2 s[8:9], s[0:1], 0x10
	s_load_dwordx4 s[4:7], s[0:1], 0x0
	s_ashr_i32 s3, s2, 31
	s_lshl_b64 s[0:1], s[2:3], 3
	v_lshlrev_b32_e32 v32, 4, v0
	s_waitcnt lgkmcnt(0)
	s_ashr_i32 s3, s8, 31
	s_add_u32 s0, s6, s0
	s_addc_u32 s1, s7, s1
	s_load_dwordx2 s[0:1], s[0:1], 0x0
	s_mov_b32 s2, s8
	s_lshl_b64 s[2:3], s[2:3], 4
	v_mov_b32_e32 v33, 0
	v_mov_b32_e32 v12, 0
	s_waitcnt lgkmcnt(0)
	s_add_u32 s0, s0, s2
	s_addc_u32 s1, s1, s3
	v_lshl_add_u64 v[14:15], s[0:1], 0, v[32:33]
	s_ashr_i32 s3, s9, 31
	s_mov_b32 s2, s9
	v_lshl_add_u64 v[16:17], s[2:3], 4, v[14:15]
	s_add_i32 s2, s9, s9
	v_add_u32_e32 v10, s2, v0
	v_ashrrev_i32_e32 v11, 31, v10
	v_lshl_add_u64 v[18:19], v[10:11], 4, s[0:1]
	v_add_u32_e32 v10, s9, v10
	v_ashrrev_i32_e32 v11, 31, v10
	v_lshl_add_u64 v[20:21], v[10:11], 4, s[0:1]
	;; [unrolled: 3-line block ×7, first 2 shown]
	global_load_dwordx4 v[2:5], v32, s[0:1]
	global_load_dwordx4 v[6:9], v[16:17], off
	global_load_dwordx4 v[34:37], v[18:19], off
	;; [unrolled: 1-line block ×8, first 2 shown]
	s_cmpk_lg_i32 s5, 0x84
	s_cselect_b64 s[6:7], -1, 0
	s_cmpk_eq_i32 s5, 0x84
	s_waitcnt vmcnt(8)
	scratch_store_dwordx4 off, v[2:5], off
	s_waitcnt vmcnt(8)
	scratch_store_dwordx4 off, v[6:9], off offset:16
	s_waitcnt vmcnt(8)
	scratch_store_dwordx4 off, v[34:37], off offset:32
	;; [unrolled: 2-line block ×8, first 2 shown]
	s_cbranch_scc1 .LBB72_7
; %bb.2:
	scratch_load_dwordx4 v[2:5], v32, off
                                        ; implicit-def: $vgpr10_vgpr11
	s_waitcnt vmcnt(0)
	v_xor_b32_e32 v1, 0x80000000, v3
	v_cmp_gt_f64_e32 vcc, 0, v[2:3]
	v_xor_b32_e32 v8, 0x80000000, v5
	v_mov_b32_e32 v6, v2
	v_cndmask_b32_e32 v7, v3, v1, vcc
	v_cmp_gt_f64_e32 vcc, 0, v[4:5]
	s_nop 1
	v_cndmask_b32_e32 v9, v5, v8, vcc
	v_mov_b32_e32 v8, v4
	v_cmp_ngt_f64_e32 vcc, v[6:7], v[8:9]
                                        ; implicit-def: $vgpr6_vgpr7
	s_and_saveexec_b64 s[0:1], vcc
	s_xor_b64 s[0:1], exec, s[0:1]
	s_cbranch_execz .LBB72_4
; %bb.3:
	v_div_scale_f64 v[6:7], s[2:3], v[4:5], v[4:5], v[2:3]
	v_rcp_f64_e32 v[8:9], v[6:7]
	v_div_scale_f64 v[10:11], vcc, v[2:3], v[4:5], v[2:3]
	v_fma_f64 v[34:35], -v[6:7], v[8:9], 1.0
	v_fmac_f64_e32 v[8:9], v[8:9], v[34:35]
	v_fma_f64 v[34:35], -v[6:7], v[8:9], 1.0
	v_fmac_f64_e32 v[8:9], v[8:9], v[34:35]
	v_mul_f64 v[34:35], v[10:11], v[8:9]
	v_fma_f64 v[6:7], -v[6:7], v[34:35], v[10:11]
	v_div_fmas_f64 v[6:7], v[6:7], v[8:9], v[34:35]
	v_div_fixup_f64 v[6:7], v[6:7], v[4:5], v[2:3]
	v_fmac_f64_e32 v[4:5], v[2:3], v[6:7]
	v_div_scale_f64 v[2:3], s[2:3], v[4:5], v[4:5], 1.0
	v_rcp_f64_e32 v[8:9], v[2:3]
	s_nop 0
	v_fma_f64 v[10:11], -v[2:3], v[8:9], 1.0
	v_fmac_f64_e32 v[8:9], v[8:9], v[10:11]
	v_fma_f64 v[10:11], -v[2:3], v[8:9], 1.0
	v_fmac_f64_e32 v[8:9], v[8:9], v[10:11]
	v_div_scale_f64 v[10:11], vcc, 1.0, v[4:5], 1.0
	v_mul_f64 v[34:35], v[10:11], v[8:9]
	v_fma_f64 v[2:3], -v[2:3], v[34:35], v[10:11]
	s_nop 1
	v_div_fmas_f64 v[2:3], v[2:3], v[8:9], v[34:35]
	v_div_fixup_f64 v[8:9], v[2:3], v[4:5], 1.0
	v_mul_f64 v[6:7], v[6:7], v[8:9]
	v_xor_b32_e32 v9, 0x80000000, v9
	v_xor_b32_e32 v11, 0x80000000, v7
	v_mov_b32_e32 v10, v6
                                        ; implicit-def: $vgpr2_vgpr3
.LBB72_4:
	s_or_saveexec_b64 s[0:1], s[0:1]
	v_add_u32_e32 v1, 0, v32
	s_xor_b64 exec, exec, s[0:1]
	s_cbranch_execz .LBB72_6
; %bb.5:
	v_div_scale_f64 v[6:7], s[2:3], v[2:3], v[2:3], v[4:5]
	v_rcp_f64_e32 v[8:9], v[6:7]
	v_div_scale_f64 v[10:11], vcc, v[4:5], v[2:3], v[4:5]
	v_fma_f64 v[34:35], -v[6:7], v[8:9], 1.0
	v_fmac_f64_e32 v[8:9], v[8:9], v[34:35]
	v_fma_f64 v[34:35], -v[6:7], v[8:9], 1.0
	v_fmac_f64_e32 v[8:9], v[8:9], v[34:35]
	v_mul_f64 v[34:35], v[10:11], v[8:9]
	v_fma_f64 v[6:7], -v[6:7], v[34:35], v[10:11]
	v_div_fmas_f64 v[6:7], v[6:7], v[8:9], v[34:35]
	v_div_fixup_f64 v[8:9], v[6:7], v[2:3], v[4:5]
	v_fmac_f64_e32 v[2:3], v[4:5], v[8:9]
	v_div_scale_f64 v[4:5], s[2:3], v[2:3], v[2:3], 1.0
	v_rcp_f64_e32 v[6:7], v[4:5]
	s_nop 0
	v_fma_f64 v[10:11], -v[4:5], v[6:7], 1.0
	v_fmac_f64_e32 v[6:7], v[6:7], v[10:11]
	v_fma_f64 v[10:11], -v[4:5], v[6:7], 1.0
	v_fmac_f64_e32 v[6:7], v[6:7], v[10:11]
	v_div_scale_f64 v[10:11], vcc, 1.0, v[2:3], 1.0
	v_mul_f64 v[34:35], v[10:11], v[6:7]
	v_fma_f64 v[4:5], -v[4:5], v[34:35], v[10:11]
	s_nop 1
	v_div_fmas_f64 v[4:5], v[4:5], v[6:7], v[34:35]
	v_div_fixup_f64 v[6:7], v[4:5], v[2:3], 1.0
	v_xor_b32_e32 v11, 0x80000000, v7
	v_mov_b32_e32 v10, v6
	v_mul_f64 v[8:9], v[8:9], -v[6:7]
.LBB72_6:
	s_or_b64 exec, exec, s[0:1]
	scratch_store_dwordx4 v1, v[6:9], off
	s_nop 1
	v_xor_b32_e32 v9, 0x80000000, v9
	s_branch .LBB72_8
.LBB72_7:
	v_mov_b64_e32 v[8:9], 0
	v_mov_b64_e32 v[10:11], -1.0
.LBB72_8:
	v_add_u32_e32 v33, 16, v12
	v_add_u32_e32 v36, 32, v12
	v_add_u32_e32 v1, 48, v12
	v_add_u32_e32 v37, 64, v12
	v_add_u32_e32 v34, 0x50, v12
	v_add_u32_e32 v39, 0x60, v12
	v_add_u32_e32 v35, 0x70, v12
	v_add_u32_e32 v38, 0x80, v12
	v_mov_b32_e32 v12, v8
	v_mov_b32_e32 v13, v9
	s_cmpk_eq_i32 s4, 0x79
	v_add_u32_e32 v9, 0x90, v32
	v_add_u32_e32 v8, 0, v32
	ds_write_b128 v32, v[10:13]
	s_cbranch_scc1 .LBB72_68
; %bb.9:
	scratch_load_dwordx4 v[2:5], v35, off
	v_cmp_eq_u32_e64 s[0:1], 8, v0
	s_waitcnt vmcnt(0)
	ds_write_b128 v9, v[2:5]
	s_waitcnt lgkmcnt(0)
	; wave barrier
	s_waitcnt lgkmcnt(0)
	s_and_saveexec_b64 s[2:3], s[0:1]
	s_cbranch_execz .LBB72_13
; %bb.10:
	ds_read_b128 v[2:5], v9
	s_andn2_b64 vcc, exec, s[6:7]
	s_cbranch_vccnz .LBB72_12
; %bb.11:
	scratch_load_dwordx4 v[10:13], v8, off
	s_waitcnt vmcnt(0) lgkmcnt(0)
	v_mul_f64 v[6:7], v[4:5], v[12:13]
	v_mul_f64 v[12:13], v[2:3], v[12:13]
	v_fmac_f64_e32 v[12:13], v[4:5], v[10:11]
	v_fma_f64 v[2:3], v[2:3], v[10:11], -v[6:7]
	v_mov_b64_e32 v[4:5], v[12:13]
.LBB72_12:
	v_mov_b32_e32 v6, 0
	ds_read_b128 v[10:13], v6 offset:112
	s_waitcnt lgkmcnt(0)
	v_mul_f64 v[6:7], v[4:5], v[12:13]
	v_mul_f64 v[42:43], v[2:3], v[12:13]
	v_fma_f64 v[40:41], v[2:3], v[10:11], -v[6:7]
	v_fmac_f64_e32 v[42:43], v[4:5], v[10:11]
	scratch_store_dwordx4 off, v[40:43], off offset:112
.LBB72_13:
	s_or_b64 exec, exec, s[2:3]
	scratch_load_dwordx4 v[2:5], v39, off
	v_cmp_lt_u32_e64 s[2:3], 6, v0
	s_waitcnt vmcnt(0)
	ds_write_b128 v9, v[2:5]
	s_waitcnt lgkmcnt(0)
	; wave barrier
	s_waitcnt lgkmcnt(0)
	s_and_saveexec_b64 s[4:5], s[2:3]
	s_cbranch_execz .LBB72_19
; %bb.14:
	ds_read_b128 v[2:5], v9
	s_andn2_b64 vcc, exec, s[6:7]
	s_cbranch_vccnz .LBB72_16
; %bb.15:
	scratch_load_dwordx4 v[10:13], v8, off
	s_waitcnt vmcnt(0) lgkmcnt(0)
	v_mul_f64 v[6:7], v[4:5], v[12:13]
	v_mul_f64 v[12:13], v[2:3], v[12:13]
	v_fmac_f64_e32 v[12:13], v[4:5], v[10:11]
	v_fma_f64 v[2:3], v[2:3], v[10:11], -v[6:7]
	v_mov_b64_e32 v[4:5], v[12:13]
.LBB72_16:
	s_and_saveexec_b64 s[8:9], s[0:1]
	s_cbranch_execz .LBB72_18
; %bb.17:
	scratch_load_dwordx4 v[10:13], off, off offset:112
	v_mov_b32_e32 v6, 0
	ds_read_b128 v[40:43], v6 offset:256
	s_waitcnt vmcnt(0) lgkmcnt(0)
	v_mul_f64 v[6:7], v[40:41], v[12:13]
	v_mul_f64 v[12:13], v[42:43], v[12:13]
	v_fmac_f64_e32 v[6:7], v[42:43], v[10:11]
	v_fma_f64 v[10:11], v[40:41], v[10:11], -v[12:13]
	v_add_f64 v[4:5], v[4:5], v[6:7]
	v_add_f64 v[2:3], v[2:3], v[10:11]
.LBB72_18:
	s_or_b64 exec, exec, s[8:9]
	v_mov_b32_e32 v6, 0
	ds_read_b128 v[10:13], v6 offset:96
	s_waitcnt lgkmcnt(0)
	v_mul_f64 v[6:7], v[4:5], v[12:13]
	v_mul_f64 v[42:43], v[2:3], v[12:13]
	v_fma_f64 v[40:41], v[2:3], v[10:11], -v[6:7]
	v_fmac_f64_e32 v[42:43], v[4:5], v[10:11]
	scratch_store_dwordx4 off, v[40:43], off offset:96
.LBB72_19:
	s_or_b64 exec, exec, s[4:5]
	scratch_load_dwordx4 v[2:5], v34, off
	v_cmp_lt_u32_e64 s[0:1], 5, v0
	s_waitcnt vmcnt(0)
	ds_write_b128 v9, v[2:5]
	s_waitcnt lgkmcnt(0)
	; wave barrier
	s_waitcnt lgkmcnt(0)
	s_and_saveexec_b64 s[4:5], s[0:1]
	s_cbranch_execz .LBB72_27
; %bb.20:
	ds_read_b128 v[2:5], v9
	s_andn2_b64 vcc, exec, s[6:7]
	s_cbranch_vccnz .LBB72_22
; %bb.21:
	scratch_load_dwordx4 v[10:13], v8, off
	s_waitcnt vmcnt(0) lgkmcnt(0)
	v_mul_f64 v[6:7], v[4:5], v[12:13]
	v_mul_f64 v[12:13], v[2:3], v[12:13]
	v_fmac_f64_e32 v[12:13], v[4:5], v[10:11]
	v_fma_f64 v[2:3], v[2:3], v[10:11], -v[6:7]
	v_mov_b64_e32 v[4:5], v[12:13]
.LBB72_22:
	s_and_saveexec_b64 s[8:9], s[2:3]
	s_cbranch_execz .LBB72_26
; %bb.23:
	v_mov_b32_e32 v7, 0
	v_add_u32_e32 v6, -6, v0
	v_add_u32_e32 v7, 0x68, v7
	s_movk_i32 s10, 0xf0
	s_mov_b64 s[2:3], 0
.LBB72_24:                              ; =>This Inner Loop Header: Depth=1
	v_add_u32_e32 v10, -8, v7
	scratch_load_dwordx4 v[10:13], v10, off
	v_mov_b32_e32 v40, s10
	ds_read_b128 v[40:43], v40
	v_add_u32_e32 v6, -1, v6
	s_add_i32 s10, s10, 16
	v_cmp_eq_u32_e32 vcc, 0, v6
	v_add_u32_e32 v7, 16, v7
	s_or_b64 s[2:3], vcc, s[2:3]
	s_waitcnt vmcnt(0) lgkmcnt(0)
	v_mul_f64 v[44:45], v[42:43], v[12:13]
	v_mul_f64 v[12:13], v[40:41], v[12:13]
	v_fma_f64 v[40:41], v[40:41], v[10:11], -v[44:45]
	v_fmac_f64_e32 v[12:13], v[42:43], v[10:11]
	v_add_f64 v[2:3], v[2:3], v[40:41]
	v_add_f64 v[4:5], v[4:5], v[12:13]
	s_andn2_b64 exec, exec, s[2:3]
	s_cbranch_execnz .LBB72_24
; %bb.25:
	s_or_b64 exec, exec, s[2:3]
.LBB72_26:
	s_or_b64 exec, exec, s[8:9]
	v_mov_b32_e32 v6, 0
	ds_read_b128 v[10:13], v6 offset:80
	s_waitcnt lgkmcnt(0)
	v_mul_f64 v[6:7], v[4:5], v[12:13]
	v_mul_f64 v[42:43], v[2:3], v[12:13]
	v_fma_f64 v[40:41], v[2:3], v[10:11], -v[6:7]
	v_fmac_f64_e32 v[42:43], v[4:5], v[10:11]
	scratch_store_dwordx4 off, v[40:43], off offset:80
.LBB72_27:
	s_or_b64 exec, exec, s[4:5]
	scratch_load_dwordx4 v[2:5], v37, off
	v_cmp_lt_u32_e64 s[2:3], 4, v0
	s_waitcnt vmcnt(0)
	ds_write_b128 v9, v[2:5]
	s_waitcnt lgkmcnt(0)
	; wave barrier
	s_waitcnt lgkmcnt(0)
	s_and_saveexec_b64 s[4:5], s[2:3]
	s_cbranch_execz .LBB72_35
; %bb.28:
	ds_read_b128 v[2:5], v9
	s_andn2_b64 vcc, exec, s[6:7]
	s_cbranch_vccnz .LBB72_30
; %bb.29:
	scratch_load_dwordx4 v[10:13], v8, off
	s_waitcnt vmcnt(0) lgkmcnt(0)
	v_mul_f64 v[6:7], v[4:5], v[12:13]
	v_mul_f64 v[12:13], v[2:3], v[12:13]
	v_fmac_f64_e32 v[12:13], v[4:5], v[10:11]
	v_fma_f64 v[2:3], v[2:3], v[10:11], -v[6:7]
	v_mov_b64_e32 v[4:5], v[12:13]
.LBB72_30:
	s_and_saveexec_b64 s[8:9], s[0:1]
	s_cbranch_execz .LBB72_34
; %bb.31:
	v_mov_b32_e32 v7, 0
	v_add_u32_e32 v6, -5, v0
	v_add_u32_e32 v7, 0x58, v7
	s_movk_i32 s10, 0xe0
	s_mov_b64 s[0:1], 0
.LBB72_32:                              ; =>This Inner Loop Header: Depth=1
	v_add_u32_e32 v10, -8, v7
	scratch_load_dwordx4 v[10:13], v10, off
	v_mov_b32_e32 v40, s10
	ds_read_b128 v[40:43], v40
	v_add_u32_e32 v6, -1, v6
	s_add_i32 s10, s10, 16
	v_cmp_eq_u32_e32 vcc, 0, v6
	v_add_u32_e32 v7, 16, v7
	s_or_b64 s[0:1], vcc, s[0:1]
	s_waitcnt vmcnt(0) lgkmcnt(0)
	v_mul_f64 v[44:45], v[42:43], v[12:13]
	v_mul_f64 v[12:13], v[40:41], v[12:13]
	v_fma_f64 v[40:41], v[40:41], v[10:11], -v[44:45]
	v_fmac_f64_e32 v[12:13], v[42:43], v[10:11]
	v_add_f64 v[2:3], v[2:3], v[40:41]
	v_add_f64 v[4:5], v[4:5], v[12:13]
	s_andn2_b64 exec, exec, s[0:1]
	s_cbranch_execnz .LBB72_32
; %bb.33:
	s_or_b64 exec, exec, s[0:1]
.LBB72_34:
	s_or_b64 exec, exec, s[8:9]
	v_mov_b32_e32 v6, 0
	ds_read_b128 v[10:13], v6 offset:64
	s_waitcnt lgkmcnt(0)
	v_mul_f64 v[6:7], v[4:5], v[12:13]
	v_mul_f64 v[42:43], v[2:3], v[12:13]
	v_fma_f64 v[40:41], v[2:3], v[10:11], -v[6:7]
	v_fmac_f64_e32 v[42:43], v[4:5], v[10:11]
	scratch_store_dwordx4 off, v[40:43], off offset:64
.LBB72_35:
	;; [unrolled: 63-line block ×5, first 2 shown]
	s_or_b64 exec, exec, s[4:5]
	scratch_load_dwordx4 v[2:5], off, off
	v_cmp_ne_u32_e32 vcc, 0, v0
	s_mov_b64 s[2:3], 0
	s_mov_b64 s[4:5], 0
                                        ; implicit-def: $vgpr6_vgpr7
                                        ; implicit-def: $vgpr10
	s_waitcnt vmcnt(0)
	ds_write_b128 v9, v[2:5]
	s_waitcnt lgkmcnt(0)
	; wave barrier
	s_waitcnt lgkmcnt(0)
	s_and_saveexec_b64 s[8:9], vcc
	s_cbranch_execz .LBB72_67
; %bb.60:
	ds_read_b128 v[2:5], v9
	s_andn2_b64 vcc, exec, s[6:7]
	s_cbranch_vccnz .LBB72_62
; %bb.61:
	scratch_load_dwordx4 v[10:13], v8, off
	s_waitcnt vmcnt(0) lgkmcnt(0)
	v_mul_f64 v[6:7], v[4:5], v[12:13]
	v_mul_f64 v[12:13], v[2:3], v[12:13]
	v_fmac_f64_e32 v[12:13], v[4:5], v[10:11]
	v_fma_f64 v[2:3], v[2:3], v[10:11], -v[6:7]
	v_mov_b64_e32 v[4:5], v[12:13]
.LBB72_62:
	s_and_saveexec_b64 s[4:5], s[0:1]
	s_cbranch_execz .LBB72_66
; %bb.63:
	v_mov_b32_e32 v7, 0
	v_add_u32_e32 v6, -1, v0
	v_add_u32_e32 v7, 24, v7
	s_movk_i32 s10, 0xa0
	s_mov_b64 s[0:1], 0
.LBB72_64:                              ; =>This Inner Loop Header: Depth=1
	v_add_u32_e32 v10, -8, v7
	scratch_load_dwordx4 v[10:13], v10, off
	v_mov_b32_e32 v40, s10
	ds_read_b128 v[40:43], v40
	v_add_u32_e32 v6, -1, v6
	s_add_i32 s10, s10, 16
	v_cmp_eq_u32_e32 vcc, 0, v6
	v_add_u32_e32 v7, 16, v7
	s_or_b64 s[0:1], vcc, s[0:1]
	s_waitcnt vmcnt(0) lgkmcnt(0)
	v_mul_f64 v[44:45], v[42:43], v[12:13]
	v_mul_f64 v[12:13], v[40:41], v[12:13]
	v_fma_f64 v[40:41], v[40:41], v[10:11], -v[44:45]
	v_fmac_f64_e32 v[12:13], v[42:43], v[10:11]
	v_add_f64 v[2:3], v[2:3], v[40:41]
	v_add_f64 v[4:5], v[4:5], v[12:13]
	s_andn2_b64 exec, exec, s[0:1]
	s_cbranch_execnz .LBB72_64
; %bb.65:
	s_or_b64 exec, exec, s[0:1]
.LBB72_66:
	s_or_b64 exec, exec, s[4:5]
	v_mov_b32_e32 v6, 0
	ds_read_b128 v[40:43], v6
	v_mov_b32_e32 v6, 0
	v_or_b32_e32 v10, 8, v6
	s_mov_b64 s[4:5], exec
	s_waitcnt lgkmcnt(0)
	v_mul_f64 v[12:13], v[4:5], v[42:43]
	v_mul_f64 v[6:7], v[2:3], v[42:43]
	v_fma_f64 v[2:3], v[2:3], v[40:41], -v[12:13]
	v_fmac_f64_e32 v[6:7], v[4:5], v[40:41]
	scratch_store_dwordx2 off, v[2:3], off
.LBB72_67:
	s_or_b64 exec, exec, s[8:9]
	s_and_b64 vcc, exec, s[2:3]
	s_cbranch_vccnz .LBB72_69
	s_branch .LBB72_128
.LBB72_68:
	s_mov_b64 s[4:5], 0
                                        ; implicit-def: $vgpr6_vgpr7
                                        ; implicit-def: $vgpr10
	s_cbranch_execz .LBB72_128
.LBB72_69:
	scratch_load_dwordx4 v[2:5], v33, off
	v_cndmask_b32_e64 v6, 0, 1, s[6:7]
	v_cmp_eq_u32_e64 s[2:3], 0, v0
	v_cmp_ne_u32_e64 s[0:1], 1, v6
	s_waitcnt vmcnt(0)
	ds_write_b128 v9, v[2:5]
	s_waitcnt lgkmcnt(0)
	; wave barrier
	s_waitcnt lgkmcnt(0)
	s_and_saveexec_b64 s[6:7], s[2:3]
	s_cbranch_execz .LBB72_73
; %bb.70:
	ds_read_b128 v[2:5], v9
	s_and_b64 vcc, exec, s[0:1]
	s_cbranch_vccnz .LBB72_72
; %bb.71:
	scratch_load_dwordx4 v[10:13], v8, off
	s_waitcnt vmcnt(0) lgkmcnt(0)
	v_mul_f64 v[6:7], v[4:5], v[12:13]
	v_mul_f64 v[12:13], v[2:3], v[12:13]
	v_fmac_f64_e32 v[12:13], v[4:5], v[10:11]
	v_fma_f64 v[2:3], v[2:3], v[10:11], -v[6:7]
	v_mov_b64_e32 v[4:5], v[12:13]
.LBB72_72:
	v_mov_b32_e32 v6, 0
	ds_read_b128 v[10:13], v6 offset:16
	s_waitcnt lgkmcnt(0)
	v_mul_f64 v[6:7], v[4:5], v[12:13]
	v_mul_f64 v[42:43], v[2:3], v[12:13]
	v_fma_f64 v[40:41], v[2:3], v[10:11], -v[6:7]
	v_fmac_f64_e32 v[42:43], v[4:5], v[10:11]
	scratch_store_dwordx4 off, v[40:43], off offset:16
.LBB72_73:
	s_or_b64 exec, exec, s[6:7]
	scratch_load_dwordx4 v[2:5], v36, off
	v_cmp_gt_u32_e32 vcc, 2, v0
	s_waitcnt vmcnt(0)
	ds_write_b128 v9, v[2:5]
	s_waitcnt lgkmcnt(0)
	; wave barrier
	s_waitcnt lgkmcnt(0)
	s_and_saveexec_b64 s[6:7], vcc
	s_cbranch_execz .LBB72_79
; %bb.74:
	ds_read_b128 v[2:5], v9
	s_and_b64 vcc, exec, s[0:1]
	s_cbranch_vccnz .LBB72_76
; %bb.75:
	scratch_load_dwordx4 v[10:13], v8, off
	s_waitcnt vmcnt(0) lgkmcnt(0)
	v_mul_f64 v[6:7], v[4:5], v[12:13]
	v_mul_f64 v[12:13], v[2:3], v[12:13]
	v_fmac_f64_e32 v[12:13], v[4:5], v[10:11]
	v_fma_f64 v[2:3], v[2:3], v[10:11], -v[6:7]
	v_mov_b64_e32 v[4:5], v[12:13]
.LBB72_76:
	s_and_saveexec_b64 s[8:9], s[2:3]
	s_cbranch_execz .LBB72_78
; %bb.77:
	scratch_load_dwordx4 v[10:13], v8, off offset:16
	ds_read_b128 v[40:43], v9 offset:16
	s_waitcnt vmcnt(0) lgkmcnt(0)
	v_mul_f64 v[6:7], v[42:43], v[12:13]
	v_mul_f64 v[12:13], v[40:41], v[12:13]
	v_fma_f64 v[6:7], v[40:41], v[10:11], -v[6:7]
	v_fmac_f64_e32 v[12:13], v[42:43], v[10:11]
	v_add_f64 v[2:3], v[2:3], v[6:7]
	v_add_f64 v[4:5], v[4:5], v[12:13]
.LBB72_78:
	s_or_b64 exec, exec, s[8:9]
	v_mov_b32_e32 v6, 0
	ds_read_b128 v[10:13], v6 offset:32
	s_waitcnt lgkmcnt(0)
	v_mul_f64 v[6:7], v[4:5], v[12:13]
	v_mul_f64 v[42:43], v[2:3], v[12:13]
	v_fma_f64 v[40:41], v[2:3], v[10:11], -v[6:7]
	v_fmac_f64_e32 v[42:43], v[4:5], v[10:11]
	scratch_store_dwordx4 off, v[40:43], off offset:32
.LBB72_79:
	s_or_b64 exec, exec, s[6:7]
	scratch_load_dwordx4 v[2:5], v1, off
	v_cmp_gt_u32_e32 vcc, 3, v0
	s_waitcnt vmcnt(0)
	ds_write_b128 v9, v[2:5]
	s_waitcnt lgkmcnt(0)
	; wave barrier
	s_waitcnt lgkmcnt(0)
	s_and_saveexec_b64 s[6:7], vcc
	s_cbranch_execz .LBB72_87
; %bb.80:
	ds_read_b128 v[2:5], v9
	s_and_b64 vcc, exec, s[0:1]
	s_cbranch_vccnz .LBB72_82
; %bb.81:
	scratch_load_dwordx4 v[10:13], v8, off
	s_waitcnt vmcnt(0) lgkmcnt(0)
	v_mul_f64 v[6:7], v[4:5], v[12:13]
	v_mul_f64 v[12:13], v[2:3], v[12:13]
	v_fmac_f64_e32 v[12:13], v[4:5], v[10:11]
	v_fma_f64 v[2:3], v[2:3], v[10:11], -v[6:7]
	v_mov_b64_e32 v[4:5], v[12:13]
.LBB72_82:
	v_cmp_ne_u32_e32 vcc, 2, v0
	s_and_saveexec_b64 s[8:9], vcc
	s_cbranch_execz .LBB72_86
; %bb.83:
	scratch_load_dwordx4 v[10:13], v8, off offset:16
	ds_read_b128 v[40:43], v9 offset:16
	s_waitcnt vmcnt(0) lgkmcnt(0)
	v_mul_f64 v[6:7], v[42:43], v[12:13]
	v_mul_f64 v[12:13], v[40:41], v[12:13]
	v_fma_f64 v[6:7], v[40:41], v[10:11], -v[6:7]
	v_fmac_f64_e32 v[12:13], v[42:43], v[10:11]
	v_add_f64 v[2:3], v[2:3], v[6:7]
	v_add_f64 v[4:5], v[4:5], v[12:13]
	s_and_saveexec_b64 s[10:11], s[2:3]
	s_cbranch_execz .LBB72_85
; %bb.84:
	scratch_load_dwordx4 v[10:13], off, off offset:32
	v_mov_b32_e32 v6, 0
	ds_read_b128 v[40:43], v6 offset:176
	s_waitcnt vmcnt(0) lgkmcnt(0)
	v_mul_f64 v[6:7], v[40:41], v[12:13]
	v_mul_f64 v[12:13], v[42:43], v[12:13]
	v_fmac_f64_e32 v[6:7], v[42:43], v[10:11]
	v_fma_f64 v[10:11], v[40:41], v[10:11], -v[12:13]
	v_add_f64 v[4:5], v[4:5], v[6:7]
	v_add_f64 v[2:3], v[2:3], v[10:11]
.LBB72_85:
	s_or_b64 exec, exec, s[10:11]
.LBB72_86:
	s_or_b64 exec, exec, s[8:9]
	v_mov_b32_e32 v6, 0
	ds_read_b128 v[10:13], v6 offset:48
	s_waitcnt lgkmcnt(0)
	v_mul_f64 v[6:7], v[4:5], v[12:13]
	v_mul_f64 v[42:43], v[2:3], v[12:13]
	v_fma_f64 v[40:41], v[2:3], v[10:11], -v[6:7]
	v_fmac_f64_e32 v[42:43], v[4:5], v[10:11]
	scratch_store_dwordx4 off, v[40:43], off offset:48
.LBB72_87:
	s_or_b64 exec, exec, s[6:7]
	scratch_load_dwordx4 v[2:5], v37, off
	v_cmp_gt_u32_e32 vcc, 4, v0
	s_waitcnt vmcnt(0)
	ds_write_b128 v9, v[2:5]
	s_waitcnt lgkmcnt(0)
	; wave barrier
	s_waitcnt lgkmcnt(0)
	s_and_saveexec_b64 s[2:3], vcc
	s_cbranch_execz .LBB72_95
; %bb.88:
	ds_read_b128 v[2:5], v9
	s_and_b64 vcc, exec, s[0:1]
	s_cbranch_vccnz .LBB72_90
; %bb.89:
	scratch_load_dwordx4 v[10:13], v8, off
	s_waitcnt vmcnt(0) lgkmcnt(0)
	v_mul_f64 v[6:7], v[4:5], v[12:13]
	v_mul_f64 v[12:13], v[2:3], v[12:13]
	v_fmac_f64_e32 v[12:13], v[4:5], v[10:11]
	v_fma_f64 v[2:3], v[2:3], v[10:11], -v[6:7]
	v_mov_b64_e32 v[4:5], v[12:13]
.LBB72_90:
	v_cmp_ne_u32_e32 vcc, 3, v0
	s_and_saveexec_b64 s[6:7], vcc
	s_cbranch_execz .LBB72_94
; %bb.91:
	v_mov_b32_e32 v7, 0
	v_add_u32_e32 v6, 0xa0, v32
	v_add3_u32 v7, v32, v7, 24
	s_mov_b64 s[8:9], 0
	v_mov_b32_e32 v10, v0
.LBB72_92:                              ; =>This Inner Loop Header: Depth=1
	v_add_u32_e32 v11, -8, v7
	scratch_load_dwordx4 v[40:43], v11, off
	ds_read_b128 v[44:47], v6
	v_add_u32_e32 v10, 1, v10
	v_cmp_lt_u32_e32 vcc, 2, v10
	v_add_u32_e32 v6, 16, v6
	v_add_u32_e32 v7, 16, v7
	s_or_b64 s[8:9], vcc, s[8:9]
	s_waitcnt vmcnt(0) lgkmcnt(0)
	v_mul_f64 v[12:13], v[46:47], v[42:43]
	v_mul_f64 v[42:43], v[44:45], v[42:43]
	v_fma_f64 v[12:13], v[44:45], v[40:41], -v[12:13]
	v_fmac_f64_e32 v[42:43], v[46:47], v[40:41]
	v_add_f64 v[2:3], v[2:3], v[12:13]
	v_add_f64 v[4:5], v[4:5], v[42:43]
	s_andn2_b64 exec, exec, s[8:9]
	s_cbranch_execnz .LBB72_92
; %bb.93:
	s_or_b64 exec, exec, s[8:9]
.LBB72_94:
	s_or_b64 exec, exec, s[6:7]
	v_mov_b32_e32 v6, 0
	ds_read_b128 v[10:13], v6 offset:64
	s_waitcnt lgkmcnt(0)
	v_mul_f64 v[6:7], v[4:5], v[12:13]
	v_mul_f64 v[42:43], v[2:3], v[12:13]
	v_fma_f64 v[40:41], v[2:3], v[10:11], -v[6:7]
	v_fmac_f64_e32 v[42:43], v[4:5], v[10:11]
	scratch_store_dwordx4 off, v[40:43], off offset:64
.LBB72_95:
	s_or_b64 exec, exec, s[2:3]
	scratch_load_dwordx4 v[2:5], v34, off
	v_cmp_gt_u32_e32 vcc, 5, v0
	s_waitcnt vmcnt(0)
	ds_write_b128 v9, v[2:5]
	s_waitcnt lgkmcnt(0)
	; wave barrier
	s_waitcnt lgkmcnt(0)
	s_and_saveexec_b64 s[2:3], vcc
	s_cbranch_execz .LBB72_103
; %bb.96:
	ds_read_b128 v[2:5], v9
	s_and_b64 vcc, exec, s[0:1]
	s_cbranch_vccnz .LBB72_98
; %bb.97:
	scratch_load_dwordx4 v[10:13], v8, off
	s_waitcnt vmcnt(0) lgkmcnt(0)
	v_mul_f64 v[6:7], v[4:5], v[12:13]
	v_mul_f64 v[12:13], v[2:3], v[12:13]
	v_fmac_f64_e32 v[12:13], v[4:5], v[10:11]
	v_fma_f64 v[2:3], v[2:3], v[10:11], -v[6:7]
	v_mov_b64_e32 v[4:5], v[12:13]
.LBB72_98:
	v_cmp_ne_u32_e32 vcc, 4, v0
	s_and_saveexec_b64 s[6:7], vcc
	s_cbranch_execz .LBB72_102
; %bb.99:
	v_mov_b32_e32 v7, 0
	v_add_u32_e32 v6, 0xa0, v32
	v_add3_u32 v7, v32, v7, 24
	s_mov_b64 s[8:9], 0
	v_mov_b32_e32 v10, v0
.LBB72_100:                             ; =>This Inner Loop Header: Depth=1
	v_add_u32_e32 v11, -8, v7
	scratch_load_dwordx4 v[40:43], v11, off
	ds_read_b128 v[44:47], v6
	v_add_u32_e32 v10, 1, v10
	v_cmp_lt_u32_e32 vcc, 3, v10
	v_add_u32_e32 v6, 16, v6
	v_add_u32_e32 v7, 16, v7
	s_or_b64 s[8:9], vcc, s[8:9]
	s_waitcnt vmcnt(0) lgkmcnt(0)
	v_mul_f64 v[12:13], v[46:47], v[42:43]
	v_mul_f64 v[42:43], v[44:45], v[42:43]
	v_fma_f64 v[12:13], v[44:45], v[40:41], -v[12:13]
	v_fmac_f64_e32 v[42:43], v[46:47], v[40:41]
	v_add_f64 v[2:3], v[2:3], v[12:13]
	v_add_f64 v[4:5], v[4:5], v[42:43]
	s_andn2_b64 exec, exec, s[8:9]
	s_cbranch_execnz .LBB72_100
; %bb.101:
	s_or_b64 exec, exec, s[8:9]
.LBB72_102:
	s_or_b64 exec, exec, s[6:7]
	v_mov_b32_e32 v6, 0
	ds_read_b128 v[10:13], v6 offset:80
	s_waitcnt lgkmcnt(0)
	v_mul_f64 v[6:7], v[4:5], v[12:13]
	v_mul_f64 v[42:43], v[2:3], v[12:13]
	v_fma_f64 v[40:41], v[2:3], v[10:11], -v[6:7]
	v_fmac_f64_e32 v[42:43], v[4:5], v[10:11]
	scratch_store_dwordx4 off, v[40:43], off offset:80
.LBB72_103:
	s_or_b64 exec, exec, s[2:3]
	scratch_load_dwordx4 v[2:5], v39, off
	v_cmp_gt_u32_e32 vcc, 6, v0
	s_waitcnt vmcnt(0)
	ds_write_b128 v9, v[2:5]
	s_waitcnt lgkmcnt(0)
	; wave barrier
	s_waitcnt lgkmcnt(0)
	s_and_saveexec_b64 s[2:3], vcc
	s_cbranch_execz .LBB72_111
; %bb.104:
	ds_read_b128 v[2:5], v9
	s_and_b64 vcc, exec, s[0:1]
	s_cbranch_vccnz .LBB72_106
; %bb.105:
	scratch_load_dwordx4 v[10:13], v8, off
	s_waitcnt vmcnt(0) lgkmcnt(0)
	v_mul_f64 v[6:7], v[4:5], v[12:13]
	v_mul_f64 v[12:13], v[2:3], v[12:13]
	v_fmac_f64_e32 v[12:13], v[4:5], v[10:11]
	v_fma_f64 v[2:3], v[2:3], v[10:11], -v[6:7]
	v_mov_b64_e32 v[4:5], v[12:13]
.LBB72_106:
	v_cmp_ne_u32_e32 vcc, 5, v0
	s_and_saveexec_b64 s[6:7], vcc
	s_cbranch_execz .LBB72_110
; %bb.107:
	v_mov_b32_e32 v7, 0
	v_add_u32_e32 v6, 0xa0, v32
	v_add3_u32 v7, v32, v7, 24
	s_mov_b64 s[8:9], 0
	v_mov_b32_e32 v10, v0
.LBB72_108:                             ; =>This Inner Loop Header: Depth=1
	v_add_u32_e32 v11, -8, v7
	scratch_load_dwordx4 v[40:43], v11, off
	ds_read_b128 v[44:47], v6
	v_add_u32_e32 v10, 1, v10
	v_cmp_lt_u32_e32 vcc, 4, v10
	v_add_u32_e32 v6, 16, v6
	v_add_u32_e32 v7, 16, v7
	s_or_b64 s[8:9], vcc, s[8:9]
	s_waitcnt vmcnt(0) lgkmcnt(0)
	v_mul_f64 v[12:13], v[46:47], v[42:43]
	v_mul_f64 v[42:43], v[44:45], v[42:43]
	v_fma_f64 v[12:13], v[44:45], v[40:41], -v[12:13]
	v_fmac_f64_e32 v[42:43], v[46:47], v[40:41]
	v_add_f64 v[2:3], v[2:3], v[12:13]
	v_add_f64 v[4:5], v[4:5], v[42:43]
	s_andn2_b64 exec, exec, s[8:9]
	s_cbranch_execnz .LBB72_108
; %bb.109:
	s_or_b64 exec, exec, s[8:9]
.LBB72_110:
	s_or_b64 exec, exec, s[6:7]
	v_mov_b32_e32 v6, 0
	ds_read_b128 v[10:13], v6 offset:96
	s_waitcnt lgkmcnt(0)
	v_mul_f64 v[6:7], v[4:5], v[12:13]
	v_mul_f64 v[42:43], v[2:3], v[12:13]
	v_fma_f64 v[40:41], v[2:3], v[10:11], -v[6:7]
	v_fmac_f64_e32 v[42:43], v[4:5], v[10:11]
	scratch_store_dwordx4 off, v[40:43], off offset:96
.LBB72_111:
	s_or_b64 exec, exec, s[2:3]
	scratch_load_dwordx4 v[2:5], v35, off
	v_cmp_gt_u32_e64 s[2:3], 7, v0
	s_waitcnt vmcnt(0)
	ds_write_b128 v9, v[2:5]
	s_waitcnt lgkmcnt(0)
	; wave barrier
	s_waitcnt lgkmcnt(0)
	s_and_saveexec_b64 s[6:7], s[2:3]
	s_cbranch_execz .LBB72_119
; %bb.112:
	ds_read_b128 v[2:5], v9
	s_and_b64 vcc, exec, s[0:1]
	s_cbranch_vccnz .LBB72_114
; %bb.113:
	scratch_load_dwordx4 v[10:13], v8, off
	s_waitcnt vmcnt(0) lgkmcnt(0)
	v_mul_f64 v[6:7], v[4:5], v[12:13]
	v_mul_f64 v[12:13], v[2:3], v[12:13]
	v_fmac_f64_e32 v[12:13], v[4:5], v[10:11]
	v_fma_f64 v[2:3], v[2:3], v[10:11], -v[6:7]
	v_mov_b64_e32 v[4:5], v[12:13]
.LBB72_114:
	v_cmp_ne_u32_e32 vcc, 6, v0
	s_and_saveexec_b64 s[8:9], vcc
	s_cbranch_execz .LBB72_118
; %bb.115:
	v_mov_b32_e32 v7, 0
	v_add_u32_e32 v6, 0xa0, v32
	v_add3_u32 v7, v32, v7, 24
	s_mov_b64 s[10:11], 0
	v_mov_b32_e32 v10, v0
.LBB72_116:                             ; =>This Inner Loop Header: Depth=1
	v_add_u32_e32 v11, -8, v7
	scratch_load_dwordx4 v[40:43], v11, off
	ds_read_b128 v[44:47], v6
	v_add_u32_e32 v10, 1, v10
	v_cmp_lt_u32_e32 vcc, 5, v10
	v_add_u32_e32 v6, 16, v6
	v_add_u32_e32 v7, 16, v7
	s_or_b64 s[10:11], vcc, s[10:11]
	s_waitcnt vmcnt(0) lgkmcnt(0)
	v_mul_f64 v[12:13], v[46:47], v[42:43]
	v_mul_f64 v[42:43], v[44:45], v[42:43]
	v_fma_f64 v[12:13], v[44:45], v[40:41], -v[12:13]
	v_fmac_f64_e32 v[42:43], v[46:47], v[40:41]
	v_add_f64 v[2:3], v[2:3], v[12:13]
	v_add_f64 v[4:5], v[4:5], v[42:43]
	s_andn2_b64 exec, exec, s[10:11]
	s_cbranch_execnz .LBB72_116
; %bb.117:
	s_or_b64 exec, exec, s[10:11]
.LBB72_118:
	s_or_b64 exec, exec, s[8:9]
	v_mov_b32_e32 v6, 0
	ds_read_b128 v[10:13], v6 offset:112
	s_waitcnt lgkmcnt(0)
	v_mul_f64 v[6:7], v[4:5], v[12:13]
	v_mul_f64 v[42:43], v[2:3], v[12:13]
	v_fma_f64 v[40:41], v[2:3], v[10:11], -v[6:7]
	v_fmac_f64_e32 v[42:43], v[4:5], v[10:11]
	scratch_store_dwordx4 off, v[40:43], off offset:112
.LBB72_119:
	s_or_b64 exec, exec, s[6:7]
	scratch_load_dwordx4 v[2:5], v38, off
	v_cmp_ne_u32_e32 vcc, 8, v0
                                        ; implicit-def: $vgpr6_vgpr7
                                        ; implicit-def: $vgpr10
	s_waitcnt vmcnt(0)
	ds_write_b128 v9, v[2:5]
	s_waitcnt lgkmcnt(0)
	; wave barrier
	s_waitcnt lgkmcnt(0)
	s_and_saveexec_b64 s[6:7], vcc
	s_cbranch_execz .LBB72_127
; %bb.120:
	ds_read_b128 v[2:5], v9
	s_and_b64 vcc, exec, s[0:1]
	s_cbranch_vccnz .LBB72_122
; %bb.121:
	scratch_load_dwordx4 v[6:9], v8, off
	s_waitcnt vmcnt(0) lgkmcnt(0)
	v_mul_f64 v[10:11], v[4:5], v[8:9]
	v_mul_f64 v[8:9], v[2:3], v[8:9]
	v_fmac_f64_e32 v[8:9], v[4:5], v[6:7]
	v_fma_f64 v[2:3], v[2:3], v[6:7], -v[10:11]
	v_mov_b64_e32 v[4:5], v[8:9]
.LBB72_122:
	s_and_saveexec_b64 s[0:1], s[2:3]
	s_cbranch_execz .LBB72_126
; %bb.123:
	v_mov_b32_e32 v7, 0
	v_add_u32_e32 v6, 0xa0, v32
	v_add3_u32 v7, v32, v7, 24
	s_mov_b64 s[2:3], 0
.LBB72_124:                             ; =>This Inner Loop Header: Depth=1
	v_add_u32_e32 v8, -8, v7
	scratch_load_dwordx4 v[8:11], v8, off
	ds_read_b128 v[40:43], v6
	v_add_u32_e32 v0, 1, v0
	v_cmp_lt_u32_e32 vcc, 6, v0
	v_add_u32_e32 v6, 16, v6
	v_add_u32_e32 v7, 16, v7
	s_or_b64 s[2:3], vcc, s[2:3]
	s_waitcnt vmcnt(0) lgkmcnt(0)
	v_mul_f64 v[12:13], v[42:43], v[10:11]
	v_mul_f64 v[10:11], v[40:41], v[10:11]
	v_fma_f64 v[12:13], v[40:41], v[8:9], -v[12:13]
	v_fmac_f64_e32 v[10:11], v[42:43], v[8:9]
	v_add_f64 v[2:3], v[2:3], v[12:13]
	v_add_f64 v[4:5], v[4:5], v[10:11]
	s_andn2_b64 exec, exec, s[2:3]
	s_cbranch_execnz .LBB72_124
; %bb.125:
	s_or_b64 exec, exec, s[2:3]
.LBB72_126:
	s_or_b64 exec, exec, s[0:1]
	v_mov_b32_e32 v0, 0
	ds_read_b128 v[40:43], v0 offset:128
	v_mov_b32_e32 v0, 0
	v_add_u32_e32 v10, 0x88, v0
	s_or_b64 s[4:5], s[4:5], exec
	s_waitcnt lgkmcnt(0)
	v_mul_f64 v[8:9], v[4:5], v[42:43]
	v_mul_f64 v[6:7], v[2:3], v[42:43]
	v_fma_f64 v[2:3], v[2:3], v[40:41], -v[8:9]
	v_fmac_f64_e32 v[6:7], v[4:5], v[40:41]
	scratch_store_dwordx2 off, v[2:3], off offset:128
.LBB72_127:
	s_or_b64 exec, exec, s[6:7]
.LBB72_128:
	s_and_saveexec_b64 s[0:1], s[4:5]
	s_cbranch_execz .LBB72_130
; %bb.129:
	scratch_store_dwordx2 v10, v[6:7], off
.LBB72_130:
	s_or_b64 exec, exec, s[0:1]
	scratch_load_dwordx4 v[2:5], off, off
	scratch_load_dwordx4 v[6:9], v33, off
	scratch_load_dwordx4 v[10:13], v36, off
	;; [unrolled: 1-line block ×8, first 2 shown]
	s_waitcnt vmcnt(8)
	global_store_dwordx4 v[14:15], v[2:5], off
	s_waitcnt vmcnt(8)
	global_store_dwordx4 v[16:17], v[6:9], off
	;; [unrolled: 2-line block ×9, first 2 shown]
.LBB72_131:
	s_endpgm
	.section	.rodata,"a",@progbits
	.p2align	6, 0x0
	.amdhsa_kernel _ZN9rocsolver6v33100L18trti2_kernel_smallILi9E19rocblas_complex_numIdEPKPS3_EEv13rocblas_fill_17rocblas_diagonal_T1_iil
		.amdhsa_group_segment_fixed_size 288
		.amdhsa_private_segment_fixed_size 160
		.amdhsa_kernarg_size 32
		.amdhsa_user_sgpr_count 2
		.amdhsa_user_sgpr_dispatch_ptr 0
		.amdhsa_user_sgpr_queue_ptr 0
		.amdhsa_user_sgpr_kernarg_segment_ptr 1
		.amdhsa_user_sgpr_dispatch_id 0
		.amdhsa_user_sgpr_kernarg_preload_length 0
		.amdhsa_user_sgpr_kernarg_preload_offset 0
		.amdhsa_user_sgpr_private_segment_size 0
		.amdhsa_uses_dynamic_stack 0
		.amdhsa_enable_private_segment 1
		.amdhsa_system_sgpr_workgroup_id_x 1
		.amdhsa_system_sgpr_workgroup_id_y 0
		.amdhsa_system_sgpr_workgroup_id_z 0
		.amdhsa_system_sgpr_workgroup_info 0
		.amdhsa_system_vgpr_workitem_id 0
		.amdhsa_next_free_vgpr 64
		.amdhsa_next_free_sgpr 12
		.amdhsa_accum_offset 64
		.amdhsa_reserve_vcc 1
		.amdhsa_float_round_mode_32 0
		.amdhsa_float_round_mode_16_64 0
		.amdhsa_float_denorm_mode_32 3
		.amdhsa_float_denorm_mode_16_64 3
		.amdhsa_dx10_clamp 1
		.amdhsa_ieee_mode 1
		.amdhsa_fp16_overflow 0
		.amdhsa_tg_split 0
		.amdhsa_exception_fp_ieee_invalid_op 0
		.amdhsa_exception_fp_denorm_src 0
		.amdhsa_exception_fp_ieee_div_zero 0
		.amdhsa_exception_fp_ieee_overflow 0
		.amdhsa_exception_fp_ieee_underflow 0
		.amdhsa_exception_fp_ieee_inexact 0
		.amdhsa_exception_int_div_zero 0
	.end_amdhsa_kernel
	.section	.text._ZN9rocsolver6v33100L18trti2_kernel_smallILi9E19rocblas_complex_numIdEPKPS3_EEv13rocblas_fill_17rocblas_diagonal_T1_iil,"axG",@progbits,_ZN9rocsolver6v33100L18trti2_kernel_smallILi9E19rocblas_complex_numIdEPKPS3_EEv13rocblas_fill_17rocblas_diagonal_T1_iil,comdat
.Lfunc_end72:
	.size	_ZN9rocsolver6v33100L18trti2_kernel_smallILi9E19rocblas_complex_numIdEPKPS3_EEv13rocblas_fill_17rocblas_diagonal_T1_iil, .Lfunc_end72-_ZN9rocsolver6v33100L18trti2_kernel_smallILi9E19rocblas_complex_numIdEPKPS3_EEv13rocblas_fill_17rocblas_diagonal_T1_iil
                                        ; -- End function
	.section	.AMDGPU.csdata,"",@progbits
; Kernel info:
; codeLenInByte = 5676
; NumSgprs: 18
; NumVgprs: 64
; NumAgprs: 0
; TotalNumVgprs: 64
; ScratchSize: 160
; MemoryBound: 0
; FloatMode: 240
; IeeeMode: 1
; LDSByteSize: 288 bytes/workgroup (compile time only)
; SGPRBlocks: 2
; VGPRBlocks: 7
; NumSGPRsForWavesPerEU: 18
; NumVGPRsForWavesPerEU: 64
; AccumOffset: 64
; Occupancy: 8
; WaveLimiterHint : 1
; COMPUTE_PGM_RSRC2:SCRATCH_EN: 1
; COMPUTE_PGM_RSRC2:USER_SGPR: 2
; COMPUTE_PGM_RSRC2:TRAP_HANDLER: 0
; COMPUTE_PGM_RSRC2:TGID_X_EN: 1
; COMPUTE_PGM_RSRC2:TGID_Y_EN: 0
; COMPUTE_PGM_RSRC2:TGID_Z_EN: 0
; COMPUTE_PGM_RSRC2:TIDIG_COMP_CNT: 0
; COMPUTE_PGM_RSRC3_GFX90A:ACCUM_OFFSET: 15
; COMPUTE_PGM_RSRC3_GFX90A:TG_SPLIT: 0
	.section	.text._ZN9rocsolver6v33100L18trti2_kernel_smallILi10E19rocblas_complex_numIdEPKPS3_EEv13rocblas_fill_17rocblas_diagonal_T1_iil,"axG",@progbits,_ZN9rocsolver6v33100L18trti2_kernel_smallILi10E19rocblas_complex_numIdEPKPS3_EEv13rocblas_fill_17rocblas_diagonal_T1_iil,comdat
	.globl	_ZN9rocsolver6v33100L18trti2_kernel_smallILi10E19rocblas_complex_numIdEPKPS3_EEv13rocblas_fill_17rocblas_diagonal_T1_iil ; -- Begin function _ZN9rocsolver6v33100L18trti2_kernel_smallILi10E19rocblas_complex_numIdEPKPS3_EEv13rocblas_fill_17rocblas_diagonal_T1_iil
	.p2align	8
	.type	_ZN9rocsolver6v33100L18trti2_kernel_smallILi10E19rocblas_complex_numIdEPKPS3_EEv13rocblas_fill_17rocblas_diagonal_T1_iil,@function
_ZN9rocsolver6v33100L18trti2_kernel_smallILi10E19rocblas_complex_numIdEPKPS3_EEv13rocblas_fill_17rocblas_diagonal_T1_iil: ; @_ZN9rocsolver6v33100L18trti2_kernel_smallILi10E19rocblas_complex_numIdEPKPS3_EEv13rocblas_fill_17rocblas_diagonal_T1_iil
; %bb.0:
	v_cmp_gt_u32_e32 vcc, 10, v0
	s_and_saveexec_b64 s[4:5], vcc
	s_cbranch_execz .LBB73_147
; %bb.1:
	s_load_dwordx2 s[8:9], s[0:1], 0x10
	s_load_dwordx4 s[4:7], s[0:1], 0x0
	s_ashr_i32 s3, s2, 31
	s_lshl_b64 s[0:1], s[2:3], 3
	v_lshlrev_b32_e32 v34, 4, v0
	s_waitcnt lgkmcnt(0)
	s_ashr_i32 s3, s8, 31
	s_add_u32 s0, s6, s0
	s_addc_u32 s1, s7, s1
	s_load_dwordx2 s[0:1], s[0:1], 0x0
	s_mov_b32 s2, s8
	s_lshl_b64 s[2:3], s[2:3], 4
	v_mov_b32_e32 v35, 0
	s_waitcnt lgkmcnt(0)
	s_add_u32 s0, s0, s2
	s_addc_u32 s1, s1, s3
	global_load_dwordx4 v[2:5], v34, s[0:1]
	s_add_i32 s6, s9, s9
	v_add_u32_e32 v6, s6, v0
	v_add_u32_e32 v10, s9, v6
	v_ashrrev_i32_e32 v11, 31, v10
	v_add_u32_e32 v12, s9, v10
	v_lshl_add_u64 v[20:21], v[10:11], 4, s[0:1]
	v_ashrrev_i32_e32 v13, 31, v12
	v_add_u32_e32 v10, s9, v12
	v_lshl_add_u64 v[22:23], v[12:13], 4, s[0:1]
	;; [unrolled: 3-line block ×4, first 2 shown]
	v_ashrrev_i32_e32 v11, 31, v10
	v_add_u32_e32 v12, s9, v10
	s_mov_b32 s2, s9
	s_ashr_i32 s3, s9, 31
	v_lshl_add_u64 v[14:15], s[0:1], 0, v[34:35]
	v_lshl_add_u64 v[28:29], v[10:11], 4, s[0:1]
	v_add_u32_e32 v10, s9, v12
	v_lshl_add_u64 v[16:17], s[2:3], 4, v[14:15]
	v_ashrrev_i32_e32 v7, 31, v6
	v_ashrrev_i32_e32 v11, 31, v10
	v_lshl_add_u64 v[18:19], v[6:7], 4, s[0:1]
	global_load_dwordx4 v[6:9], v[16:17], off
	global_load_dwordx4 v[36:39], v[18:19], off
	;; [unrolled: 1-line block ×6, first 2 shown]
	v_ashrrev_i32_e32 v13, 31, v12
	v_lshl_add_u64 v[32:33], v[10:11], 4, s[0:1]
	v_lshl_add_u64 v[30:31], v[12:13], 4, s[0:1]
	global_load_dwordx4 v[56:59], v[32:33], off
	s_cmpk_lg_i32 s5, 0x84
	v_mov_b32_e32 v12, 0
	s_cselect_b64 s[6:7], -1, 0
	s_cmpk_eq_i32 s5, 0x84
	s_waitcnt vmcnt(7)
	scratch_store_dwordx4 off, v[2:5], off
	global_load_dwordx4 v[2:5], v[28:29], off
	s_nop 0
	global_load_dwordx4 v[60:63], v[30:31], off
	s_waitcnt vmcnt(9)
	scratch_store_dwordx4 off, v[6:9], off offset:16
	s_waitcnt vmcnt(9)
	scratch_store_dwordx4 off, v[36:39], off offset:32
	;; [unrolled: 2-line block ×8, first 2 shown]
	scratch_store_dwordx4 off, v[56:59], off offset:144
	s_cbranch_scc1 .LBB73_7
; %bb.2:
	scratch_load_dwordx4 v[2:5], v34, off
                                        ; implicit-def: $vgpr10_vgpr11
	s_waitcnt vmcnt(0)
	v_xor_b32_e32 v1, 0x80000000, v3
	v_cmp_gt_f64_e32 vcc, 0, v[2:3]
	v_xor_b32_e32 v8, 0x80000000, v5
	v_mov_b32_e32 v6, v2
	v_cndmask_b32_e32 v7, v3, v1, vcc
	v_cmp_gt_f64_e32 vcc, 0, v[4:5]
	s_nop 1
	v_cndmask_b32_e32 v9, v5, v8, vcc
	v_mov_b32_e32 v8, v4
	v_cmp_ngt_f64_e32 vcc, v[6:7], v[8:9]
                                        ; implicit-def: $vgpr6_vgpr7
	s_and_saveexec_b64 s[0:1], vcc
	s_xor_b64 s[0:1], exec, s[0:1]
	s_cbranch_execz .LBB73_4
; %bb.3:
	v_div_scale_f64 v[6:7], s[2:3], v[4:5], v[4:5], v[2:3]
	v_rcp_f64_e32 v[8:9], v[6:7]
	v_div_scale_f64 v[10:11], vcc, v[2:3], v[4:5], v[2:3]
	v_fma_f64 v[36:37], -v[6:7], v[8:9], 1.0
	v_fmac_f64_e32 v[8:9], v[8:9], v[36:37]
	v_fma_f64 v[36:37], -v[6:7], v[8:9], 1.0
	v_fmac_f64_e32 v[8:9], v[8:9], v[36:37]
	v_mul_f64 v[36:37], v[10:11], v[8:9]
	v_fma_f64 v[6:7], -v[6:7], v[36:37], v[10:11]
	v_div_fmas_f64 v[6:7], v[6:7], v[8:9], v[36:37]
	v_div_fixup_f64 v[6:7], v[6:7], v[4:5], v[2:3]
	v_fmac_f64_e32 v[4:5], v[2:3], v[6:7]
	v_div_scale_f64 v[2:3], s[2:3], v[4:5], v[4:5], 1.0
	v_rcp_f64_e32 v[8:9], v[2:3]
	s_nop 0
	v_fma_f64 v[10:11], -v[2:3], v[8:9], 1.0
	v_fmac_f64_e32 v[8:9], v[8:9], v[10:11]
	v_fma_f64 v[10:11], -v[2:3], v[8:9], 1.0
	v_fmac_f64_e32 v[8:9], v[8:9], v[10:11]
	v_div_scale_f64 v[10:11], vcc, 1.0, v[4:5], 1.0
	v_mul_f64 v[36:37], v[10:11], v[8:9]
	v_fma_f64 v[2:3], -v[2:3], v[36:37], v[10:11]
	s_nop 1
	v_div_fmas_f64 v[2:3], v[2:3], v[8:9], v[36:37]
	v_div_fixup_f64 v[8:9], v[2:3], v[4:5], 1.0
	v_mul_f64 v[6:7], v[6:7], v[8:9]
	v_xor_b32_e32 v9, 0x80000000, v9
	v_xor_b32_e32 v11, 0x80000000, v7
	v_mov_b32_e32 v10, v6
                                        ; implicit-def: $vgpr2_vgpr3
.LBB73_4:
	s_or_saveexec_b64 s[0:1], s[0:1]
	v_add_u32_e32 v1, 0, v34
	s_xor_b64 exec, exec, s[0:1]
	s_cbranch_execz .LBB73_6
; %bb.5:
	v_div_scale_f64 v[6:7], s[2:3], v[2:3], v[2:3], v[4:5]
	v_rcp_f64_e32 v[8:9], v[6:7]
	v_div_scale_f64 v[10:11], vcc, v[4:5], v[2:3], v[4:5]
	v_fma_f64 v[36:37], -v[6:7], v[8:9], 1.0
	v_fmac_f64_e32 v[8:9], v[8:9], v[36:37]
	v_fma_f64 v[36:37], -v[6:7], v[8:9], 1.0
	v_fmac_f64_e32 v[8:9], v[8:9], v[36:37]
	v_mul_f64 v[36:37], v[10:11], v[8:9]
	v_fma_f64 v[6:7], -v[6:7], v[36:37], v[10:11]
	v_div_fmas_f64 v[6:7], v[6:7], v[8:9], v[36:37]
	v_div_fixup_f64 v[8:9], v[6:7], v[2:3], v[4:5]
	v_fmac_f64_e32 v[2:3], v[4:5], v[8:9]
	v_div_scale_f64 v[4:5], s[2:3], v[2:3], v[2:3], 1.0
	v_rcp_f64_e32 v[6:7], v[4:5]
	s_nop 0
	v_fma_f64 v[10:11], -v[4:5], v[6:7], 1.0
	v_fmac_f64_e32 v[6:7], v[6:7], v[10:11]
	v_fma_f64 v[10:11], -v[4:5], v[6:7], 1.0
	v_fmac_f64_e32 v[6:7], v[6:7], v[10:11]
	v_div_scale_f64 v[10:11], vcc, 1.0, v[2:3], 1.0
	v_mul_f64 v[36:37], v[10:11], v[6:7]
	v_fma_f64 v[4:5], -v[4:5], v[36:37], v[10:11]
	s_nop 1
	v_div_fmas_f64 v[4:5], v[4:5], v[6:7], v[36:37]
	v_div_fixup_f64 v[6:7], v[4:5], v[2:3], 1.0
	v_xor_b32_e32 v11, 0x80000000, v7
	v_mov_b32_e32 v10, v6
	v_mul_f64 v[8:9], v[8:9], -v[6:7]
.LBB73_6:
	s_or_b64 exec, exec, s[0:1]
	scratch_store_dwordx4 v1, v[6:9], off
	s_nop 1
	v_xor_b32_e32 v9, 0x80000000, v9
	s_branch .LBB73_8
.LBB73_7:
	v_mov_b64_e32 v[8:9], 0
	v_mov_b64_e32 v[10:11], -1.0
.LBB73_8:
	v_add_u32_e32 v37, 16, v12
	v_add_u32_e32 v35, 32, v12
	;; [unrolled: 1-line block ×9, first 2 shown]
	v_mov_b32_e32 v12, v8
	v_mov_b32_e32 v13, v9
	s_cmpk_eq_i32 s4, 0x79
	v_add_u32_e32 v9, 0xa0, v34
	v_add_u32_e32 v8, 0, v34
	ds_write_b128 v34, v[10:13]
	s_cbranch_scc1 .LBB73_76
; %bb.9:
	scratch_load_dwordx4 v[2:5], v41, off
	v_cmp_eq_u32_e64 s[0:1], 9, v0
	s_waitcnt vmcnt(0)
	ds_write_b128 v9, v[2:5]
	s_waitcnt lgkmcnt(0)
	; wave barrier
	s_waitcnt lgkmcnt(0)
	s_and_saveexec_b64 s[2:3], s[0:1]
	s_cbranch_execz .LBB73_13
; %bb.10:
	ds_read_b128 v[2:5], v9
	s_andn2_b64 vcc, exec, s[6:7]
	s_cbranch_vccnz .LBB73_12
; %bb.11:
	scratch_load_dwordx4 v[10:13], v8, off
	s_waitcnt vmcnt(0) lgkmcnt(0)
	v_mul_f64 v[6:7], v[4:5], v[12:13]
	v_mul_f64 v[12:13], v[2:3], v[12:13]
	v_fmac_f64_e32 v[12:13], v[4:5], v[10:11]
	v_fma_f64 v[2:3], v[2:3], v[10:11], -v[6:7]
	v_mov_b64_e32 v[4:5], v[12:13]
.LBB73_12:
	v_mov_b32_e32 v6, 0
	ds_read_b128 v[10:13], v6 offset:128
	s_waitcnt lgkmcnt(0)
	v_mul_f64 v[6:7], v[4:5], v[12:13]
	v_mul_f64 v[46:47], v[2:3], v[12:13]
	v_fma_f64 v[44:45], v[2:3], v[10:11], -v[6:7]
	v_fmac_f64_e32 v[46:47], v[4:5], v[10:11]
	scratch_store_dwordx4 off, v[44:47], off offset:128
.LBB73_13:
	s_or_b64 exec, exec, s[2:3]
	scratch_load_dwordx4 v[2:5], v40, off
	v_cmp_lt_u32_e64 s[2:3], 7, v0
	s_waitcnt vmcnt(0)
	ds_write_b128 v9, v[2:5]
	s_waitcnt lgkmcnt(0)
	; wave barrier
	s_waitcnt lgkmcnt(0)
	s_and_saveexec_b64 s[4:5], s[2:3]
	s_cbranch_execz .LBB73_19
; %bb.14:
	ds_read_b128 v[2:5], v9
	s_andn2_b64 vcc, exec, s[6:7]
	s_cbranch_vccnz .LBB73_16
; %bb.15:
	scratch_load_dwordx4 v[10:13], v8, off
	s_waitcnt vmcnt(0) lgkmcnt(0)
	v_mul_f64 v[6:7], v[4:5], v[12:13]
	v_mul_f64 v[12:13], v[2:3], v[12:13]
	v_fmac_f64_e32 v[12:13], v[4:5], v[10:11]
	v_fma_f64 v[2:3], v[2:3], v[10:11], -v[6:7]
	v_mov_b64_e32 v[4:5], v[12:13]
.LBB73_16:
	s_and_saveexec_b64 s[8:9], s[0:1]
	s_cbranch_execz .LBB73_18
; %bb.17:
	scratch_load_dwordx4 v[10:13], off, off offset:128
	v_mov_b32_e32 v6, 0
	ds_read_b128 v[44:47], v6 offset:288
	s_waitcnt vmcnt(0) lgkmcnt(0)
	v_mul_f64 v[6:7], v[44:45], v[12:13]
	v_mul_f64 v[12:13], v[46:47], v[12:13]
	v_fmac_f64_e32 v[6:7], v[46:47], v[10:11]
	v_fma_f64 v[10:11], v[44:45], v[10:11], -v[12:13]
	v_add_f64 v[4:5], v[4:5], v[6:7]
	v_add_f64 v[2:3], v[2:3], v[10:11]
.LBB73_18:
	s_or_b64 exec, exec, s[8:9]
	v_mov_b32_e32 v6, 0
	ds_read_b128 v[10:13], v6 offset:112
	s_waitcnt lgkmcnt(0)
	v_mul_f64 v[6:7], v[4:5], v[12:13]
	v_mul_f64 v[46:47], v[2:3], v[12:13]
	v_fma_f64 v[44:45], v[2:3], v[10:11], -v[6:7]
	v_fmac_f64_e32 v[46:47], v[4:5], v[10:11]
	scratch_store_dwordx4 off, v[44:47], off offset:112
.LBB73_19:
	s_or_b64 exec, exec, s[4:5]
	scratch_load_dwordx4 v[2:5], v42, off
	v_cmp_lt_u32_e64 s[0:1], 6, v0
	s_waitcnt vmcnt(0)
	ds_write_b128 v9, v[2:5]
	s_waitcnt lgkmcnt(0)
	; wave barrier
	s_waitcnt lgkmcnt(0)
	s_and_saveexec_b64 s[4:5], s[0:1]
	s_cbranch_execz .LBB73_27
; %bb.20:
	ds_read_b128 v[2:5], v9
	s_andn2_b64 vcc, exec, s[6:7]
	s_cbranch_vccnz .LBB73_22
; %bb.21:
	scratch_load_dwordx4 v[10:13], v8, off
	s_waitcnt vmcnt(0) lgkmcnt(0)
	v_mul_f64 v[6:7], v[4:5], v[12:13]
	v_mul_f64 v[12:13], v[2:3], v[12:13]
	v_fmac_f64_e32 v[12:13], v[4:5], v[10:11]
	v_fma_f64 v[2:3], v[2:3], v[10:11], -v[6:7]
	v_mov_b64_e32 v[4:5], v[12:13]
.LBB73_22:
	s_and_saveexec_b64 s[8:9], s[2:3]
	s_cbranch_execz .LBB73_26
; %bb.23:
	v_mov_b32_e32 v7, 0
	v_add_u32_e32 v6, -7, v0
	v_add_u32_e32 v7, 0x78, v7
	s_movk_i32 s10, 0x110
	s_mov_b64 s[2:3], 0
.LBB73_24:                              ; =>This Inner Loop Header: Depth=1
	v_add_u32_e32 v10, -8, v7
	scratch_load_dwordx4 v[10:13], v10, off
	v_mov_b32_e32 v43, s10
	ds_read_b128 v[44:47], v43
	v_add_u32_e32 v6, -1, v6
	s_add_i32 s10, s10, 16
	v_cmp_eq_u32_e32 vcc, 0, v6
	v_add_u32_e32 v7, 16, v7
	s_or_b64 s[2:3], vcc, s[2:3]
	s_waitcnt vmcnt(0) lgkmcnt(0)
	v_mul_f64 v[48:49], v[46:47], v[12:13]
	v_mul_f64 v[12:13], v[44:45], v[12:13]
	v_fma_f64 v[44:45], v[44:45], v[10:11], -v[48:49]
	v_fmac_f64_e32 v[12:13], v[46:47], v[10:11]
	v_add_f64 v[2:3], v[2:3], v[44:45]
	v_add_f64 v[4:5], v[4:5], v[12:13]
	s_andn2_b64 exec, exec, s[2:3]
	s_cbranch_execnz .LBB73_24
; %bb.25:
	s_or_b64 exec, exec, s[2:3]
.LBB73_26:
	s_or_b64 exec, exec, s[8:9]
	v_mov_b32_e32 v6, 0
	ds_read_b128 v[10:13], v6 offset:96
	s_waitcnt lgkmcnt(0)
	v_mul_f64 v[6:7], v[4:5], v[12:13]
	v_mul_f64 v[46:47], v[2:3], v[12:13]
	v_fma_f64 v[44:45], v[2:3], v[10:11], -v[6:7]
	v_fmac_f64_e32 v[46:47], v[4:5], v[10:11]
	scratch_store_dwordx4 off, v[44:47], off offset:96
.LBB73_27:
	s_or_b64 exec, exec, s[4:5]
	scratch_load_dwordx4 v[2:5], v38, off
	v_cmp_lt_u32_e64 s[2:3], 5, v0
	s_waitcnt vmcnt(0)
	ds_write_b128 v9, v[2:5]
	s_waitcnt lgkmcnt(0)
	; wave barrier
	s_waitcnt lgkmcnt(0)
	s_and_saveexec_b64 s[4:5], s[2:3]
	s_cbranch_execz .LBB73_35
; %bb.28:
	ds_read_b128 v[2:5], v9
	s_andn2_b64 vcc, exec, s[6:7]
	s_cbranch_vccnz .LBB73_30
; %bb.29:
	scratch_load_dwordx4 v[10:13], v8, off
	s_waitcnt vmcnt(0) lgkmcnt(0)
	v_mul_f64 v[6:7], v[4:5], v[12:13]
	v_mul_f64 v[12:13], v[2:3], v[12:13]
	v_fmac_f64_e32 v[12:13], v[4:5], v[10:11]
	v_fma_f64 v[2:3], v[2:3], v[10:11], -v[6:7]
	v_mov_b64_e32 v[4:5], v[12:13]
.LBB73_30:
	s_and_saveexec_b64 s[8:9], s[0:1]
	s_cbranch_execz .LBB73_34
; %bb.31:
	v_mov_b32_e32 v7, 0
	v_add_u32_e32 v6, -6, v0
	v_add_u32_e32 v7, 0x68, v7
	s_movk_i32 s10, 0x100
	s_mov_b64 s[0:1], 0
.LBB73_32:                              ; =>This Inner Loop Header: Depth=1
	v_add_u32_e32 v10, -8, v7
	scratch_load_dwordx4 v[10:13], v10, off
	v_mov_b32_e32 v43, s10
	ds_read_b128 v[44:47], v43
	v_add_u32_e32 v6, -1, v6
	s_add_i32 s10, s10, 16
	v_cmp_eq_u32_e32 vcc, 0, v6
	v_add_u32_e32 v7, 16, v7
	s_or_b64 s[0:1], vcc, s[0:1]
	s_waitcnt vmcnt(0) lgkmcnt(0)
	v_mul_f64 v[48:49], v[46:47], v[12:13]
	v_mul_f64 v[12:13], v[44:45], v[12:13]
	v_fma_f64 v[44:45], v[44:45], v[10:11], -v[48:49]
	v_fmac_f64_e32 v[12:13], v[46:47], v[10:11]
	v_add_f64 v[2:3], v[2:3], v[44:45]
	v_add_f64 v[4:5], v[4:5], v[12:13]
	s_andn2_b64 exec, exec, s[0:1]
	s_cbranch_execnz .LBB73_32
; %bb.33:
	s_or_b64 exec, exec, s[0:1]
.LBB73_34:
	s_or_b64 exec, exec, s[8:9]
	v_mov_b32_e32 v6, 0
	ds_read_b128 v[10:13], v6 offset:80
	s_waitcnt lgkmcnt(0)
	v_mul_f64 v[6:7], v[4:5], v[12:13]
	v_mul_f64 v[46:47], v[2:3], v[12:13]
	v_fma_f64 v[44:45], v[2:3], v[10:11], -v[6:7]
	v_fmac_f64_e32 v[46:47], v[4:5], v[10:11]
	scratch_store_dwordx4 off, v[44:47], off offset:80
.LBB73_35:
	;; [unrolled: 63-line block ×6, first 2 shown]
	s_or_b64 exec, exec, s[2:3]
	scratch_load_dwordx4 v[2:5], off, off
	v_cmp_ne_u32_e32 vcc, 0, v0
	s_mov_b64 s[2:3], 0
	s_mov_b64 s[4:5], 0
                                        ; implicit-def: $vgpr6_vgpr7
                                        ; implicit-def: $vgpr10
	s_waitcnt vmcnt(0)
	ds_write_b128 v9, v[2:5]
	s_waitcnt lgkmcnt(0)
	; wave barrier
	s_waitcnt lgkmcnt(0)
	s_and_saveexec_b64 s[8:9], vcc
	s_cbranch_execz .LBB73_75
; %bb.68:
	ds_read_b128 v[2:5], v9
	s_andn2_b64 vcc, exec, s[6:7]
	s_cbranch_vccnz .LBB73_70
; %bb.69:
	scratch_load_dwordx4 v[10:13], v8, off
	s_waitcnt vmcnt(0) lgkmcnt(0)
	v_mul_f64 v[6:7], v[4:5], v[12:13]
	v_mul_f64 v[12:13], v[2:3], v[12:13]
	v_fmac_f64_e32 v[12:13], v[4:5], v[10:11]
	v_fma_f64 v[2:3], v[2:3], v[10:11], -v[6:7]
	v_mov_b64_e32 v[4:5], v[12:13]
.LBB73_70:
	s_and_saveexec_b64 s[4:5], s[0:1]
	s_cbranch_execz .LBB73_74
; %bb.71:
	v_mov_b32_e32 v7, 0
	v_add_u32_e32 v6, -1, v0
	v_add_u32_e32 v7, 24, v7
	s_movk_i32 s10, 0xb0
	s_mov_b64 s[0:1], 0
.LBB73_72:                              ; =>This Inner Loop Header: Depth=1
	v_add_u32_e32 v10, -8, v7
	scratch_load_dwordx4 v[10:13], v10, off
	v_mov_b32_e32 v43, s10
	ds_read_b128 v[44:47], v43
	v_add_u32_e32 v6, -1, v6
	s_add_i32 s10, s10, 16
	v_cmp_eq_u32_e32 vcc, 0, v6
	v_add_u32_e32 v7, 16, v7
	s_or_b64 s[0:1], vcc, s[0:1]
	s_waitcnt vmcnt(0) lgkmcnt(0)
	v_mul_f64 v[48:49], v[46:47], v[12:13]
	v_mul_f64 v[12:13], v[44:45], v[12:13]
	v_fma_f64 v[44:45], v[44:45], v[10:11], -v[48:49]
	v_fmac_f64_e32 v[12:13], v[46:47], v[10:11]
	v_add_f64 v[2:3], v[2:3], v[44:45]
	v_add_f64 v[4:5], v[4:5], v[12:13]
	s_andn2_b64 exec, exec, s[0:1]
	s_cbranch_execnz .LBB73_72
; %bb.73:
	s_or_b64 exec, exec, s[0:1]
.LBB73_74:
	s_or_b64 exec, exec, s[4:5]
	v_mov_b32_e32 v6, 0
	ds_read_b128 v[44:47], v6
	v_mov_b32_e32 v6, 0
	v_or_b32_e32 v10, 8, v6
	s_mov_b64 s[4:5], exec
	s_waitcnt lgkmcnt(0)
	v_mul_f64 v[12:13], v[4:5], v[46:47]
	v_mul_f64 v[6:7], v[2:3], v[46:47]
	v_fma_f64 v[2:3], v[2:3], v[44:45], -v[12:13]
	v_fmac_f64_e32 v[6:7], v[4:5], v[44:45]
	scratch_store_dwordx2 off, v[2:3], off
.LBB73_75:
	s_or_b64 exec, exec, s[8:9]
	s_and_b64 vcc, exec, s[2:3]
	s_cbranch_vccnz .LBB73_77
	s_branch .LBB73_144
.LBB73_76:
	s_mov_b64 s[4:5], 0
                                        ; implicit-def: $vgpr6_vgpr7
                                        ; implicit-def: $vgpr10
	s_cbranch_execz .LBB73_144
.LBB73_77:
	scratch_load_dwordx4 v[2:5], v37, off
	v_cndmask_b32_e64 v6, 0, 1, s[6:7]
	v_cmp_eq_u32_e64 s[2:3], 0, v0
	v_cmp_ne_u32_e64 s[0:1], 1, v6
	s_waitcnt vmcnt(0)
	ds_write_b128 v9, v[2:5]
	s_waitcnt lgkmcnt(0)
	; wave barrier
	s_waitcnt lgkmcnt(0)
	s_and_saveexec_b64 s[6:7], s[2:3]
	s_cbranch_execz .LBB73_81
; %bb.78:
	ds_read_b128 v[2:5], v9
	s_and_b64 vcc, exec, s[0:1]
	s_cbranch_vccnz .LBB73_80
; %bb.79:
	scratch_load_dwordx4 v[10:13], v8, off
	s_waitcnt vmcnt(0) lgkmcnt(0)
	v_mul_f64 v[6:7], v[4:5], v[12:13]
	v_mul_f64 v[12:13], v[2:3], v[12:13]
	v_fmac_f64_e32 v[12:13], v[4:5], v[10:11]
	v_fma_f64 v[2:3], v[2:3], v[10:11], -v[6:7]
	v_mov_b64_e32 v[4:5], v[12:13]
.LBB73_80:
	v_mov_b32_e32 v6, 0
	ds_read_b128 v[10:13], v6 offset:16
	s_waitcnt lgkmcnt(0)
	v_mul_f64 v[6:7], v[4:5], v[12:13]
	v_mul_f64 v[46:47], v[2:3], v[12:13]
	v_fma_f64 v[44:45], v[2:3], v[10:11], -v[6:7]
	v_fmac_f64_e32 v[46:47], v[4:5], v[10:11]
	scratch_store_dwordx4 off, v[44:47], off offset:16
.LBB73_81:
	s_or_b64 exec, exec, s[6:7]
	scratch_load_dwordx4 v[2:5], v35, off
	v_cmp_gt_u32_e32 vcc, 2, v0
	s_waitcnt vmcnt(0)
	ds_write_b128 v9, v[2:5]
	s_waitcnt lgkmcnt(0)
	; wave barrier
	s_waitcnt lgkmcnt(0)
	s_and_saveexec_b64 s[6:7], vcc
	s_cbranch_execz .LBB73_87
; %bb.82:
	ds_read_b128 v[2:5], v9
	s_and_b64 vcc, exec, s[0:1]
	s_cbranch_vccnz .LBB73_84
; %bb.83:
	scratch_load_dwordx4 v[10:13], v8, off
	s_waitcnt vmcnt(0) lgkmcnt(0)
	v_mul_f64 v[6:7], v[4:5], v[12:13]
	v_mul_f64 v[12:13], v[2:3], v[12:13]
	v_fmac_f64_e32 v[12:13], v[4:5], v[10:11]
	v_fma_f64 v[2:3], v[2:3], v[10:11], -v[6:7]
	v_mov_b64_e32 v[4:5], v[12:13]
.LBB73_84:
	s_and_saveexec_b64 s[8:9], s[2:3]
	s_cbranch_execz .LBB73_86
; %bb.85:
	scratch_load_dwordx4 v[10:13], v8, off offset:16
	ds_read_b128 v[44:47], v9 offset:16
	s_waitcnt vmcnt(0) lgkmcnt(0)
	v_mul_f64 v[6:7], v[46:47], v[12:13]
	v_mul_f64 v[12:13], v[44:45], v[12:13]
	v_fma_f64 v[6:7], v[44:45], v[10:11], -v[6:7]
	v_fmac_f64_e32 v[12:13], v[46:47], v[10:11]
	v_add_f64 v[2:3], v[2:3], v[6:7]
	v_add_f64 v[4:5], v[4:5], v[12:13]
.LBB73_86:
	s_or_b64 exec, exec, s[8:9]
	v_mov_b32_e32 v6, 0
	ds_read_b128 v[10:13], v6 offset:32
	s_waitcnt lgkmcnt(0)
	v_mul_f64 v[6:7], v[4:5], v[12:13]
	v_mul_f64 v[46:47], v[2:3], v[12:13]
	v_fma_f64 v[44:45], v[2:3], v[10:11], -v[6:7]
	v_fmac_f64_e32 v[46:47], v[4:5], v[10:11]
	scratch_store_dwordx4 off, v[44:47], off offset:32
.LBB73_87:
	s_or_b64 exec, exec, s[6:7]
	scratch_load_dwordx4 v[2:5], v36, off
	v_cmp_gt_u32_e32 vcc, 3, v0
	s_waitcnt vmcnt(0)
	ds_write_b128 v9, v[2:5]
	s_waitcnt lgkmcnt(0)
	; wave barrier
	s_waitcnt lgkmcnt(0)
	s_and_saveexec_b64 s[6:7], vcc
	s_cbranch_execz .LBB73_95
; %bb.88:
	ds_read_b128 v[2:5], v9
	s_and_b64 vcc, exec, s[0:1]
	s_cbranch_vccnz .LBB73_90
; %bb.89:
	scratch_load_dwordx4 v[10:13], v8, off
	s_waitcnt vmcnt(0) lgkmcnt(0)
	v_mul_f64 v[6:7], v[4:5], v[12:13]
	v_mul_f64 v[12:13], v[2:3], v[12:13]
	v_fmac_f64_e32 v[12:13], v[4:5], v[10:11]
	v_fma_f64 v[2:3], v[2:3], v[10:11], -v[6:7]
	v_mov_b64_e32 v[4:5], v[12:13]
.LBB73_90:
	v_cmp_ne_u32_e32 vcc, 2, v0
	s_and_saveexec_b64 s[8:9], vcc
	s_cbranch_execz .LBB73_94
; %bb.91:
	scratch_load_dwordx4 v[10:13], v8, off offset:16
	ds_read_b128 v[44:47], v9 offset:16
	s_waitcnt vmcnt(0) lgkmcnt(0)
	v_mul_f64 v[6:7], v[46:47], v[12:13]
	v_mul_f64 v[12:13], v[44:45], v[12:13]
	v_fma_f64 v[6:7], v[44:45], v[10:11], -v[6:7]
	v_fmac_f64_e32 v[12:13], v[46:47], v[10:11]
	v_add_f64 v[2:3], v[2:3], v[6:7]
	v_add_f64 v[4:5], v[4:5], v[12:13]
	s_and_saveexec_b64 s[10:11], s[2:3]
	s_cbranch_execz .LBB73_93
; %bb.92:
	scratch_load_dwordx4 v[10:13], off, off offset:32
	v_mov_b32_e32 v6, 0
	ds_read_b128 v[44:47], v6 offset:192
	s_waitcnt vmcnt(0) lgkmcnt(0)
	v_mul_f64 v[6:7], v[44:45], v[12:13]
	v_mul_f64 v[12:13], v[46:47], v[12:13]
	v_fmac_f64_e32 v[6:7], v[46:47], v[10:11]
	v_fma_f64 v[10:11], v[44:45], v[10:11], -v[12:13]
	v_add_f64 v[4:5], v[4:5], v[6:7]
	v_add_f64 v[2:3], v[2:3], v[10:11]
.LBB73_93:
	s_or_b64 exec, exec, s[10:11]
.LBB73_94:
	s_or_b64 exec, exec, s[8:9]
	v_mov_b32_e32 v6, 0
	ds_read_b128 v[10:13], v6 offset:48
	s_waitcnt lgkmcnt(0)
	v_mul_f64 v[6:7], v[4:5], v[12:13]
	v_mul_f64 v[46:47], v[2:3], v[12:13]
	v_fma_f64 v[44:45], v[2:3], v[10:11], -v[6:7]
	v_fmac_f64_e32 v[46:47], v[4:5], v[10:11]
	scratch_store_dwordx4 off, v[44:47], off offset:48
.LBB73_95:
	s_or_b64 exec, exec, s[6:7]
	scratch_load_dwordx4 v[2:5], v1, off
	v_cmp_gt_u32_e32 vcc, 4, v0
	s_waitcnt vmcnt(0)
	ds_write_b128 v9, v[2:5]
	s_waitcnt lgkmcnt(0)
	; wave barrier
	s_waitcnt lgkmcnt(0)
	s_and_saveexec_b64 s[2:3], vcc
	s_cbranch_execz .LBB73_103
; %bb.96:
	ds_read_b128 v[2:5], v9
	s_and_b64 vcc, exec, s[0:1]
	s_cbranch_vccnz .LBB73_98
; %bb.97:
	scratch_load_dwordx4 v[10:13], v8, off
	s_waitcnt vmcnt(0) lgkmcnt(0)
	v_mul_f64 v[6:7], v[4:5], v[12:13]
	v_mul_f64 v[12:13], v[2:3], v[12:13]
	v_fmac_f64_e32 v[12:13], v[4:5], v[10:11]
	v_fma_f64 v[2:3], v[2:3], v[10:11], -v[6:7]
	v_mov_b64_e32 v[4:5], v[12:13]
.LBB73_98:
	v_cmp_ne_u32_e32 vcc, 3, v0
	s_and_saveexec_b64 s[6:7], vcc
	s_cbranch_execz .LBB73_102
; %bb.99:
	v_mov_b32_e32 v7, 0
	v_add_u32_e32 v6, 0xb0, v34
	v_add3_u32 v7, v34, v7, 24
	s_mov_b64 s[8:9], 0
	v_mov_b32_e32 v10, v0
.LBB73_100:                             ; =>This Inner Loop Header: Depth=1
	v_add_u32_e32 v11, -8, v7
	scratch_load_dwordx4 v[44:47], v11, off
	ds_read_b128 v[48:51], v6
	v_add_u32_e32 v10, 1, v10
	v_cmp_lt_u32_e32 vcc, 2, v10
	v_add_u32_e32 v6, 16, v6
	v_add_u32_e32 v7, 16, v7
	s_or_b64 s[8:9], vcc, s[8:9]
	s_waitcnt vmcnt(0) lgkmcnt(0)
	v_mul_f64 v[12:13], v[50:51], v[46:47]
	v_mul_f64 v[46:47], v[48:49], v[46:47]
	v_fma_f64 v[12:13], v[48:49], v[44:45], -v[12:13]
	v_fmac_f64_e32 v[46:47], v[50:51], v[44:45]
	v_add_f64 v[2:3], v[2:3], v[12:13]
	v_add_f64 v[4:5], v[4:5], v[46:47]
	s_andn2_b64 exec, exec, s[8:9]
	s_cbranch_execnz .LBB73_100
; %bb.101:
	s_or_b64 exec, exec, s[8:9]
.LBB73_102:
	s_or_b64 exec, exec, s[6:7]
	v_mov_b32_e32 v6, 0
	ds_read_b128 v[10:13], v6 offset:64
	s_waitcnt lgkmcnt(0)
	v_mul_f64 v[6:7], v[4:5], v[12:13]
	v_mul_f64 v[46:47], v[2:3], v[12:13]
	v_fma_f64 v[44:45], v[2:3], v[10:11], -v[6:7]
	v_fmac_f64_e32 v[46:47], v[4:5], v[10:11]
	scratch_store_dwordx4 off, v[44:47], off offset:64
.LBB73_103:
	s_or_b64 exec, exec, s[2:3]
	scratch_load_dwordx4 v[2:5], v38, off
	v_cmp_gt_u32_e32 vcc, 5, v0
	s_waitcnt vmcnt(0)
	ds_write_b128 v9, v[2:5]
	s_waitcnt lgkmcnt(0)
	; wave barrier
	s_waitcnt lgkmcnt(0)
	s_and_saveexec_b64 s[2:3], vcc
	s_cbranch_execz .LBB73_111
; %bb.104:
	ds_read_b128 v[2:5], v9
	s_and_b64 vcc, exec, s[0:1]
	s_cbranch_vccnz .LBB73_106
; %bb.105:
	scratch_load_dwordx4 v[10:13], v8, off
	s_waitcnt vmcnt(0) lgkmcnt(0)
	v_mul_f64 v[6:7], v[4:5], v[12:13]
	v_mul_f64 v[12:13], v[2:3], v[12:13]
	v_fmac_f64_e32 v[12:13], v[4:5], v[10:11]
	v_fma_f64 v[2:3], v[2:3], v[10:11], -v[6:7]
	v_mov_b64_e32 v[4:5], v[12:13]
.LBB73_106:
	v_cmp_ne_u32_e32 vcc, 4, v0
	s_and_saveexec_b64 s[6:7], vcc
	s_cbranch_execz .LBB73_110
; %bb.107:
	v_mov_b32_e32 v7, 0
	v_add_u32_e32 v6, 0xb0, v34
	v_add3_u32 v7, v34, v7, 24
	s_mov_b64 s[8:9], 0
	v_mov_b32_e32 v10, v0
.LBB73_108:                             ; =>This Inner Loop Header: Depth=1
	v_add_u32_e32 v11, -8, v7
	scratch_load_dwordx4 v[44:47], v11, off
	ds_read_b128 v[48:51], v6
	v_add_u32_e32 v10, 1, v10
	v_cmp_lt_u32_e32 vcc, 3, v10
	v_add_u32_e32 v6, 16, v6
	v_add_u32_e32 v7, 16, v7
	s_or_b64 s[8:9], vcc, s[8:9]
	s_waitcnt vmcnt(0) lgkmcnt(0)
	v_mul_f64 v[12:13], v[50:51], v[46:47]
	v_mul_f64 v[46:47], v[48:49], v[46:47]
	v_fma_f64 v[12:13], v[48:49], v[44:45], -v[12:13]
	v_fmac_f64_e32 v[46:47], v[50:51], v[44:45]
	v_add_f64 v[2:3], v[2:3], v[12:13]
	v_add_f64 v[4:5], v[4:5], v[46:47]
	s_andn2_b64 exec, exec, s[8:9]
	s_cbranch_execnz .LBB73_108
; %bb.109:
	s_or_b64 exec, exec, s[8:9]
.LBB73_110:
	s_or_b64 exec, exec, s[6:7]
	v_mov_b32_e32 v6, 0
	ds_read_b128 v[10:13], v6 offset:80
	s_waitcnt lgkmcnt(0)
	v_mul_f64 v[6:7], v[4:5], v[12:13]
	v_mul_f64 v[46:47], v[2:3], v[12:13]
	v_fma_f64 v[44:45], v[2:3], v[10:11], -v[6:7]
	v_fmac_f64_e32 v[46:47], v[4:5], v[10:11]
	scratch_store_dwordx4 off, v[44:47], off offset:80
.LBB73_111:
	;; [unrolled: 63-line block ×4, first 2 shown]
	s_or_b64 exec, exec, s[2:3]
	scratch_load_dwordx4 v[2:5], v41, off
	v_cmp_gt_u32_e64 s[2:3], 8, v0
	s_waitcnt vmcnt(0)
	ds_write_b128 v9, v[2:5]
	s_waitcnt lgkmcnt(0)
	; wave barrier
	s_waitcnt lgkmcnt(0)
	s_and_saveexec_b64 s[6:7], s[2:3]
	s_cbranch_execz .LBB73_135
; %bb.128:
	ds_read_b128 v[2:5], v9
	s_and_b64 vcc, exec, s[0:1]
	s_cbranch_vccnz .LBB73_130
; %bb.129:
	scratch_load_dwordx4 v[10:13], v8, off
	s_waitcnt vmcnt(0) lgkmcnt(0)
	v_mul_f64 v[6:7], v[4:5], v[12:13]
	v_mul_f64 v[12:13], v[2:3], v[12:13]
	v_fmac_f64_e32 v[12:13], v[4:5], v[10:11]
	v_fma_f64 v[2:3], v[2:3], v[10:11], -v[6:7]
	v_mov_b64_e32 v[4:5], v[12:13]
.LBB73_130:
	v_cmp_ne_u32_e32 vcc, 7, v0
	s_and_saveexec_b64 s[8:9], vcc
	s_cbranch_execz .LBB73_134
; %bb.131:
	v_mov_b32_e32 v7, 0
	v_add_u32_e32 v6, 0xb0, v34
	v_add3_u32 v7, v34, v7, 24
	s_mov_b64 s[10:11], 0
	v_mov_b32_e32 v10, v0
.LBB73_132:                             ; =>This Inner Loop Header: Depth=1
	v_add_u32_e32 v11, -8, v7
	scratch_load_dwordx4 v[44:47], v11, off
	ds_read_b128 v[48:51], v6
	v_add_u32_e32 v10, 1, v10
	v_cmp_lt_u32_e32 vcc, 6, v10
	v_add_u32_e32 v6, 16, v6
	v_add_u32_e32 v7, 16, v7
	s_or_b64 s[10:11], vcc, s[10:11]
	s_waitcnt vmcnt(0) lgkmcnt(0)
	v_mul_f64 v[12:13], v[50:51], v[46:47]
	v_mul_f64 v[46:47], v[48:49], v[46:47]
	v_fma_f64 v[12:13], v[48:49], v[44:45], -v[12:13]
	v_fmac_f64_e32 v[46:47], v[50:51], v[44:45]
	v_add_f64 v[2:3], v[2:3], v[12:13]
	v_add_f64 v[4:5], v[4:5], v[46:47]
	s_andn2_b64 exec, exec, s[10:11]
	s_cbranch_execnz .LBB73_132
; %bb.133:
	s_or_b64 exec, exec, s[10:11]
.LBB73_134:
	s_or_b64 exec, exec, s[8:9]
	v_mov_b32_e32 v6, 0
	ds_read_b128 v[10:13], v6 offset:128
	s_waitcnt lgkmcnt(0)
	v_mul_f64 v[6:7], v[4:5], v[12:13]
	v_mul_f64 v[46:47], v[2:3], v[12:13]
	v_fma_f64 v[44:45], v[2:3], v[10:11], -v[6:7]
	v_fmac_f64_e32 v[46:47], v[4:5], v[10:11]
	scratch_store_dwordx4 off, v[44:47], off offset:128
.LBB73_135:
	s_or_b64 exec, exec, s[6:7]
	scratch_load_dwordx4 v[2:5], v39, off
	v_cmp_ne_u32_e32 vcc, 9, v0
                                        ; implicit-def: $vgpr6_vgpr7
                                        ; implicit-def: $vgpr10
	s_waitcnt vmcnt(0)
	ds_write_b128 v9, v[2:5]
	s_waitcnt lgkmcnt(0)
	; wave barrier
	s_waitcnt lgkmcnt(0)
	s_and_saveexec_b64 s[6:7], vcc
	s_cbranch_execz .LBB73_143
; %bb.136:
	ds_read_b128 v[2:5], v9
	s_and_b64 vcc, exec, s[0:1]
	s_cbranch_vccnz .LBB73_138
; %bb.137:
	scratch_load_dwordx4 v[6:9], v8, off
	s_waitcnt vmcnt(0) lgkmcnt(0)
	v_mul_f64 v[10:11], v[4:5], v[8:9]
	v_mul_f64 v[8:9], v[2:3], v[8:9]
	v_fmac_f64_e32 v[8:9], v[4:5], v[6:7]
	v_fma_f64 v[2:3], v[2:3], v[6:7], -v[10:11]
	v_mov_b64_e32 v[4:5], v[8:9]
.LBB73_138:
	s_and_saveexec_b64 s[0:1], s[2:3]
	s_cbranch_execz .LBB73_142
; %bb.139:
	v_mov_b32_e32 v7, 0
	v_add_u32_e32 v6, 0xb0, v34
	v_add3_u32 v7, v34, v7, 24
	s_mov_b64 s[2:3], 0
.LBB73_140:                             ; =>This Inner Loop Header: Depth=1
	v_add_u32_e32 v8, -8, v7
	scratch_load_dwordx4 v[8:11], v8, off
	ds_read_b128 v[44:47], v6
	v_add_u32_e32 v0, 1, v0
	v_cmp_lt_u32_e32 vcc, 7, v0
	v_add_u32_e32 v6, 16, v6
	v_add_u32_e32 v7, 16, v7
	s_or_b64 s[2:3], vcc, s[2:3]
	s_waitcnt vmcnt(0) lgkmcnt(0)
	v_mul_f64 v[12:13], v[46:47], v[10:11]
	v_mul_f64 v[10:11], v[44:45], v[10:11]
	v_fma_f64 v[12:13], v[44:45], v[8:9], -v[12:13]
	v_fmac_f64_e32 v[10:11], v[46:47], v[8:9]
	v_add_f64 v[2:3], v[2:3], v[12:13]
	v_add_f64 v[4:5], v[4:5], v[10:11]
	s_andn2_b64 exec, exec, s[2:3]
	s_cbranch_execnz .LBB73_140
; %bb.141:
	s_or_b64 exec, exec, s[2:3]
.LBB73_142:
	s_or_b64 exec, exec, s[0:1]
	v_mov_b32_e32 v0, 0
	ds_read_b128 v[44:47], v0 offset:144
	v_mov_b32_e32 v0, 0
	v_add_u32_e32 v10, 0x98, v0
	s_or_b64 s[4:5], s[4:5], exec
	s_waitcnt lgkmcnt(0)
	v_mul_f64 v[8:9], v[4:5], v[46:47]
	v_mul_f64 v[6:7], v[2:3], v[46:47]
	v_fma_f64 v[2:3], v[2:3], v[44:45], -v[8:9]
	v_fmac_f64_e32 v[6:7], v[4:5], v[44:45]
	scratch_store_dwordx2 off, v[2:3], off offset:144
.LBB73_143:
	s_or_b64 exec, exec, s[6:7]
.LBB73_144:
	s_and_saveexec_b64 s[0:1], s[4:5]
	s_cbranch_execz .LBB73_146
; %bb.145:
	scratch_store_dwordx2 v10, v[6:7], off
.LBB73_146:
	s_or_b64 exec, exec, s[0:1]
	scratch_load_dwordx4 v[2:5], off, off
	scratch_load_dwordx4 v[6:9], v37, off
	scratch_load_dwordx4 v[10:13], v35, off
	;; [unrolled: 1-line block ×9, first 2 shown]
	s_waitcnt vmcnt(9)
	global_store_dwordx4 v[14:15], v[2:5], off
	s_waitcnt vmcnt(9)
	global_store_dwordx4 v[16:17], v[6:9], off
	;; [unrolled: 2-line block ×10, first 2 shown]
.LBB73_147:
	s_endpgm
	.section	.rodata,"a",@progbits
	.p2align	6, 0x0
	.amdhsa_kernel _ZN9rocsolver6v33100L18trti2_kernel_smallILi10E19rocblas_complex_numIdEPKPS3_EEv13rocblas_fill_17rocblas_diagonal_T1_iil
		.amdhsa_group_segment_fixed_size 320
		.amdhsa_private_segment_fixed_size 176
		.amdhsa_kernarg_size 32
		.amdhsa_user_sgpr_count 2
		.amdhsa_user_sgpr_dispatch_ptr 0
		.amdhsa_user_sgpr_queue_ptr 0
		.amdhsa_user_sgpr_kernarg_segment_ptr 1
		.amdhsa_user_sgpr_dispatch_id 0
		.amdhsa_user_sgpr_kernarg_preload_length 0
		.amdhsa_user_sgpr_kernarg_preload_offset 0
		.amdhsa_user_sgpr_private_segment_size 0
		.amdhsa_uses_dynamic_stack 0
		.amdhsa_enable_private_segment 1
		.amdhsa_system_sgpr_workgroup_id_x 1
		.amdhsa_system_sgpr_workgroup_id_y 0
		.amdhsa_system_sgpr_workgroup_id_z 0
		.amdhsa_system_sgpr_workgroup_info 0
		.amdhsa_system_vgpr_workitem_id 0
		.amdhsa_next_free_vgpr 72
		.amdhsa_next_free_sgpr 12
		.amdhsa_accum_offset 72
		.amdhsa_reserve_vcc 1
		.amdhsa_float_round_mode_32 0
		.amdhsa_float_round_mode_16_64 0
		.amdhsa_float_denorm_mode_32 3
		.amdhsa_float_denorm_mode_16_64 3
		.amdhsa_dx10_clamp 1
		.amdhsa_ieee_mode 1
		.amdhsa_fp16_overflow 0
		.amdhsa_tg_split 0
		.amdhsa_exception_fp_ieee_invalid_op 0
		.amdhsa_exception_fp_denorm_src 0
		.amdhsa_exception_fp_ieee_div_zero 0
		.amdhsa_exception_fp_ieee_overflow 0
		.amdhsa_exception_fp_ieee_underflow 0
		.amdhsa_exception_fp_ieee_inexact 0
		.amdhsa_exception_int_div_zero 0
	.end_amdhsa_kernel
	.section	.text._ZN9rocsolver6v33100L18trti2_kernel_smallILi10E19rocblas_complex_numIdEPKPS3_EEv13rocblas_fill_17rocblas_diagonal_T1_iil,"axG",@progbits,_ZN9rocsolver6v33100L18trti2_kernel_smallILi10E19rocblas_complex_numIdEPKPS3_EEv13rocblas_fill_17rocblas_diagonal_T1_iil,comdat
.Lfunc_end73:
	.size	_ZN9rocsolver6v33100L18trti2_kernel_smallILi10E19rocblas_complex_numIdEPKPS3_EEv13rocblas_fill_17rocblas_diagonal_T1_iil, .Lfunc_end73-_ZN9rocsolver6v33100L18trti2_kernel_smallILi10E19rocblas_complex_numIdEPKPS3_EEv13rocblas_fill_17rocblas_diagonal_T1_iil
                                        ; -- End function
	.section	.AMDGPU.csdata,"",@progbits
; Kernel info:
; codeLenInByte = 6340
; NumSgprs: 18
; NumVgprs: 72
; NumAgprs: 0
; TotalNumVgprs: 72
; ScratchSize: 176
; MemoryBound: 0
; FloatMode: 240
; IeeeMode: 1
; LDSByteSize: 320 bytes/workgroup (compile time only)
; SGPRBlocks: 2
; VGPRBlocks: 8
; NumSGPRsForWavesPerEU: 18
; NumVGPRsForWavesPerEU: 72
; AccumOffset: 72
; Occupancy: 7
; WaveLimiterHint : 1
; COMPUTE_PGM_RSRC2:SCRATCH_EN: 1
; COMPUTE_PGM_RSRC2:USER_SGPR: 2
; COMPUTE_PGM_RSRC2:TRAP_HANDLER: 0
; COMPUTE_PGM_RSRC2:TGID_X_EN: 1
; COMPUTE_PGM_RSRC2:TGID_Y_EN: 0
; COMPUTE_PGM_RSRC2:TGID_Z_EN: 0
; COMPUTE_PGM_RSRC2:TIDIG_COMP_CNT: 0
; COMPUTE_PGM_RSRC3_GFX90A:ACCUM_OFFSET: 17
; COMPUTE_PGM_RSRC3_GFX90A:TG_SPLIT: 0
	.section	.text._ZN9rocsolver6v33100L18trti2_kernel_smallILi11E19rocblas_complex_numIdEPKPS3_EEv13rocblas_fill_17rocblas_diagonal_T1_iil,"axG",@progbits,_ZN9rocsolver6v33100L18trti2_kernel_smallILi11E19rocblas_complex_numIdEPKPS3_EEv13rocblas_fill_17rocblas_diagonal_T1_iil,comdat
	.globl	_ZN9rocsolver6v33100L18trti2_kernel_smallILi11E19rocblas_complex_numIdEPKPS3_EEv13rocblas_fill_17rocblas_diagonal_T1_iil ; -- Begin function _ZN9rocsolver6v33100L18trti2_kernel_smallILi11E19rocblas_complex_numIdEPKPS3_EEv13rocblas_fill_17rocblas_diagonal_T1_iil
	.p2align	8
	.type	_ZN9rocsolver6v33100L18trti2_kernel_smallILi11E19rocblas_complex_numIdEPKPS3_EEv13rocblas_fill_17rocblas_diagonal_T1_iil,@function
_ZN9rocsolver6v33100L18trti2_kernel_smallILi11E19rocblas_complex_numIdEPKPS3_EEv13rocblas_fill_17rocblas_diagonal_T1_iil: ; @_ZN9rocsolver6v33100L18trti2_kernel_smallILi11E19rocblas_complex_numIdEPKPS3_EEv13rocblas_fill_17rocblas_diagonal_T1_iil
; %bb.0:
	v_cmp_gt_u32_e32 vcc, 11, v0
	s_and_saveexec_b64 s[4:5], vcc
	s_cbranch_execz .LBB74_163
; %bb.1:
	s_load_dwordx2 s[8:9], s[0:1], 0x10
	s_load_dwordx4 s[4:7], s[0:1], 0x0
	s_ashr_i32 s3, s2, 31
	s_lshl_b64 s[0:1], s[2:3], 3
	v_lshlrev_b32_e32 v36, 4, v0
	s_waitcnt lgkmcnt(0)
	s_ashr_i32 s3, s8, 31
	s_add_u32 s0, s6, s0
	s_addc_u32 s1, s7, s1
	s_load_dwordx2 s[0:1], s[0:1], 0x0
	s_mov_b32 s2, s8
	s_lshl_b64 s[2:3], s[2:3], 4
	v_mov_b32_e32 v37, 0
	s_waitcnt lgkmcnt(0)
	s_add_u32 s0, s0, s2
	s_addc_u32 s1, s1, s3
	v_lshl_add_u64 v[16:17], s[0:1], 0, v[36:37]
	s_ashr_i32 s3, s9, 31
	s_mov_b32 s2, s9
	global_load_dwordx4 v[2:5], v36, s[0:1]
	v_lshl_add_u64 v[14:15], s[2:3], 4, v[16:17]
	global_load_dwordx4 v[6:9], v[14:15], off
	s_add_i32 s2, s9, s9
	v_add_u32_e32 v20, s2, v0
	v_ashrrev_i32_e32 v21, 31, v20
	v_lshl_add_u64 v[18:19], v[20:21], 4, s[0:1]
	v_add_u32_e32 v20, s9, v20
	v_add_u32_e32 v22, s9, v20
	;; [unrolled: 1-line block ×7, first 2 shown]
	v_ashrrev_i32_e32 v21, 31, v20
	v_ashrrev_i32_e32 v25, 31, v24
	v_add_u32_e32 v34, s9, v32
	v_lshl_add_u64 v[20:21], v[20:21], 4, s[0:1]
	v_ashrrev_i32_e32 v23, 31, v22
	v_lshl_add_u64 v[24:25], v[24:25], 4, s[0:1]
	v_ashrrev_i32_e32 v27, 31, v26
	v_ashrrev_i32_e32 v29, 31, v28
	;; [unrolled: 1-line block ×4, first 2 shown]
	global_load_dwordx4 v[10:13], v[18:19], off
	v_lshl_add_u64 v[22:23], v[22:23], 4, s[0:1]
	global_load_dwordx4 v[38:41], v[20:21], off
	global_load_dwordx4 v[42:45], v[22:23], off
	v_lshl_add_u64 v[26:27], v[26:27], 4, s[0:1]
	global_load_dwordx4 v[46:49], v[24:25], off
	global_load_dwordx4 v[50:53], v[26:27], off
	v_lshl_add_u64 v[28:29], v[28:29], 4, s[0:1]
	v_ashrrev_i32_e32 v31, 31, v30
	v_lshl_add_u64 v[32:33], v[32:33], 4, s[0:1]
	v_lshl_add_u64 v[34:35], v[34:35], 4, s[0:1]
	;; [unrolled: 1-line block ×3, first 2 shown]
	s_cmpk_lg_i32 s5, 0x84
	s_cselect_b64 s[6:7], -1, 0
	s_cmpk_eq_i32 s5, 0x84
	s_waitcnt vmcnt(6)
	scratch_store_dwordx4 off, v[2:5], off
	global_load_dwordx4 v[2:5], v[28:29], off
	s_nop 0
	global_load_dwordx4 v[54:57], v[30:31], off
	global_load_dwordx4 v[58:61], v[34:35], off
	s_waitcnt vmcnt(9)
	scratch_store_dwordx4 off, v[6:9], off offset:16
	global_load_dwordx4 v[6:9], v[32:33], off
	s_waitcnt vmcnt(10)
	scratch_store_dwordx4 off, v[10:13], off offset:32
	s_nop 1
	v_mov_b32_e32 v12, 0
	s_waitcnt vmcnt(10)
	scratch_store_dwordx4 off, v[38:41], off offset:48
	s_waitcnt vmcnt(10)
	scratch_store_dwordx4 off, v[42:45], off offset:64
	;; [unrolled: 2-line block ×7, first 2 shown]
	scratch_store_dwordx4 off, v[58:61], off offset:160
	s_cbranch_scc1 .LBB74_7
; %bb.2:
	scratch_load_dwordx4 v[2:5], v36, off
                                        ; implicit-def: $vgpr10_vgpr11
	s_waitcnt vmcnt(0)
	v_xor_b32_e32 v1, 0x80000000, v3
	v_cmp_gt_f64_e32 vcc, 0, v[2:3]
	v_xor_b32_e32 v8, 0x80000000, v5
	v_mov_b32_e32 v6, v2
	v_cndmask_b32_e32 v7, v3, v1, vcc
	v_cmp_gt_f64_e32 vcc, 0, v[4:5]
	s_nop 1
	v_cndmask_b32_e32 v9, v5, v8, vcc
	v_mov_b32_e32 v8, v4
	v_cmp_ngt_f64_e32 vcc, v[6:7], v[8:9]
                                        ; implicit-def: $vgpr6_vgpr7
	s_and_saveexec_b64 s[0:1], vcc
	s_xor_b64 s[0:1], exec, s[0:1]
	s_cbranch_execz .LBB74_4
; %bb.3:
	v_div_scale_f64 v[6:7], s[2:3], v[4:5], v[4:5], v[2:3]
	v_rcp_f64_e32 v[8:9], v[6:7]
	v_div_scale_f64 v[10:11], vcc, v[2:3], v[4:5], v[2:3]
	v_fma_f64 v[38:39], -v[6:7], v[8:9], 1.0
	v_fmac_f64_e32 v[8:9], v[8:9], v[38:39]
	v_fma_f64 v[38:39], -v[6:7], v[8:9], 1.0
	v_fmac_f64_e32 v[8:9], v[8:9], v[38:39]
	v_mul_f64 v[38:39], v[10:11], v[8:9]
	v_fma_f64 v[6:7], -v[6:7], v[38:39], v[10:11]
	v_div_fmas_f64 v[6:7], v[6:7], v[8:9], v[38:39]
	v_div_fixup_f64 v[6:7], v[6:7], v[4:5], v[2:3]
	v_fmac_f64_e32 v[4:5], v[2:3], v[6:7]
	v_div_scale_f64 v[2:3], s[2:3], v[4:5], v[4:5], 1.0
	v_rcp_f64_e32 v[8:9], v[2:3]
	s_nop 0
	v_fma_f64 v[10:11], -v[2:3], v[8:9], 1.0
	v_fmac_f64_e32 v[8:9], v[8:9], v[10:11]
	v_fma_f64 v[10:11], -v[2:3], v[8:9], 1.0
	v_fmac_f64_e32 v[8:9], v[8:9], v[10:11]
	v_div_scale_f64 v[10:11], vcc, 1.0, v[4:5], 1.0
	v_mul_f64 v[38:39], v[10:11], v[8:9]
	v_fma_f64 v[2:3], -v[2:3], v[38:39], v[10:11]
	s_nop 1
	v_div_fmas_f64 v[2:3], v[2:3], v[8:9], v[38:39]
	v_div_fixup_f64 v[8:9], v[2:3], v[4:5], 1.0
	v_mul_f64 v[6:7], v[6:7], v[8:9]
	v_xor_b32_e32 v9, 0x80000000, v9
	v_xor_b32_e32 v11, 0x80000000, v7
	v_mov_b32_e32 v10, v6
                                        ; implicit-def: $vgpr2_vgpr3
.LBB74_4:
	s_or_saveexec_b64 s[0:1], s[0:1]
	v_add_u32_e32 v1, 0, v36
	s_xor_b64 exec, exec, s[0:1]
	s_cbranch_execz .LBB74_6
; %bb.5:
	v_div_scale_f64 v[6:7], s[2:3], v[2:3], v[2:3], v[4:5]
	v_rcp_f64_e32 v[8:9], v[6:7]
	v_div_scale_f64 v[10:11], vcc, v[4:5], v[2:3], v[4:5]
	v_fma_f64 v[38:39], -v[6:7], v[8:9], 1.0
	v_fmac_f64_e32 v[8:9], v[8:9], v[38:39]
	v_fma_f64 v[38:39], -v[6:7], v[8:9], 1.0
	v_fmac_f64_e32 v[8:9], v[8:9], v[38:39]
	v_mul_f64 v[38:39], v[10:11], v[8:9]
	v_fma_f64 v[6:7], -v[6:7], v[38:39], v[10:11]
	v_div_fmas_f64 v[6:7], v[6:7], v[8:9], v[38:39]
	v_div_fixup_f64 v[8:9], v[6:7], v[2:3], v[4:5]
	v_fmac_f64_e32 v[2:3], v[4:5], v[8:9]
	v_div_scale_f64 v[4:5], s[2:3], v[2:3], v[2:3], 1.0
	v_rcp_f64_e32 v[6:7], v[4:5]
	s_nop 0
	v_fma_f64 v[10:11], -v[4:5], v[6:7], 1.0
	v_fmac_f64_e32 v[6:7], v[6:7], v[10:11]
	v_fma_f64 v[10:11], -v[4:5], v[6:7], 1.0
	v_fmac_f64_e32 v[6:7], v[6:7], v[10:11]
	v_div_scale_f64 v[10:11], vcc, 1.0, v[2:3], 1.0
	v_mul_f64 v[38:39], v[10:11], v[6:7]
	v_fma_f64 v[4:5], -v[4:5], v[38:39], v[10:11]
	s_nop 1
	v_div_fmas_f64 v[4:5], v[4:5], v[6:7], v[38:39]
	v_div_fixup_f64 v[6:7], v[4:5], v[2:3], 1.0
	v_xor_b32_e32 v11, 0x80000000, v7
	v_mov_b32_e32 v10, v6
	v_mul_f64 v[8:9], v[8:9], -v[6:7]
.LBB74_6:
	s_or_b64 exec, exec, s[0:1]
	scratch_store_dwordx4 v1, v[6:9], off
	s_nop 1
	v_xor_b32_e32 v9, 0x80000000, v9
	s_branch .LBB74_8
.LBB74_7:
	v_mov_b64_e32 v[8:9], 0
	v_mov_b64_e32 v[10:11], -1.0
.LBB74_8:
	v_add_u32_e32 v42, 16, v12
	v_add_u32_e32 v38, 32, v12
	;; [unrolled: 1-line block ×10, first 2 shown]
	v_mov_b32_e32 v12, v8
	v_mov_b32_e32 v13, v9
	s_cmpk_eq_i32 s4, 0x79
	v_add_u32_e32 v9, 0xb0, v36
	v_add_u32_e32 v8, 0, v36
	ds_write_b128 v36, v[10:13]
	s_cbranch_scc1 .LBB74_84
; %bb.9:
	scratch_load_dwordx4 v[2:5], v1, off
	v_cmp_eq_u32_e64 s[0:1], 10, v0
	s_waitcnt vmcnt(0)
	ds_write_b128 v9, v[2:5]
	s_waitcnt lgkmcnt(0)
	; wave barrier
	s_waitcnt lgkmcnt(0)
	s_and_saveexec_b64 s[2:3], s[0:1]
	s_cbranch_execz .LBB74_13
; %bb.10:
	ds_read_b128 v[2:5], v9
	s_andn2_b64 vcc, exec, s[6:7]
	s_cbranch_vccnz .LBB74_12
; %bb.11:
	scratch_load_dwordx4 v[10:13], v8, off
	s_waitcnt vmcnt(0) lgkmcnt(0)
	v_mul_f64 v[6:7], v[4:5], v[12:13]
	v_mul_f64 v[12:13], v[2:3], v[12:13]
	v_fmac_f64_e32 v[12:13], v[4:5], v[10:11]
	v_fma_f64 v[2:3], v[2:3], v[10:11], -v[6:7]
	v_mov_b64_e32 v[4:5], v[12:13]
.LBB74_12:
	v_mov_b32_e32 v6, 0
	ds_read_b128 v[10:13], v6 offset:144
	s_waitcnt lgkmcnt(0)
	v_mul_f64 v[6:7], v[4:5], v[12:13]
	v_mul_f64 v[48:49], v[2:3], v[12:13]
	v_fma_f64 v[46:47], v[2:3], v[10:11], -v[6:7]
	v_fmac_f64_e32 v[48:49], v[4:5], v[10:11]
	scratch_store_dwordx4 off, v[46:49], off offset:144
.LBB74_13:
	s_or_b64 exec, exec, s[2:3]
	scratch_load_dwordx4 v[2:5], v45, off
	v_cmp_lt_u32_e64 s[2:3], 8, v0
	s_waitcnt vmcnt(0)
	ds_write_b128 v9, v[2:5]
	s_waitcnt lgkmcnt(0)
	; wave barrier
	s_waitcnt lgkmcnt(0)
	s_and_saveexec_b64 s[4:5], s[2:3]
	s_cbranch_execz .LBB74_19
; %bb.14:
	ds_read_b128 v[2:5], v9
	s_andn2_b64 vcc, exec, s[6:7]
	s_cbranch_vccnz .LBB74_16
; %bb.15:
	scratch_load_dwordx4 v[10:13], v8, off
	s_waitcnt vmcnt(0) lgkmcnt(0)
	v_mul_f64 v[6:7], v[4:5], v[12:13]
	v_mul_f64 v[12:13], v[2:3], v[12:13]
	v_fmac_f64_e32 v[12:13], v[4:5], v[10:11]
	v_fma_f64 v[2:3], v[2:3], v[10:11], -v[6:7]
	v_mov_b64_e32 v[4:5], v[12:13]
.LBB74_16:
	s_and_saveexec_b64 s[8:9], s[0:1]
	s_cbranch_execz .LBB74_18
; %bb.17:
	scratch_load_dwordx4 v[10:13], off, off offset:144
	v_mov_b32_e32 v6, 0
	ds_read_b128 v[46:49], v6 offset:320
	s_waitcnt vmcnt(0) lgkmcnt(0)
	v_mul_f64 v[6:7], v[46:47], v[12:13]
	v_mul_f64 v[12:13], v[48:49], v[12:13]
	v_fmac_f64_e32 v[6:7], v[48:49], v[10:11]
	v_fma_f64 v[10:11], v[46:47], v[10:11], -v[12:13]
	v_add_f64 v[4:5], v[4:5], v[6:7]
	v_add_f64 v[2:3], v[2:3], v[10:11]
.LBB74_18:
	s_or_b64 exec, exec, s[8:9]
	v_mov_b32_e32 v6, 0
	ds_read_b128 v[10:13], v6 offset:128
	s_waitcnt lgkmcnt(0)
	v_mul_f64 v[6:7], v[4:5], v[12:13]
	v_mul_f64 v[48:49], v[2:3], v[12:13]
	v_fma_f64 v[46:47], v[2:3], v[10:11], -v[6:7]
	v_fmac_f64_e32 v[48:49], v[4:5], v[10:11]
	scratch_store_dwordx4 off, v[46:49], off offset:128
.LBB74_19:
	s_or_b64 exec, exec, s[4:5]
	scratch_load_dwordx4 v[2:5], v44, off
	v_cmp_lt_u32_e64 s[0:1], 7, v0
	s_waitcnt vmcnt(0)
	ds_write_b128 v9, v[2:5]
	s_waitcnt lgkmcnt(0)
	; wave barrier
	s_waitcnt lgkmcnt(0)
	s_and_saveexec_b64 s[4:5], s[0:1]
	s_cbranch_execz .LBB74_27
; %bb.20:
	ds_read_b128 v[2:5], v9
	s_andn2_b64 vcc, exec, s[6:7]
	s_cbranch_vccnz .LBB74_22
; %bb.21:
	scratch_load_dwordx4 v[10:13], v8, off
	s_waitcnt vmcnt(0) lgkmcnt(0)
	v_mul_f64 v[6:7], v[4:5], v[12:13]
	v_mul_f64 v[12:13], v[2:3], v[12:13]
	v_fmac_f64_e32 v[12:13], v[4:5], v[10:11]
	v_fma_f64 v[2:3], v[2:3], v[10:11], -v[6:7]
	v_mov_b64_e32 v[4:5], v[12:13]
.LBB74_22:
	s_and_saveexec_b64 s[8:9], s[2:3]
	s_cbranch_execz .LBB74_26
; %bb.23:
	v_mov_b32_e32 v7, 0
	v_add_u32_e32 v6, -8, v0
	v_add_u32_e32 v7, 0x88, v7
	s_movk_i32 s10, 0x130
	s_mov_b64 s[2:3], 0
.LBB74_24:                              ; =>This Inner Loop Header: Depth=1
	v_add_u32_e32 v10, -8, v7
	scratch_load_dwordx4 v[10:13], v10, off
	v_mov_b32_e32 v46, s10
	ds_read_b128 v[46:49], v46
	v_add_u32_e32 v6, -1, v6
	s_add_i32 s10, s10, 16
	v_cmp_eq_u32_e32 vcc, 0, v6
	v_add_u32_e32 v7, 16, v7
	s_or_b64 s[2:3], vcc, s[2:3]
	s_waitcnt vmcnt(0) lgkmcnt(0)
	v_mul_f64 v[50:51], v[48:49], v[12:13]
	v_mul_f64 v[12:13], v[46:47], v[12:13]
	v_fma_f64 v[46:47], v[46:47], v[10:11], -v[50:51]
	v_fmac_f64_e32 v[12:13], v[48:49], v[10:11]
	v_add_f64 v[2:3], v[2:3], v[46:47]
	v_add_f64 v[4:5], v[4:5], v[12:13]
	s_andn2_b64 exec, exec, s[2:3]
	s_cbranch_execnz .LBB74_24
; %bb.25:
	s_or_b64 exec, exec, s[2:3]
.LBB74_26:
	s_or_b64 exec, exec, s[8:9]
	v_mov_b32_e32 v6, 0
	ds_read_b128 v[10:13], v6 offset:112
	s_waitcnt lgkmcnt(0)
	v_mul_f64 v[6:7], v[4:5], v[12:13]
	v_mul_f64 v[48:49], v[2:3], v[12:13]
	v_fma_f64 v[46:47], v[2:3], v[10:11], -v[6:7]
	v_fmac_f64_e32 v[48:49], v[4:5], v[10:11]
	scratch_store_dwordx4 off, v[46:49], off offset:112
.LBB74_27:
	s_or_b64 exec, exec, s[4:5]
	scratch_load_dwordx4 v[2:5], v40, off
	v_cmp_lt_u32_e64 s[2:3], 6, v0
	s_waitcnt vmcnt(0)
	ds_write_b128 v9, v[2:5]
	s_waitcnt lgkmcnt(0)
	; wave barrier
	s_waitcnt lgkmcnt(0)
	s_and_saveexec_b64 s[4:5], s[2:3]
	s_cbranch_execz .LBB74_35
; %bb.28:
	ds_read_b128 v[2:5], v9
	s_andn2_b64 vcc, exec, s[6:7]
	s_cbranch_vccnz .LBB74_30
; %bb.29:
	scratch_load_dwordx4 v[10:13], v8, off
	s_waitcnt vmcnt(0) lgkmcnt(0)
	v_mul_f64 v[6:7], v[4:5], v[12:13]
	v_mul_f64 v[12:13], v[2:3], v[12:13]
	v_fmac_f64_e32 v[12:13], v[4:5], v[10:11]
	v_fma_f64 v[2:3], v[2:3], v[10:11], -v[6:7]
	v_mov_b64_e32 v[4:5], v[12:13]
.LBB74_30:
	s_and_saveexec_b64 s[8:9], s[0:1]
	s_cbranch_execz .LBB74_34
; %bb.31:
	v_mov_b32_e32 v7, 0
	v_add_u32_e32 v6, -7, v0
	v_add_u32_e32 v7, 0x78, v7
	s_movk_i32 s10, 0x120
	s_mov_b64 s[0:1], 0
.LBB74_32:                              ; =>This Inner Loop Header: Depth=1
	v_add_u32_e32 v10, -8, v7
	scratch_load_dwordx4 v[10:13], v10, off
	v_mov_b32_e32 v46, s10
	ds_read_b128 v[46:49], v46
	v_add_u32_e32 v6, -1, v6
	s_add_i32 s10, s10, 16
	v_cmp_eq_u32_e32 vcc, 0, v6
	v_add_u32_e32 v7, 16, v7
	s_or_b64 s[0:1], vcc, s[0:1]
	s_waitcnt vmcnt(0) lgkmcnt(0)
	v_mul_f64 v[50:51], v[48:49], v[12:13]
	v_mul_f64 v[12:13], v[46:47], v[12:13]
	v_fma_f64 v[46:47], v[46:47], v[10:11], -v[50:51]
	v_fmac_f64_e32 v[12:13], v[48:49], v[10:11]
	v_add_f64 v[2:3], v[2:3], v[46:47]
	v_add_f64 v[4:5], v[4:5], v[12:13]
	s_andn2_b64 exec, exec, s[0:1]
	s_cbranch_execnz .LBB74_32
; %bb.33:
	s_or_b64 exec, exec, s[0:1]
.LBB74_34:
	s_or_b64 exec, exec, s[8:9]
	v_mov_b32_e32 v6, 0
	ds_read_b128 v[10:13], v6 offset:96
	s_waitcnt lgkmcnt(0)
	v_mul_f64 v[6:7], v[4:5], v[12:13]
	v_mul_f64 v[48:49], v[2:3], v[12:13]
	v_fma_f64 v[46:47], v[2:3], v[10:11], -v[6:7]
	v_fmac_f64_e32 v[48:49], v[4:5], v[10:11]
	scratch_store_dwordx4 off, v[46:49], off offset:96
.LBB74_35:
	;; [unrolled: 63-line block ×7, first 2 shown]
	s_or_b64 exec, exec, s[4:5]
	scratch_load_dwordx4 v[2:5], off, off
	v_cmp_ne_u32_e32 vcc, 0, v0
	s_mov_b64 s[2:3], 0
	s_mov_b64 s[4:5], 0
                                        ; implicit-def: $vgpr6_vgpr7
                                        ; implicit-def: $vgpr10
	s_waitcnt vmcnt(0)
	ds_write_b128 v9, v[2:5]
	s_waitcnt lgkmcnt(0)
	; wave barrier
	s_waitcnt lgkmcnt(0)
	s_and_saveexec_b64 s[8:9], vcc
	s_cbranch_execz .LBB74_83
; %bb.76:
	ds_read_b128 v[2:5], v9
	s_andn2_b64 vcc, exec, s[6:7]
	s_cbranch_vccnz .LBB74_78
; %bb.77:
	scratch_load_dwordx4 v[10:13], v8, off
	s_waitcnt vmcnt(0) lgkmcnt(0)
	v_mul_f64 v[6:7], v[4:5], v[12:13]
	v_mul_f64 v[12:13], v[2:3], v[12:13]
	v_fmac_f64_e32 v[12:13], v[4:5], v[10:11]
	v_fma_f64 v[2:3], v[2:3], v[10:11], -v[6:7]
	v_mov_b64_e32 v[4:5], v[12:13]
.LBB74_78:
	s_and_saveexec_b64 s[4:5], s[0:1]
	s_cbranch_execz .LBB74_82
; %bb.79:
	v_mov_b32_e32 v7, 0
	v_add_u32_e32 v6, -1, v0
	v_add_u32_e32 v7, 24, v7
	s_movk_i32 s10, 0xc0
	s_mov_b64 s[0:1], 0
.LBB74_80:                              ; =>This Inner Loop Header: Depth=1
	v_add_u32_e32 v10, -8, v7
	scratch_load_dwordx4 v[10:13], v10, off
	v_mov_b32_e32 v46, s10
	ds_read_b128 v[46:49], v46
	v_add_u32_e32 v6, -1, v6
	s_add_i32 s10, s10, 16
	v_cmp_eq_u32_e32 vcc, 0, v6
	v_add_u32_e32 v7, 16, v7
	s_or_b64 s[0:1], vcc, s[0:1]
	s_waitcnt vmcnt(0) lgkmcnt(0)
	v_mul_f64 v[50:51], v[48:49], v[12:13]
	v_mul_f64 v[12:13], v[46:47], v[12:13]
	v_fma_f64 v[46:47], v[46:47], v[10:11], -v[50:51]
	v_fmac_f64_e32 v[12:13], v[48:49], v[10:11]
	v_add_f64 v[2:3], v[2:3], v[46:47]
	v_add_f64 v[4:5], v[4:5], v[12:13]
	s_andn2_b64 exec, exec, s[0:1]
	s_cbranch_execnz .LBB74_80
; %bb.81:
	s_or_b64 exec, exec, s[0:1]
.LBB74_82:
	s_or_b64 exec, exec, s[4:5]
	v_mov_b32_e32 v6, 0
	ds_read_b128 v[46:49], v6
	v_mov_b32_e32 v6, 0
	v_or_b32_e32 v10, 8, v6
	s_mov_b64 s[4:5], exec
	s_waitcnt lgkmcnt(0)
	v_mul_f64 v[12:13], v[4:5], v[48:49]
	v_mul_f64 v[6:7], v[2:3], v[48:49]
	v_fma_f64 v[2:3], v[2:3], v[46:47], -v[12:13]
	v_fmac_f64_e32 v[6:7], v[4:5], v[46:47]
	scratch_store_dwordx2 off, v[2:3], off
.LBB74_83:
	s_or_b64 exec, exec, s[8:9]
	s_and_b64 vcc, exec, s[2:3]
	s_cbranch_vccnz .LBB74_85
	s_branch .LBB74_160
.LBB74_84:
	s_mov_b64 s[4:5], 0
                                        ; implicit-def: $vgpr6_vgpr7
                                        ; implicit-def: $vgpr10
	s_cbranch_execz .LBB74_160
.LBB74_85:
	scratch_load_dwordx4 v[2:5], v42, off
	v_cndmask_b32_e64 v6, 0, 1, s[6:7]
	v_cmp_eq_u32_e64 s[2:3], 0, v0
	v_cmp_ne_u32_e64 s[0:1], 1, v6
	s_waitcnt vmcnt(0)
	ds_write_b128 v9, v[2:5]
	s_waitcnt lgkmcnt(0)
	; wave barrier
	s_waitcnt lgkmcnt(0)
	s_and_saveexec_b64 s[6:7], s[2:3]
	s_cbranch_execz .LBB74_89
; %bb.86:
	ds_read_b128 v[2:5], v9
	s_and_b64 vcc, exec, s[0:1]
	s_cbranch_vccnz .LBB74_88
; %bb.87:
	scratch_load_dwordx4 v[10:13], v8, off
	s_waitcnt vmcnt(0) lgkmcnt(0)
	v_mul_f64 v[6:7], v[4:5], v[12:13]
	v_mul_f64 v[12:13], v[2:3], v[12:13]
	v_fmac_f64_e32 v[12:13], v[4:5], v[10:11]
	v_fma_f64 v[2:3], v[2:3], v[10:11], -v[6:7]
	v_mov_b64_e32 v[4:5], v[12:13]
.LBB74_88:
	v_mov_b32_e32 v6, 0
	ds_read_b128 v[10:13], v6 offset:16
	s_waitcnt lgkmcnt(0)
	v_mul_f64 v[6:7], v[4:5], v[12:13]
	v_mul_f64 v[48:49], v[2:3], v[12:13]
	v_fma_f64 v[46:47], v[2:3], v[10:11], -v[6:7]
	v_fmac_f64_e32 v[48:49], v[4:5], v[10:11]
	scratch_store_dwordx4 off, v[46:49], off offset:16
.LBB74_89:
	s_or_b64 exec, exec, s[6:7]
	scratch_load_dwordx4 v[2:5], v38, off
	v_cmp_gt_u32_e32 vcc, 2, v0
	s_waitcnt vmcnt(0)
	ds_write_b128 v9, v[2:5]
	s_waitcnt lgkmcnt(0)
	; wave barrier
	s_waitcnt lgkmcnt(0)
	s_and_saveexec_b64 s[6:7], vcc
	s_cbranch_execz .LBB74_95
; %bb.90:
	ds_read_b128 v[2:5], v9
	s_and_b64 vcc, exec, s[0:1]
	s_cbranch_vccnz .LBB74_92
; %bb.91:
	scratch_load_dwordx4 v[10:13], v8, off
	s_waitcnt vmcnt(0) lgkmcnt(0)
	v_mul_f64 v[6:7], v[4:5], v[12:13]
	v_mul_f64 v[12:13], v[2:3], v[12:13]
	v_fmac_f64_e32 v[12:13], v[4:5], v[10:11]
	v_fma_f64 v[2:3], v[2:3], v[10:11], -v[6:7]
	v_mov_b64_e32 v[4:5], v[12:13]
.LBB74_92:
	s_and_saveexec_b64 s[8:9], s[2:3]
	s_cbranch_execz .LBB74_94
; %bb.93:
	scratch_load_dwordx4 v[10:13], v8, off offset:16
	ds_read_b128 v[46:49], v9 offset:16
	s_waitcnt vmcnt(0) lgkmcnt(0)
	v_mul_f64 v[6:7], v[48:49], v[12:13]
	v_mul_f64 v[12:13], v[46:47], v[12:13]
	v_fma_f64 v[6:7], v[46:47], v[10:11], -v[6:7]
	v_fmac_f64_e32 v[12:13], v[48:49], v[10:11]
	v_add_f64 v[2:3], v[2:3], v[6:7]
	v_add_f64 v[4:5], v[4:5], v[12:13]
.LBB74_94:
	s_or_b64 exec, exec, s[8:9]
	v_mov_b32_e32 v6, 0
	ds_read_b128 v[10:13], v6 offset:32
	s_waitcnt lgkmcnt(0)
	v_mul_f64 v[6:7], v[4:5], v[12:13]
	v_mul_f64 v[48:49], v[2:3], v[12:13]
	v_fma_f64 v[46:47], v[2:3], v[10:11], -v[6:7]
	v_fmac_f64_e32 v[48:49], v[4:5], v[10:11]
	scratch_store_dwordx4 off, v[46:49], off offset:32
.LBB74_95:
	s_or_b64 exec, exec, s[6:7]
	scratch_load_dwordx4 v[2:5], v41, off
	v_cmp_gt_u32_e32 vcc, 3, v0
	s_waitcnt vmcnt(0)
	ds_write_b128 v9, v[2:5]
	s_waitcnt lgkmcnt(0)
	; wave barrier
	s_waitcnt lgkmcnt(0)
	s_and_saveexec_b64 s[6:7], vcc
	s_cbranch_execz .LBB74_103
; %bb.96:
	ds_read_b128 v[2:5], v9
	s_and_b64 vcc, exec, s[0:1]
	s_cbranch_vccnz .LBB74_98
; %bb.97:
	scratch_load_dwordx4 v[10:13], v8, off
	s_waitcnt vmcnt(0) lgkmcnt(0)
	v_mul_f64 v[6:7], v[4:5], v[12:13]
	v_mul_f64 v[12:13], v[2:3], v[12:13]
	v_fmac_f64_e32 v[12:13], v[4:5], v[10:11]
	v_fma_f64 v[2:3], v[2:3], v[10:11], -v[6:7]
	v_mov_b64_e32 v[4:5], v[12:13]
.LBB74_98:
	v_cmp_ne_u32_e32 vcc, 2, v0
	s_and_saveexec_b64 s[8:9], vcc
	s_cbranch_execz .LBB74_102
; %bb.99:
	scratch_load_dwordx4 v[10:13], v8, off offset:16
	ds_read_b128 v[46:49], v9 offset:16
	s_waitcnt vmcnt(0) lgkmcnt(0)
	v_mul_f64 v[6:7], v[48:49], v[12:13]
	v_mul_f64 v[12:13], v[46:47], v[12:13]
	v_fma_f64 v[6:7], v[46:47], v[10:11], -v[6:7]
	v_fmac_f64_e32 v[12:13], v[48:49], v[10:11]
	v_add_f64 v[2:3], v[2:3], v[6:7]
	v_add_f64 v[4:5], v[4:5], v[12:13]
	s_and_saveexec_b64 s[10:11], s[2:3]
	s_cbranch_execz .LBB74_101
; %bb.100:
	scratch_load_dwordx4 v[10:13], off, off offset:32
	v_mov_b32_e32 v6, 0
	ds_read_b128 v[46:49], v6 offset:208
	s_waitcnt vmcnt(0) lgkmcnt(0)
	v_mul_f64 v[6:7], v[46:47], v[12:13]
	v_mul_f64 v[12:13], v[48:49], v[12:13]
	v_fmac_f64_e32 v[6:7], v[48:49], v[10:11]
	v_fma_f64 v[10:11], v[46:47], v[10:11], -v[12:13]
	v_add_f64 v[4:5], v[4:5], v[6:7]
	v_add_f64 v[2:3], v[2:3], v[10:11]
.LBB74_101:
	s_or_b64 exec, exec, s[10:11]
.LBB74_102:
	s_or_b64 exec, exec, s[8:9]
	v_mov_b32_e32 v6, 0
	ds_read_b128 v[10:13], v6 offset:48
	s_waitcnt lgkmcnt(0)
	v_mul_f64 v[6:7], v[4:5], v[12:13]
	v_mul_f64 v[48:49], v[2:3], v[12:13]
	v_fma_f64 v[46:47], v[2:3], v[10:11], -v[6:7]
	v_fmac_f64_e32 v[48:49], v[4:5], v[10:11]
	scratch_store_dwordx4 off, v[46:49], off offset:48
.LBB74_103:
	s_or_b64 exec, exec, s[6:7]
	scratch_load_dwordx4 v[2:5], v39, off
	v_cmp_gt_u32_e32 vcc, 4, v0
	s_waitcnt vmcnt(0)
	ds_write_b128 v9, v[2:5]
	s_waitcnt lgkmcnt(0)
	; wave barrier
	s_waitcnt lgkmcnt(0)
	s_and_saveexec_b64 s[2:3], vcc
	s_cbranch_execz .LBB74_111
; %bb.104:
	ds_read_b128 v[2:5], v9
	s_and_b64 vcc, exec, s[0:1]
	s_cbranch_vccnz .LBB74_106
; %bb.105:
	scratch_load_dwordx4 v[10:13], v8, off
	s_waitcnt vmcnt(0) lgkmcnt(0)
	v_mul_f64 v[6:7], v[4:5], v[12:13]
	v_mul_f64 v[12:13], v[2:3], v[12:13]
	v_fmac_f64_e32 v[12:13], v[4:5], v[10:11]
	v_fma_f64 v[2:3], v[2:3], v[10:11], -v[6:7]
	v_mov_b64_e32 v[4:5], v[12:13]
.LBB74_106:
	v_cmp_ne_u32_e32 vcc, 3, v0
	s_and_saveexec_b64 s[6:7], vcc
	s_cbranch_execz .LBB74_110
; %bb.107:
	v_mov_b32_e32 v7, 0
	v_add_u32_e32 v6, 0xc0, v36
	v_add3_u32 v7, v36, v7, 24
	s_mov_b64 s[8:9], 0
	v_mov_b32_e32 v10, v0
.LBB74_108:                             ; =>This Inner Loop Header: Depth=1
	v_add_u32_e32 v11, -8, v7
	scratch_load_dwordx4 v[46:49], v11, off
	ds_read_b128 v[50:53], v6
	v_add_u32_e32 v10, 1, v10
	v_cmp_lt_u32_e32 vcc, 2, v10
	v_add_u32_e32 v6, 16, v6
	v_add_u32_e32 v7, 16, v7
	s_or_b64 s[8:9], vcc, s[8:9]
	s_waitcnt vmcnt(0) lgkmcnt(0)
	v_mul_f64 v[12:13], v[52:53], v[48:49]
	v_mul_f64 v[48:49], v[50:51], v[48:49]
	v_fma_f64 v[12:13], v[50:51], v[46:47], -v[12:13]
	v_fmac_f64_e32 v[48:49], v[52:53], v[46:47]
	v_add_f64 v[2:3], v[2:3], v[12:13]
	v_add_f64 v[4:5], v[4:5], v[48:49]
	s_andn2_b64 exec, exec, s[8:9]
	s_cbranch_execnz .LBB74_108
; %bb.109:
	s_or_b64 exec, exec, s[8:9]
.LBB74_110:
	s_or_b64 exec, exec, s[6:7]
	v_mov_b32_e32 v6, 0
	ds_read_b128 v[10:13], v6 offset:64
	s_waitcnt lgkmcnt(0)
	v_mul_f64 v[6:7], v[4:5], v[12:13]
	v_mul_f64 v[48:49], v[2:3], v[12:13]
	v_fma_f64 v[46:47], v[2:3], v[10:11], -v[6:7]
	v_fmac_f64_e32 v[48:49], v[4:5], v[10:11]
	scratch_store_dwordx4 off, v[46:49], off offset:64
.LBB74_111:
	s_or_b64 exec, exec, s[2:3]
	scratch_load_dwordx4 v[2:5], v43, off
	v_cmp_gt_u32_e32 vcc, 5, v0
	s_waitcnt vmcnt(0)
	ds_write_b128 v9, v[2:5]
	s_waitcnt lgkmcnt(0)
	; wave barrier
	s_waitcnt lgkmcnt(0)
	s_and_saveexec_b64 s[2:3], vcc
	s_cbranch_execz .LBB74_119
; %bb.112:
	ds_read_b128 v[2:5], v9
	s_and_b64 vcc, exec, s[0:1]
	s_cbranch_vccnz .LBB74_114
; %bb.113:
	scratch_load_dwordx4 v[10:13], v8, off
	s_waitcnt vmcnt(0) lgkmcnt(0)
	v_mul_f64 v[6:7], v[4:5], v[12:13]
	v_mul_f64 v[12:13], v[2:3], v[12:13]
	v_fmac_f64_e32 v[12:13], v[4:5], v[10:11]
	v_fma_f64 v[2:3], v[2:3], v[10:11], -v[6:7]
	v_mov_b64_e32 v[4:5], v[12:13]
.LBB74_114:
	v_cmp_ne_u32_e32 vcc, 4, v0
	s_and_saveexec_b64 s[6:7], vcc
	s_cbranch_execz .LBB74_118
; %bb.115:
	v_mov_b32_e32 v7, 0
	v_add_u32_e32 v6, 0xc0, v36
	v_add3_u32 v7, v36, v7, 24
	s_mov_b64 s[8:9], 0
	v_mov_b32_e32 v10, v0
.LBB74_116:                             ; =>This Inner Loop Header: Depth=1
	v_add_u32_e32 v11, -8, v7
	scratch_load_dwordx4 v[46:49], v11, off
	ds_read_b128 v[50:53], v6
	v_add_u32_e32 v10, 1, v10
	v_cmp_lt_u32_e32 vcc, 3, v10
	v_add_u32_e32 v6, 16, v6
	v_add_u32_e32 v7, 16, v7
	s_or_b64 s[8:9], vcc, s[8:9]
	s_waitcnt vmcnt(0) lgkmcnt(0)
	v_mul_f64 v[12:13], v[52:53], v[48:49]
	v_mul_f64 v[48:49], v[50:51], v[48:49]
	v_fma_f64 v[12:13], v[50:51], v[46:47], -v[12:13]
	v_fmac_f64_e32 v[48:49], v[52:53], v[46:47]
	v_add_f64 v[2:3], v[2:3], v[12:13]
	v_add_f64 v[4:5], v[4:5], v[48:49]
	s_andn2_b64 exec, exec, s[8:9]
	s_cbranch_execnz .LBB74_116
; %bb.117:
	s_or_b64 exec, exec, s[8:9]
.LBB74_118:
	s_or_b64 exec, exec, s[6:7]
	v_mov_b32_e32 v6, 0
	ds_read_b128 v[10:13], v6 offset:80
	s_waitcnt lgkmcnt(0)
	v_mul_f64 v[6:7], v[4:5], v[12:13]
	v_mul_f64 v[48:49], v[2:3], v[12:13]
	v_fma_f64 v[46:47], v[2:3], v[10:11], -v[6:7]
	v_fmac_f64_e32 v[48:49], v[4:5], v[10:11]
	scratch_store_dwordx4 off, v[46:49], off offset:80
.LBB74_119:
	;; [unrolled: 63-line block ×5, first 2 shown]
	s_or_b64 exec, exec, s[2:3]
	scratch_load_dwordx4 v[2:5], v1, off
	v_cmp_gt_u32_e64 s[2:3], 9, v0
	s_waitcnt vmcnt(0)
	ds_write_b128 v9, v[2:5]
	s_waitcnt lgkmcnt(0)
	; wave barrier
	s_waitcnt lgkmcnt(0)
	s_and_saveexec_b64 s[6:7], s[2:3]
	s_cbranch_execz .LBB74_151
; %bb.144:
	ds_read_b128 v[2:5], v9
	s_and_b64 vcc, exec, s[0:1]
	s_cbranch_vccnz .LBB74_146
; %bb.145:
	scratch_load_dwordx4 v[10:13], v8, off
	s_waitcnt vmcnt(0) lgkmcnt(0)
	v_mul_f64 v[6:7], v[4:5], v[12:13]
	v_mul_f64 v[12:13], v[2:3], v[12:13]
	v_fmac_f64_e32 v[12:13], v[4:5], v[10:11]
	v_fma_f64 v[2:3], v[2:3], v[10:11], -v[6:7]
	v_mov_b64_e32 v[4:5], v[12:13]
.LBB74_146:
	v_cmp_ne_u32_e32 vcc, 8, v0
	s_and_saveexec_b64 s[8:9], vcc
	s_cbranch_execz .LBB74_150
; %bb.147:
	v_mov_b32_e32 v7, 0
	v_add_u32_e32 v6, 0xc0, v36
	v_add3_u32 v7, v36, v7, 24
	s_mov_b64 s[10:11], 0
	v_mov_b32_e32 v10, v0
.LBB74_148:                             ; =>This Inner Loop Header: Depth=1
	v_add_u32_e32 v11, -8, v7
	scratch_load_dwordx4 v[46:49], v11, off
	ds_read_b128 v[50:53], v6
	v_add_u32_e32 v10, 1, v10
	v_cmp_lt_u32_e32 vcc, 7, v10
	v_add_u32_e32 v6, 16, v6
	v_add_u32_e32 v7, 16, v7
	s_or_b64 s[10:11], vcc, s[10:11]
	s_waitcnt vmcnt(0) lgkmcnt(0)
	v_mul_f64 v[12:13], v[52:53], v[48:49]
	v_mul_f64 v[48:49], v[50:51], v[48:49]
	v_fma_f64 v[12:13], v[50:51], v[46:47], -v[12:13]
	v_fmac_f64_e32 v[48:49], v[52:53], v[46:47]
	v_add_f64 v[2:3], v[2:3], v[12:13]
	v_add_f64 v[4:5], v[4:5], v[48:49]
	s_andn2_b64 exec, exec, s[10:11]
	s_cbranch_execnz .LBB74_148
; %bb.149:
	s_or_b64 exec, exec, s[10:11]
.LBB74_150:
	s_or_b64 exec, exec, s[8:9]
	v_mov_b32_e32 v6, 0
	ds_read_b128 v[10:13], v6 offset:144
	s_waitcnt lgkmcnt(0)
	v_mul_f64 v[6:7], v[4:5], v[12:13]
	v_mul_f64 v[48:49], v[2:3], v[12:13]
	v_fma_f64 v[46:47], v[2:3], v[10:11], -v[6:7]
	v_fmac_f64_e32 v[48:49], v[4:5], v[10:11]
	scratch_store_dwordx4 off, v[46:49], off offset:144
.LBB74_151:
	s_or_b64 exec, exec, s[6:7]
	scratch_load_dwordx4 v[2:5], v37, off
	v_cmp_ne_u32_e32 vcc, 10, v0
                                        ; implicit-def: $vgpr6_vgpr7
                                        ; implicit-def: $vgpr10
	s_waitcnt vmcnt(0)
	ds_write_b128 v9, v[2:5]
	s_waitcnt lgkmcnt(0)
	; wave barrier
	s_waitcnt lgkmcnt(0)
	s_and_saveexec_b64 s[6:7], vcc
	s_cbranch_execz .LBB74_159
; %bb.152:
	ds_read_b128 v[2:5], v9
	s_and_b64 vcc, exec, s[0:1]
	s_cbranch_vccnz .LBB74_154
; %bb.153:
	scratch_load_dwordx4 v[6:9], v8, off
	s_waitcnt vmcnt(0) lgkmcnt(0)
	v_mul_f64 v[10:11], v[4:5], v[8:9]
	v_mul_f64 v[8:9], v[2:3], v[8:9]
	v_fmac_f64_e32 v[8:9], v[4:5], v[6:7]
	v_fma_f64 v[2:3], v[2:3], v[6:7], -v[10:11]
	v_mov_b64_e32 v[4:5], v[8:9]
.LBB74_154:
	s_and_saveexec_b64 s[0:1], s[2:3]
	s_cbranch_execz .LBB74_158
; %bb.155:
	v_mov_b32_e32 v7, 0
	v_add_u32_e32 v6, 0xc0, v36
	v_add3_u32 v7, v36, v7, 24
	s_mov_b64 s[2:3], 0
.LBB74_156:                             ; =>This Inner Loop Header: Depth=1
	v_add_u32_e32 v8, -8, v7
	scratch_load_dwordx4 v[8:11], v8, off
	ds_read_b128 v[46:49], v6
	v_add_u32_e32 v0, 1, v0
	v_cmp_lt_u32_e32 vcc, 8, v0
	v_add_u32_e32 v6, 16, v6
	v_add_u32_e32 v7, 16, v7
	s_or_b64 s[2:3], vcc, s[2:3]
	s_waitcnt vmcnt(0) lgkmcnt(0)
	v_mul_f64 v[12:13], v[48:49], v[10:11]
	v_mul_f64 v[10:11], v[46:47], v[10:11]
	v_fma_f64 v[12:13], v[46:47], v[8:9], -v[12:13]
	v_fmac_f64_e32 v[10:11], v[48:49], v[8:9]
	v_add_f64 v[2:3], v[2:3], v[12:13]
	v_add_f64 v[4:5], v[4:5], v[10:11]
	s_andn2_b64 exec, exec, s[2:3]
	s_cbranch_execnz .LBB74_156
; %bb.157:
	s_or_b64 exec, exec, s[2:3]
.LBB74_158:
	s_or_b64 exec, exec, s[0:1]
	v_mov_b32_e32 v0, 0
	ds_read_b128 v[46:49], v0 offset:160
	v_mov_b32_e32 v0, 0
	v_add_u32_e32 v10, 0xa8, v0
	s_or_b64 s[4:5], s[4:5], exec
	s_waitcnt lgkmcnt(0)
	v_mul_f64 v[8:9], v[4:5], v[48:49]
	v_mul_f64 v[6:7], v[2:3], v[48:49]
	v_fma_f64 v[2:3], v[2:3], v[46:47], -v[8:9]
	v_fmac_f64_e32 v[6:7], v[4:5], v[46:47]
	scratch_store_dwordx2 off, v[2:3], off offset:160
.LBB74_159:
	s_or_b64 exec, exec, s[6:7]
.LBB74_160:
	s_and_saveexec_b64 s[0:1], s[4:5]
	s_cbranch_execz .LBB74_162
; %bb.161:
	scratch_store_dwordx2 v10, v[6:7], off
.LBB74_162:
	s_or_b64 exec, exec, s[0:1]
	scratch_load_dwordx4 v[2:5], off, off
	scratch_load_dwordx4 v[6:9], v42, off
	scratch_load_dwordx4 v[10:13], v38, off
	;; [unrolled: 1-line block ×8, first 2 shown]
	s_waitcnt vmcnt(8)
	global_store_dwordx4 v[16:17], v[2:5], off
	scratch_load_dwordx4 v[2:5], v1, off
	s_nop 0
	scratch_load_dwordx4 v[38:41], v37, off
	s_waitcnt vmcnt(10)
	global_store_dwordx4 v[14:15], v[6:9], off
	s_waitcnt vmcnt(10)
	global_store_dwordx4 v[18:19], v[10:13], off
	;; [unrolled: 2-line block ×10, first 2 shown]
.LBB74_163:
	s_endpgm
	.section	.rodata,"a",@progbits
	.p2align	6, 0x0
	.amdhsa_kernel _ZN9rocsolver6v33100L18trti2_kernel_smallILi11E19rocblas_complex_numIdEPKPS3_EEv13rocblas_fill_17rocblas_diagonal_T1_iil
		.amdhsa_group_segment_fixed_size 352
		.amdhsa_private_segment_fixed_size 192
		.amdhsa_kernarg_size 32
		.amdhsa_user_sgpr_count 2
		.amdhsa_user_sgpr_dispatch_ptr 0
		.amdhsa_user_sgpr_queue_ptr 0
		.amdhsa_user_sgpr_kernarg_segment_ptr 1
		.amdhsa_user_sgpr_dispatch_id 0
		.amdhsa_user_sgpr_kernarg_preload_length 0
		.amdhsa_user_sgpr_kernarg_preload_offset 0
		.amdhsa_user_sgpr_private_segment_size 0
		.amdhsa_uses_dynamic_stack 0
		.amdhsa_enable_private_segment 1
		.amdhsa_system_sgpr_workgroup_id_x 1
		.amdhsa_system_sgpr_workgroup_id_y 0
		.amdhsa_system_sgpr_workgroup_id_z 0
		.amdhsa_system_sgpr_workgroup_info 0
		.amdhsa_system_vgpr_workitem_id 0
		.amdhsa_next_free_vgpr 70
		.amdhsa_next_free_sgpr 12
		.amdhsa_accum_offset 72
		.amdhsa_reserve_vcc 1
		.amdhsa_float_round_mode_32 0
		.amdhsa_float_round_mode_16_64 0
		.amdhsa_float_denorm_mode_32 3
		.amdhsa_float_denorm_mode_16_64 3
		.amdhsa_dx10_clamp 1
		.amdhsa_ieee_mode 1
		.amdhsa_fp16_overflow 0
		.amdhsa_tg_split 0
		.amdhsa_exception_fp_ieee_invalid_op 0
		.amdhsa_exception_fp_denorm_src 0
		.amdhsa_exception_fp_ieee_div_zero 0
		.amdhsa_exception_fp_ieee_overflow 0
		.amdhsa_exception_fp_ieee_underflow 0
		.amdhsa_exception_fp_ieee_inexact 0
		.amdhsa_exception_int_div_zero 0
	.end_amdhsa_kernel
	.section	.text._ZN9rocsolver6v33100L18trti2_kernel_smallILi11E19rocblas_complex_numIdEPKPS3_EEv13rocblas_fill_17rocblas_diagonal_T1_iil,"axG",@progbits,_ZN9rocsolver6v33100L18trti2_kernel_smallILi11E19rocblas_complex_numIdEPKPS3_EEv13rocblas_fill_17rocblas_diagonal_T1_iil,comdat
.Lfunc_end74:
	.size	_ZN9rocsolver6v33100L18trti2_kernel_smallILi11E19rocblas_complex_numIdEPKPS3_EEv13rocblas_fill_17rocblas_diagonal_T1_iil, .Lfunc_end74-_ZN9rocsolver6v33100L18trti2_kernel_smallILi11E19rocblas_complex_numIdEPKPS3_EEv13rocblas_fill_17rocblas_diagonal_T1_iil
                                        ; -- End function
	.section	.AMDGPU.csdata,"",@progbits
; Kernel info:
; codeLenInByte = 7012
; NumSgprs: 18
; NumVgprs: 70
; NumAgprs: 0
; TotalNumVgprs: 70
; ScratchSize: 192
; MemoryBound: 0
; FloatMode: 240
; IeeeMode: 1
; LDSByteSize: 352 bytes/workgroup (compile time only)
; SGPRBlocks: 2
; VGPRBlocks: 8
; NumSGPRsForWavesPerEU: 18
; NumVGPRsForWavesPerEU: 70
; AccumOffset: 72
; Occupancy: 7
; WaveLimiterHint : 1
; COMPUTE_PGM_RSRC2:SCRATCH_EN: 1
; COMPUTE_PGM_RSRC2:USER_SGPR: 2
; COMPUTE_PGM_RSRC2:TRAP_HANDLER: 0
; COMPUTE_PGM_RSRC2:TGID_X_EN: 1
; COMPUTE_PGM_RSRC2:TGID_Y_EN: 0
; COMPUTE_PGM_RSRC2:TGID_Z_EN: 0
; COMPUTE_PGM_RSRC2:TIDIG_COMP_CNT: 0
; COMPUTE_PGM_RSRC3_GFX90A:ACCUM_OFFSET: 17
; COMPUTE_PGM_RSRC3_GFX90A:TG_SPLIT: 0
	.section	.text._ZN9rocsolver6v33100L18trti2_kernel_smallILi12E19rocblas_complex_numIdEPKPS3_EEv13rocblas_fill_17rocblas_diagonal_T1_iil,"axG",@progbits,_ZN9rocsolver6v33100L18trti2_kernel_smallILi12E19rocblas_complex_numIdEPKPS3_EEv13rocblas_fill_17rocblas_diagonal_T1_iil,comdat
	.globl	_ZN9rocsolver6v33100L18trti2_kernel_smallILi12E19rocblas_complex_numIdEPKPS3_EEv13rocblas_fill_17rocblas_diagonal_T1_iil ; -- Begin function _ZN9rocsolver6v33100L18trti2_kernel_smallILi12E19rocblas_complex_numIdEPKPS3_EEv13rocblas_fill_17rocblas_diagonal_T1_iil
	.p2align	8
	.type	_ZN9rocsolver6v33100L18trti2_kernel_smallILi12E19rocblas_complex_numIdEPKPS3_EEv13rocblas_fill_17rocblas_diagonal_T1_iil,@function
_ZN9rocsolver6v33100L18trti2_kernel_smallILi12E19rocblas_complex_numIdEPKPS3_EEv13rocblas_fill_17rocblas_diagonal_T1_iil: ; @_ZN9rocsolver6v33100L18trti2_kernel_smallILi12E19rocblas_complex_numIdEPKPS3_EEv13rocblas_fill_17rocblas_diagonal_T1_iil
; %bb.0:
	v_cmp_gt_u32_e32 vcc, 12, v0
	s_and_saveexec_b64 s[4:5], vcc
	s_cbranch_execz .LBB75_179
; %bb.1:
	s_load_dwordx2 s[8:9], s[0:1], 0x10
	s_load_dwordx4 s[4:7], s[0:1], 0x0
	s_ashr_i32 s3, s2, 31
	s_lshl_b64 s[0:1], s[2:3], 3
	v_lshlrev_b32_e32 v38, 4, v0
	s_waitcnt lgkmcnt(0)
	s_ashr_i32 s3, s8, 31
	s_add_u32 s0, s6, s0
	s_addc_u32 s1, s7, s1
	s_load_dwordx2 s[0:1], s[0:1], 0x0
	s_mov_b32 s2, s8
	s_lshl_b64 s[2:3], s[2:3], 4
	v_mov_b32_e32 v39, 0
	s_waitcnt lgkmcnt(0)
	s_add_u32 s0, s0, s2
	s_addc_u32 s1, s1, s3
	v_lshl_add_u64 v[16:17], s[0:1], 0, v[38:39]
	s_ashr_i32 s3, s9, 31
	s_mov_b32 s2, s9
	v_lshl_add_u64 v[14:15], s[2:3], 4, v[16:17]
	s_add_i32 s2, s9, s9
	v_add_u32_e32 v20, s2, v0
	v_ashrrev_i32_e32 v21, 31, v20
	v_add_u32_e32 v22, s9, v20
	global_load_dwordx4 v[2:5], v38, s[0:1]
	global_load_dwordx4 v[6:9], v[14:15], off
	v_lshl_add_u64 v[18:19], v[20:21], 4, s[0:1]
	v_ashrrev_i32_e32 v23, 31, v22
	global_load_dwordx4 v[10:13], v[18:19], off
	v_lshl_add_u64 v[20:21], v[22:23], 4, s[0:1]
	global_load_dwordx4 v[40:43], v[20:21], off
	v_add_u32_e32 v22, s9, v22
	v_add_u32_e32 v24, s9, v22
	;; [unrolled: 1-line block ×8, first 2 shown]
	v_ashrrev_i32_e32 v23, 31, v22
	v_ashrrev_i32_e32 v25, 31, v24
	;; [unrolled: 1-line block ×3, first 2 shown]
	v_lshl_add_u64 v[22:23], v[22:23], 4, s[0:1]
	v_lshl_add_u64 v[24:25], v[24:25], 4, s[0:1]
	v_ashrrev_i32_e32 v27, 31, v26
	v_ashrrev_i32_e32 v29, 31, v28
	v_lshl_add_u64 v[32:33], v[32:33], 4, s[0:1]
	global_load_dwordx4 v[44:47], v[22:23], off
	v_lshl_add_u64 v[26:27], v[26:27], 4, s[0:1]
	global_load_dwordx4 v[48:51], v[24:25], off
	global_load_dwordx4 v[52:55], v[26:27], off
	v_lshl_add_u64 v[28:29], v[28:29], 4, s[0:1]
	v_ashrrev_i32_e32 v31, 31, v30
	v_ashrrev_i32_e32 v35, 31, v34
	global_load_dwordx4 v[56:59], v[32:33], off
	v_lshl_add_u64 v[30:31], v[30:31], 4, s[0:1]
	v_lshl_add_u64 v[34:35], v[34:35], 4, s[0:1]
	v_ashrrev_i32_e32 v37, 31, v36
	v_lshl_add_u64 v[36:37], v[36:37], 4, s[0:1]
	s_cmpk_lg_i32 s5, 0x84
	s_cselect_b64 s[6:7], -1, 0
	s_cmpk_eq_i32 s5, 0x84
	s_waitcnt vmcnt(7)
	scratch_store_dwordx4 off, v[2:5], off
	s_waitcnt vmcnt(7)
	scratch_store_dwordx4 off, v[6:9], off offset:16
	global_load_dwordx4 v[2:5], v[28:29], off
	s_nop 0
	global_load_dwordx4 v[6:9], v[30:31], off
	s_waitcnt vmcnt(9)
	scratch_store_dwordx4 off, v[10:13], off offset:32
	s_waitcnt vmcnt(9)
	scratch_store_dwordx4 off, v[40:43], off offset:48
	global_load_dwordx4 v[40:43], v[34:35], off
	s_nop 0
	global_load_dwordx4 v[60:63], v[36:37], off
	v_mov_b32_e32 v12, 0
	s_waitcnt vmcnt(11)
	scratch_store_dwordx4 off, v[44:47], off offset:64
	s_waitcnt vmcnt(11)
	scratch_store_dwordx4 off, v[48:51], off offset:80
	;; [unrolled: 2-line block ×7, first 2 shown]
	scratch_store_dwordx4 off, v[56:59], off offset:176
	s_cbranch_scc1 .LBB75_7
; %bb.2:
	scratch_load_dwordx4 v[2:5], v38, off
                                        ; implicit-def: $vgpr10_vgpr11
	s_waitcnt vmcnt(0)
	v_xor_b32_e32 v1, 0x80000000, v3
	v_cmp_gt_f64_e32 vcc, 0, v[2:3]
	v_xor_b32_e32 v8, 0x80000000, v5
	v_mov_b32_e32 v6, v2
	v_cndmask_b32_e32 v7, v3, v1, vcc
	v_cmp_gt_f64_e32 vcc, 0, v[4:5]
	s_nop 1
	v_cndmask_b32_e32 v9, v5, v8, vcc
	v_mov_b32_e32 v8, v4
	v_cmp_ngt_f64_e32 vcc, v[6:7], v[8:9]
                                        ; implicit-def: $vgpr6_vgpr7
	s_and_saveexec_b64 s[0:1], vcc
	s_xor_b64 s[0:1], exec, s[0:1]
	s_cbranch_execz .LBB75_4
; %bb.3:
	v_div_scale_f64 v[6:7], s[2:3], v[4:5], v[4:5], v[2:3]
	v_rcp_f64_e32 v[8:9], v[6:7]
	v_div_scale_f64 v[10:11], vcc, v[2:3], v[4:5], v[2:3]
	v_fma_f64 v[40:41], -v[6:7], v[8:9], 1.0
	v_fmac_f64_e32 v[8:9], v[8:9], v[40:41]
	v_fma_f64 v[40:41], -v[6:7], v[8:9], 1.0
	v_fmac_f64_e32 v[8:9], v[8:9], v[40:41]
	v_mul_f64 v[40:41], v[10:11], v[8:9]
	v_fma_f64 v[6:7], -v[6:7], v[40:41], v[10:11]
	v_div_fmas_f64 v[6:7], v[6:7], v[8:9], v[40:41]
	v_div_fixup_f64 v[6:7], v[6:7], v[4:5], v[2:3]
	v_fmac_f64_e32 v[4:5], v[2:3], v[6:7]
	v_div_scale_f64 v[2:3], s[2:3], v[4:5], v[4:5], 1.0
	v_rcp_f64_e32 v[8:9], v[2:3]
	s_nop 0
	v_fma_f64 v[10:11], -v[2:3], v[8:9], 1.0
	v_fmac_f64_e32 v[8:9], v[8:9], v[10:11]
	v_fma_f64 v[10:11], -v[2:3], v[8:9], 1.0
	v_fmac_f64_e32 v[8:9], v[8:9], v[10:11]
	v_div_scale_f64 v[10:11], vcc, 1.0, v[4:5], 1.0
	v_mul_f64 v[40:41], v[10:11], v[8:9]
	v_fma_f64 v[2:3], -v[2:3], v[40:41], v[10:11]
	s_nop 1
	v_div_fmas_f64 v[2:3], v[2:3], v[8:9], v[40:41]
	v_div_fixup_f64 v[8:9], v[2:3], v[4:5], 1.0
	v_mul_f64 v[6:7], v[6:7], v[8:9]
	v_xor_b32_e32 v9, 0x80000000, v9
	v_xor_b32_e32 v11, 0x80000000, v7
	v_mov_b32_e32 v10, v6
                                        ; implicit-def: $vgpr2_vgpr3
.LBB75_4:
	s_or_saveexec_b64 s[0:1], s[0:1]
	v_add_u32_e32 v1, 0, v38
	s_xor_b64 exec, exec, s[0:1]
	s_cbranch_execz .LBB75_6
; %bb.5:
	v_div_scale_f64 v[6:7], s[2:3], v[2:3], v[2:3], v[4:5]
	v_rcp_f64_e32 v[8:9], v[6:7]
	v_div_scale_f64 v[10:11], vcc, v[4:5], v[2:3], v[4:5]
	v_fma_f64 v[40:41], -v[6:7], v[8:9], 1.0
	v_fmac_f64_e32 v[8:9], v[8:9], v[40:41]
	v_fma_f64 v[40:41], -v[6:7], v[8:9], 1.0
	v_fmac_f64_e32 v[8:9], v[8:9], v[40:41]
	v_mul_f64 v[40:41], v[10:11], v[8:9]
	v_fma_f64 v[6:7], -v[6:7], v[40:41], v[10:11]
	v_div_fmas_f64 v[6:7], v[6:7], v[8:9], v[40:41]
	v_div_fixup_f64 v[8:9], v[6:7], v[2:3], v[4:5]
	v_fmac_f64_e32 v[2:3], v[4:5], v[8:9]
	v_div_scale_f64 v[4:5], s[2:3], v[2:3], v[2:3], 1.0
	v_rcp_f64_e32 v[6:7], v[4:5]
	s_nop 0
	v_fma_f64 v[10:11], -v[4:5], v[6:7], 1.0
	v_fmac_f64_e32 v[6:7], v[6:7], v[10:11]
	v_fma_f64 v[10:11], -v[4:5], v[6:7], 1.0
	v_fmac_f64_e32 v[6:7], v[6:7], v[10:11]
	v_div_scale_f64 v[10:11], vcc, 1.0, v[2:3], 1.0
	v_mul_f64 v[40:41], v[10:11], v[6:7]
	v_fma_f64 v[4:5], -v[4:5], v[40:41], v[10:11]
	s_nop 1
	v_div_fmas_f64 v[4:5], v[4:5], v[6:7], v[40:41]
	v_div_fixup_f64 v[6:7], v[4:5], v[2:3], 1.0
	v_xor_b32_e32 v11, 0x80000000, v7
	v_mov_b32_e32 v10, v6
	v_mul_f64 v[8:9], v[8:9], -v[6:7]
.LBB75_6:
	s_or_b64 exec, exec, s[0:1]
	scratch_store_dwordx4 v1, v[6:9], off
	s_nop 1
	v_xor_b32_e32 v9, 0x80000000, v9
	s_branch .LBB75_8
.LBB75_7:
	v_mov_b64_e32 v[8:9], 0
	v_mov_b64_e32 v[10:11], -1.0
.LBB75_8:
	v_add_u32_e32 v41, 16, v12
	v_add_u32_e32 v44, 32, v12
	;; [unrolled: 1-line block ×11, first 2 shown]
	v_mov_b32_e32 v12, v8
	v_mov_b32_e32 v13, v9
	s_cmpk_eq_i32 s4, 0x79
	v_add_u32_e32 v9, 0xc0, v38
	v_add_u32_e32 v8, 0, v38
	ds_write_b128 v38, v[10:13]
	s_cbranch_scc1 .LBB75_92
; %bb.9:
	scratch_load_dwordx4 v[2:5], v1, off
	v_cmp_eq_u32_e64 s[0:1], 11, v0
	s_waitcnt vmcnt(0)
	ds_write_b128 v9, v[2:5]
	s_waitcnt lgkmcnt(0)
	; wave barrier
	s_waitcnt lgkmcnt(0)
	s_and_saveexec_b64 s[2:3], s[0:1]
	s_cbranch_execz .LBB75_13
; %bb.10:
	ds_read_b128 v[2:5], v9
	s_andn2_b64 vcc, exec, s[6:7]
	s_cbranch_vccnz .LBB75_12
; %bb.11:
	scratch_load_dwordx4 v[10:13], v8, off
	s_waitcnt vmcnt(0) lgkmcnt(0)
	v_mul_f64 v[6:7], v[4:5], v[12:13]
	v_mul_f64 v[12:13], v[2:3], v[12:13]
	v_fmac_f64_e32 v[12:13], v[4:5], v[10:11]
	v_fma_f64 v[2:3], v[2:3], v[10:11], -v[6:7]
	v_mov_b64_e32 v[4:5], v[12:13]
.LBB75_12:
	v_mov_b32_e32 v6, 0
	ds_read_b128 v[10:13], v6 offset:160
	s_waitcnt lgkmcnt(0)
	v_mul_f64 v[6:7], v[4:5], v[12:13]
	v_mul_f64 v[52:53], v[2:3], v[12:13]
	v_fma_f64 v[50:51], v[2:3], v[10:11], -v[6:7]
	v_fmac_f64_e32 v[52:53], v[4:5], v[10:11]
	scratch_store_dwordx4 off, v[50:53], off offset:160
.LBB75_13:
	s_or_b64 exec, exec, s[2:3]
	scratch_load_dwordx4 v[2:5], v42, off
	v_cmp_lt_u32_e64 s[2:3], 9, v0
	s_waitcnt vmcnt(0)
	ds_write_b128 v9, v[2:5]
	s_waitcnt lgkmcnt(0)
	; wave barrier
	s_waitcnt lgkmcnt(0)
	s_and_saveexec_b64 s[4:5], s[2:3]
	s_cbranch_execz .LBB75_19
; %bb.14:
	ds_read_b128 v[2:5], v9
	s_andn2_b64 vcc, exec, s[6:7]
	s_cbranch_vccnz .LBB75_16
; %bb.15:
	scratch_load_dwordx4 v[10:13], v8, off
	s_waitcnt vmcnt(0) lgkmcnt(0)
	v_mul_f64 v[6:7], v[4:5], v[12:13]
	v_mul_f64 v[12:13], v[2:3], v[12:13]
	v_fmac_f64_e32 v[12:13], v[4:5], v[10:11]
	v_fma_f64 v[2:3], v[2:3], v[10:11], -v[6:7]
	v_mov_b64_e32 v[4:5], v[12:13]
.LBB75_16:
	s_and_saveexec_b64 s[8:9], s[0:1]
	s_cbranch_execz .LBB75_18
; %bb.17:
	scratch_load_dwordx4 v[10:13], off, off offset:160
	v_mov_b32_e32 v6, 0
	ds_read_b128 v[50:53], v6 offset:352
	s_waitcnt vmcnt(0) lgkmcnt(0)
	v_mul_f64 v[6:7], v[50:51], v[12:13]
	v_mul_f64 v[12:13], v[52:53], v[12:13]
	v_fmac_f64_e32 v[6:7], v[52:53], v[10:11]
	v_fma_f64 v[10:11], v[50:51], v[10:11], -v[12:13]
	v_add_f64 v[4:5], v[4:5], v[6:7]
	v_add_f64 v[2:3], v[2:3], v[10:11]
.LBB75_18:
	s_or_b64 exec, exec, s[8:9]
	v_mov_b32_e32 v6, 0
	ds_read_b128 v[10:13], v6 offset:144
	s_waitcnt lgkmcnt(0)
	v_mul_f64 v[6:7], v[4:5], v[12:13]
	v_mul_f64 v[52:53], v[2:3], v[12:13]
	v_fma_f64 v[50:51], v[2:3], v[10:11], -v[6:7]
	v_fmac_f64_e32 v[52:53], v[4:5], v[10:11]
	scratch_store_dwordx4 off, v[50:53], off offset:144
.LBB75_19:
	s_or_b64 exec, exec, s[4:5]
	scratch_load_dwordx4 v[2:5], v40, off
	v_cmp_lt_u32_e64 s[0:1], 8, v0
	s_waitcnt vmcnt(0)
	ds_write_b128 v9, v[2:5]
	s_waitcnt lgkmcnt(0)
	; wave barrier
	s_waitcnt lgkmcnt(0)
	s_and_saveexec_b64 s[4:5], s[0:1]
	s_cbranch_execz .LBB75_27
; %bb.20:
	ds_read_b128 v[2:5], v9
	s_andn2_b64 vcc, exec, s[6:7]
	s_cbranch_vccnz .LBB75_22
; %bb.21:
	scratch_load_dwordx4 v[10:13], v8, off
	s_waitcnt vmcnt(0) lgkmcnt(0)
	v_mul_f64 v[6:7], v[4:5], v[12:13]
	v_mul_f64 v[12:13], v[2:3], v[12:13]
	v_fmac_f64_e32 v[12:13], v[4:5], v[10:11]
	v_fma_f64 v[2:3], v[2:3], v[10:11], -v[6:7]
	v_mov_b64_e32 v[4:5], v[12:13]
.LBB75_22:
	s_and_saveexec_b64 s[8:9], s[2:3]
	s_cbranch_execz .LBB75_26
; %bb.23:
	v_mov_b32_e32 v7, 0
	v_add_u32_e32 v6, -9, v0
	v_add_u32_e32 v7, 0x98, v7
	s_movk_i32 s10, 0x150
	s_mov_b64 s[2:3], 0
.LBB75_24:                              ; =>This Inner Loop Header: Depth=1
	v_add_u32_e32 v10, -8, v7
	scratch_load_dwordx4 v[10:13], v10, off
	v_mov_b32_e32 v49, s10
	ds_read_b128 v[50:53], v49
	v_add_u32_e32 v6, -1, v6
	s_add_i32 s10, s10, 16
	v_cmp_eq_u32_e32 vcc, 0, v6
	v_add_u32_e32 v7, 16, v7
	s_or_b64 s[2:3], vcc, s[2:3]
	s_waitcnt vmcnt(0) lgkmcnt(0)
	v_mul_f64 v[54:55], v[52:53], v[12:13]
	v_mul_f64 v[12:13], v[50:51], v[12:13]
	v_fma_f64 v[50:51], v[50:51], v[10:11], -v[54:55]
	v_fmac_f64_e32 v[12:13], v[52:53], v[10:11]
	v_add_f64 v[2:3], v[2:3], v[50:51]
	v_add_f64 v[4:5], v[4:5], v[12:13]
	s_andn2_b64 exec, exec, s[2:3]
	s_cbranch_execnz .LBB75_24
; %bb.25:
	s_or_b64 exec, exec, s[2:3]
.LBB75_26:
	s_or_b64 exec, exec, s[8:9]
	v_mov_b32_e32 v6, 0
	ds_read_b128 v[10:13], v6 offset:128
	s_waitcnt lgkmcnt(0)
	v_mul_f64 v[6:7], v[4:5], v[12:13]
	v_mul_f64 v[52:53], v[2:3], v[12:13]
	v_fma_f64 v[50:51], v[2:3], v[10:11], -v[6:7]
	v_fmac_f64_e32 v[52:53], v[4:5], v[10:11]
	scratch_store_dwordx4 off, v[50:53], off offset:128
.LBB75_27:
	s_or_b64 exec, exec, s[4:5]
	scratch_load_dwordx4 v[2:5], v48, off
	v_cmp_lt_u32_e64 s[2:3], 7, v0
	s_waitcnt vmcnt(0)
	ds_write_b128 v9, v[2:5]
	s_waitcnt lgkmcnt(0)
	; wave barrier
	s_waitcnt lgkmcnt(0)
	s_and_saveexec_b64 s[4:5], s[2:3]
	s_cbranch_execz .LBB75_35
; %bb.28:
	ds_read_b128 v[2:5], v9
	s_andn2_b64 vcc, exec, s[6:7]
	s_cbranch_vccnz .LBB75_30
; %bb.29:
	scratch_load_dwordx4 v[10:13], v8, off
	s_waitcnt vmcnt(0) lgkmcnt(0)
	v_mul_f64 v[6:7], v[4:5], v[12:13]
	v_mul_f64 v[12:13], v[2:3], v[12:13]
	v_fmac_f64_e32 v[12:13], v[4:5], v[10:11]
	v_fma_f64 v[2:3], v[2:3], v[10:11], -v[6:7]
	v_mov_b64_e32 v[4:5], v[12:13]
.LBB75_30:
	s_and_saveexec_b64 s[8:9], s[0:1]
	s_cbranch_execz .LBB75_34
; %bb.31:
	v_mov_b32_e32 v7, 0
	v_add_u32_e32 v6, -8, v0
	v_add_u32_e32 v7, 0x88, v7
	s_movk_i32 s10, 0x140
	s_mov_b64 s[0:1], 0
.LBB75_32:                              ; =>This Inner Loop Header: Depth=1
	v_add_u32_e32 v10, -8, v7
	scratch_load_dwordx4 v[10:13], v10, off
	v_mov_b32_e32 v49, s10
	ds_read_b128 v[50:53], v49
	v_add_u32_e32 v6, -1, v6
	s_add_i32 s10, s10, 16
	v_cmp_eq_u32_e32 vcc, 0, v6
	v_add_u32_e32 v7, 16, v7
	s_or_b64 s[0:1], vcc, s[0:1]
	s_waitcnt vmcnt(0) lgkmcnt(0)
	v_mul_f64 v[54:55], v[52:53], v[12:13]
	v_mul_f64 v[12:13], v[50:51], v[12:13]
	v_fma_f64 v[50:51], v[50:51], v[10:11], -v[54:55]
	v_fmac_f64_e32 v[12:13], v[52:53], v[10:11]
	v_add_f64 v[2:3], v[2:3], v[50:51]
	v_add_f64 v[4:5], v[4:5], v[12:13]
	s_andn2_b64 exec, exec, s[0:1]
	s_cbranch_execnz .LBB75_32
; %bb.33:
	s_or_b64 exec, exec, s[0:1]
.LBB75_34:
	s_or_b64 exec, exec, s[8:9]
	v_mov_b32_e32 v6, 0
	ds_read_b128 v[10:13], v6 offset:112
	s_waitcnt lgkmcnt(0)
	v_mul_f64 v[6:7], v[4:5], v[12:13]
	v_mul_f64 v[52:53], v[2:3], v[12:13]
	v_fma_f64 v[50:51], v[2:3], v[10:11], -v[6:7]
	v_fmac_f64_e32 v[52:53], v[4:5], v[10:11]
	scratch_store_dwordx4 off, v[50:53], off offset:112
.LBB75_35:
	;; [unrolled: 63-line block ×8, first 2 shown]
	s_or_b64 exec, exec, s[2:3]
	scratch_load_dwordx4 v[2:5], off, off
	v_cmp_ne_u32_e32 vcc, 0, v0
	s_mov_b64 s[2:3], 0
	s_mov_b64 s[4:5], 0
                                        ; implicit-def: $vgpr6_vgpr7
                                        ; implicit-def: $vgpr10
	s_waitcnt vmcnt(0)
	ds_write_b128 v9, v[2:5]
	s_waitcnt lgkmcnt(0)
	; wave barrier
	s_waitcnt lgkmcnt(0)
	s_and_saveexec_b64 s[8:9], vcc
	s_cbranch_execz .LBB75_91
; %bb.84:
	ds_read_b128 v[2:5], v9
	s_andn2_b64 vcc, exec, s[6:7]
	s_cbranch_vccnz .LBB75_86
; %bb.85:
	scratch_load_dwordx4 v[10:13], v8, off
	s_waitcnt vmcnt(0) lgkmcnt(0)
	v_mul_f64 v[6:7], v[4:5], v[12:13]
	v_mul_f64 v[12:13], v[2:3], v[12:13]
	v_fmac_f64_e32 v[12:13], v[4:5], v[10:11]
	v_fma_f64 v[2:3], v[2:3], v[10:11], -v[6:7]
	v_mov_b64_e32 v[4:5], v[12:13]
.LBB75_86:
	s_and_saveexec_b64 s[4:5], s[0:1]
	s_cbranch_execz .LBB75_90
; %bb.87:
	v_mov_b32_e32 v7, 0
	v_add_u32_e32 v6, -1, v0
	v_add_u32_e32 v7, 24, v7
	s_movk_i32 s10, 0xd0
	s_mov_b64 s[0:1], 0
.LBB75_88:                              ; =>This Inner Loop Header: Depth=1
	v_add_u32_e32 v10, -8, v7
	scratch_load_dwordx4 v[10:13], v10, off
	v_mov_b32_e32 v49, s10
	ds_read_b128 v[50:53], v49
	v_add_u32_e32 v6, -1, v6
	s_add_i32 s10, s10, 16
	v_cmp_eq_u32_e32 vcc, 0, v6
	v_add_u32_e32 v7, 16, v7
	s_or_b64 s[0:1], vcc, s[0:1]
	s_waitcnt vmcnt(0) lgkmcnt(0)
	v_mul_f64 v[54:55], v[52:53], v[12:13]
	v_mul_f64 v[12:13], v[50:51], v[12:13]
	v_fma_f64 v[50:51], v[50:51], v[10:11], -v[54:55]
	v_fmac_f64_e32 v[12:13], v[52:53], v[10:11]
	v_add_f64 v[2:3], v[2:3], v[50:51]
	v_add_f64 v[4:5], v[4:5], v[12:13]
	s_andn2_b64 exec, exec, s[0:1]
	s_cbranch_execnz .LBB75_88
; %bb.89:
	s_or_b64 exec, exec, s[0:1]
.LBB75_90:
	s_or_b64 exec, exec, s[4:5]
	v_mov_b32_e32 v6, 0
	ds_read_b128 v[50:53], v6
	v_mov_b32_e32 v6, 0
	v_or_b32_e32 v10, 8, v6
	s_mov_b64 s[4:5], exec
	s_waitcnt lgkmcnt(0)
	v_mul_f64 v[12:13], v[4:5], v[52:53]
	v_mul_f64 v[6:7], v[2:3], v[52:53]
	v_fma_f64 v[2:3], v[2:3], v[50:51], -v[12:13]
	v_fmac_f64_e32 v[6:7], v[4:5], v[50:51]
	scratch_store_dwordx2 off, v[2:3], off
.LBB75_91:
	s_or_b64 exec, exec, s[8:9]
	s_and_b64 vcc, exec, s[2:3]
	s_cbranch_vccnz .LBB75_93
	s_branch .LBB75_176
.LBB75_92:
	s_mov_b64 s[4:5], 0
                                        ; implicit-def: $vgpr6_vgpr7
                                        ; implicit-def: $vgpr10
	s_cbranch_execz .LBB75_176
.LBB75_93:
	scratch_load_dwordx4 v[2:5], v41, off
	v_cndmask_b32_e64 v6, 0, 1, s[6:7]
	v_cmp_eq_u32_e64 s[2:3], 0, v0
	v_cmp_ne_u32_e64 s[0:1], 1, v6
	s_waitcnt vmcnt(0)
	ds_write_b128 v9, v[2:5]
	s_waitcnt lgkmcnt(0)
	; wave barrier
	s_waitcnt lgkmcnt(0)
	s_and_saveexec_b64 s[6:7], s[2:3]
	s_cbranch_execz .LBB75_97
; %bb.94:
	ds_read_b128 v[2:5], v9
	s_and_b64 vcc, exec, s[0:1]
	s_cbranch_vccnz .LBB75_96
; %bb.95:
	scratch_load_dwordx4 v[10:13], v8, off
	s_waitcnt vmcnt(0) lgkmcnt(0)
	v_mul_f64 v[6:7], v[4:5], v[12:13]
	v_mul_f64 v[12:13], v[2:3], v[12:13]
	v_fmac_f64_e32 v[12:13], v[4:5], v[10:11]
	v_fma_f64 v[2:3], v[2:3], v[10:11], -v[6:7]
	v_mov_b64_e32 v[4:5], v[12:13]
.LBB75_96:
	v_mov_b32_e32 v6, 0
	ds_read_b128 v[10:13], v6 offset:16
	s_waitcnt lgkmcnt(0)
	v_mul_f64 v[6:7], v[4:5], v[12:13]
	v_mul_f64 v[52:53], v[2:3], v[12:13]
	v_fma_f64 v[50:51], v[2:3], v[10:11], -v[6:7]
	v_fmac_f64_e32 v[52:53], v[4:5], v[10:11]
	scratch_store_dwordx4 off, v[50:53], off offset:16
.LBB75_97:
	s_or_b64 exec, exec, s[6:7]
	scratch_load_dwordx4 v[2:5], v44, off
	v_cmp_gt_u32_e32 vcc, 2, v0
	s_waitcnt vmcnt(0)
	ds_write_b128 v9, v[2:5]
	s_waitcnt lgkmcnt(0)
	; wave barrier
	s_waitcnt lgkmcnt(0)
	s_and_saveexec_b64 s[6:7], vcc
	s_cbranch_execz .LBB75_103
; %bb.98:
	ds_read_b128 v[2:5], v9
	s_and_b64 vcc, exec, s[0:1]
	s_cbranch_vccnz .LBB75_100
; %bb.99:
	scratch_load_dwordx4 v[10:13], v8, off
	s_waitcnt vmcnt(0) lgkmcnt(0)
	v_mul_f64 v[6:7], v[4:5], v[12:13]
	v_mul_f64 v[12:13], v[2:3], v[12:13]
	v_fmac_f64_e32 v[12:13], v[4:5], v[10:11]
	v_fma_f64 v[2:3], v[2:3], v[10:11], -v[6:7]
	v_mov_b64_e32 v[4:5], v[12:13]
.LBB75_100:
	s_and_saveexec_b64 s[8:9], s[2:3]
	s_cbranch_execz .LBB75_102
; %bb.101:
	scratch_load_dwordx4 v[10:13], v8, off offset:16
	ds_read_b128 v[50:53], v9 offset:16
	s_waitcnt vmcnt(0) lgkmcnt(0)
	v_mul_f64 v[6:7], v[52:53], v[12:13]
	v_mul_f64 v[12:13], v[50:51], v[12:13]
	v_fma_f64 v[6:7], v[50:51], v[10:11], -v[6:7]
	v_fmac_f64_e32 v[12:13], v[52:53], v[10:11]
	v_add_f64 v[2:3], v[2:3], v[6:7]
	v_add_f64 v[4:5], v[4:5], v[12:13]
.LBB75_102:
	s_or_b64 exec, exec, s[8:9]
	v_mov_b32_e32 v6, 0
	ds_read_b128 v[10:13], v6 offset:32
	s_waitcnt lgkmcnt(0)
	v_mul_f64 v[6:7], v[4:5], v[12:13]
	v_mul_f64 v[52:53], v[2:3], v[12:13]
	v_fma_f64 v[50:51], v[2:3], v[10:11], -v[6:7]
	v_fmac_f64_e32 v[52:53], v[4:5], v[10:11]
	scratch_store_dwordx4 off, v[50:53], off offset:32
.LBB75_103:
	s_or_b64 exec, exec, s[6:7]
	scratch_load_dwordx4 v[2:5], v43, off
	v_cmp_gt_u32_e32 vcc, 3, v0
	s_waitcnt vmcnt(0)
	ds_write_b128 v9, v[2:5]
	s_waitcnt lgkmcnt(0)
	; wave barrier
	s_waitcnt lgkmcnt(0)
	s_and_saveexec_b64 s[6:7], vcc
	s_cbranch_execz .LBB75_111
; %bb.104:
	ds_read_b128 v[2:5], v9
	s_and_b64 vcc, exec, s[0:1]
	s_cbranch_vccnz .LBB75_106
; %bb.105:
	scratch_load_dwordx4 v[10:13], v8, off
	s_waitcnt vmcnt(0) lgkmcnt(0)
	v_mul_f64 v[6:7], v[4:5], v[12:13]
	v_mul_f64 v[12:13], v[2:3], v[12:13]
	v_fmac_f64_e32 v[12:13], v[4:5], v[10:11]
	v_fma_f64 v[2:3], v[2:3], v[10:11], -v[6:7]
	v_mov_b64_e32 v[4:5], v[12:13]
.LBB75_106:
	v_cmp_ne_u32_e32 vcc, 2, v0
	s_and_saveexec_b64 s[8:9], vcc
	s_cbranch_execz .LBB75_110
; %bb.107:
	scratch_load_dwordx4 v[10:13], v8, off offset:16
	ds_read_b128 v[50:53], v9 offset:16
	s_waitcnt vmcnt(0) lgkmcnt(0)
	v_mul_f64 v[6:7], v[52:53], v[12:13]
	v_mul_f64 v[12:13], v[50:51], v[12:13]
	v_fma_f64 v[6:7], v[50:51], v[10:11], -v[6:7]
	v_fmac_f64_e32 v[12:13], v[52:53], v[10:11]
	v_add_f64 v[2:3], v[2:3], v[6:7]
	v_add_f64 v[4:5], v[4:5], v[12:13]
	s_and_saveexec_b64 s[10:11], s[2:3]
	s_cbranch_execz .LBB75_109
; %bb.108:
	scratch_load_dwordx4 v[10:13], off, off offset:32
	v_mov_b32_e32 v6, 0
	ds_read_b128 v[50:53], v6 offset:224
	s_waitcnt vmcnt(0) lgkmcnt(0)
	v_mul_f64 v[6:7], v[50:51], v[12:13]
	v_mul_f64 v[12:13], v[52:53], v[12:13]
	v_fmac_f64_e32 v[6:7], v[52:53], v[10:11]
	v_fma_f64 v[10:11], v[50:51], v[10:11], -v[12:13]
	v_add_f64 v[4:5], v[4:5], v[6:7]
	v_add_f64 v[2:3], v[2:3], v[10:11]
.LBB75_109:
	s_or_b64 exec, exec, s[10:11]
.LBB75_110:
	s_or_b64 exec, exec, s[8:9]
	v_mov_b32_e32 v6, 0
	ds_read_b128 v[10:13], v6 offset:48
	s_waitcnt lgkmcnt(0)
	v_mul_f64 v[6:7], v[4:5], v[12:13]
	v_mul_f64 v[52:53], v[2:3], v[12:13]
	v_fma_f64 v[50:51], v[2:3], v[10:11], -v[6:7]
	v_fmac_f64_e32 v[52:53], v[4:5], v[10:11]
	scratch_store_dwordx4 off, v[50:53], off offset:48
.LBB75_111:
	s_or_b64 exec, exec, s[6:7]
	scratch_load_dwordx4 v[2:5], v45, off
	v_cmp_gt_u32_e32 vcc, 4, v0
	s_waitcnt vmcnt(0)
	ds_write_b128 v9, v[2:5]
	s_waitcnt lgkmcnt(0)
	; wave barrier
	s_waitcnt lgkmcnt(0)
	s_and_saveexec_b64 s[2:3], vcc
	s_cbranch_execz .LBB75_119
; %bb.112:
	ds_read_b128 v[2:5], v9
	s_and_b64 vcc, exec, s[0:1]
	s_cbranch_vccnz .LBB75_114
; %bb.113:
	scratch_load_dwordx4 v[10:13], v8, off
	s_waitcnt vmcnt(0) lgkmcnt(0)
	v_mul_f64 v[6:7], v[4:5], v[12:13]
	v_mul_f64 v[12:13], v[2:3], v[12:13]
	v_fmac_f64_e32 v[12:13], v[4:5], v[10:11]
	v_fma_f64 v[2:3], v[2:3], v[10:11], -v[6:7]
	v_mov_b64_e32 v[4:5], v[12:13]
.LBB75_114:
	v_cmp_ne_u32_e32 vcc, 3, v0
	s_and_saveexec_b64 s[6:7], vcc
	s_cbranch_execz .LBB75_118
; %bb.115:
	v_mov_b32_e32 v7, 0
	v_add_u32_e32 v6, 0xd0, v38
	v_add3_u32 v7, v38, v7, 24
	s_mov_b64 s[8:9], 0
	v_mov_b32_e32 v10, v0
.LBB75_116:                             ; =>This Inner Loop Header: Depth=1
	v_add_u32_e32 v11, -8, v7
	scratch_load_dwordx4 v[50:53], v11, off
	ds_read_b128 v[54:57], v6
	v_add_u32_e32 v10, 1, v10
	v_cmp_lt_u32_e32 vcc, 2, v10
	v_add_u32_e32 v6, 16, v6
	v_add_u32_e32 v7, 16, v7
	s_or_b64 s[8:9], vcc, s[8:9]
	s_waitcnt vmcnt(0) lgkmcnt(0)
	v_mul_f64 v[12:13], v[56:57], v[52:53]
	v_mul_f64 v[52:53], v[54:55], v[52:53]
	v_fma_f64 v[12:13], v[54:55], v[50:51], -v[12:13]
	v_fmac_f64_e32 v[52:53], v[56:57], v[50:51]
	v_add_f64 v[2:3], v[2:3], v[12:13]
	v_add_f64 v[4:5], v[4:5], v[52:53]
	s_andn2_b64 exec, exec, s[8:9]
	s_cbranch_execnz .LBB75_116
; %bb.117:
	s_or_b64 exec, exec, s[8:9]
.LBB75_118:
	s_or_b64 exec, exec, s[6:7]
	v_mov_b32_e32 v6, 0
	ds_read_b128 v[10:13], v6 offset:64
	s_waitcnt lgkmcnt(0)
	v_mul_f64 v[6:7], v[4:5], v[12:13]
	v_mul_f64 v[52:53], v[2:3], v[12:13]
	v_fma_f64 v[50:51], v[2:3], v[10:11], -v[6:7]
	v_fmac_f64_e32 v[52:53], v[4:5], v[10:11]
	scratch_store_dwordx4 off, v[50:53], off offset:64
.LBB75_119:
	s_or_b64 exec, exec, s[2:3]
	scratch_load_dwordx4 v[2:5], v47, off
	v_cmp_gt_u32_e32 vcc, 5, v0
	s_waitcnt vmcnt(0)
	ds_write_b128 v9, v[2:5]
	s_waitcnt lgkmcnt(0)
	; wave barrier
	s_waitcnt lgkmcnt(0)
	s_and_saveexec_b64 s[2:3], vcc
	s_cbranch_execz .LBB75_127
; %bb.120:
	ds_read_b128 v[2:5], v9
	s_and_b64 vcc, exec, s[0:1]
	s_cbranch_vccnz .LBB75_122
; %bb.121:
	scratch_load_dwordx4 v[10:13], v8, off
	s_waitcnt vmcnt(0) lgkmcnt(0)
	v_mul_f64 v[6:7], v[4:5], v[12:13]
	v_mul_f64 v[12:13], v[2:3], v[12:13]
	v_fmac_f64_e32 v[12:13], v[4:5], v[10:11]
	v_fma_f64 v[2:3], v[2:3], v[10:11], -v[6:7]
	v_mov_b64_e32 v[4:5], v[12:13]
.LBB75_122:
	v_cmp_ne_u32_e32 vcc, 4, v0
	s_and_saveexec_b64 s[6:7], vcc
	s_cbranch_execz .LBB75_126
; %bb.123:
	v_mov_b32_e32 v7, 0
	v_add_u32_e32 v6, 0xd0, v38
	v_add3_u32 v7, v38, v7, 24
	s_mov_b64 s[8:9], 0
	v_mov_b32_e32 v10, v0
.LBB75_124:                             ; =>This Inner Loop Header: Depth=1
	v_add_u32_e32 v11, -8, v7
	scratch_load_dwordx4 v[50:53], v11, off
	ds_read_b128 v[54:57], v6
	v_add_u32_e32 v10, 1, v10
	v_cmp_lt_u32_e32 vcc, 3, v10
	v_add_u32_e32 v6, 16, v6
	v_add_u32_e32 v7, 16, v7
	s_or_b64 s[8:9], vcc, s[8:9]
	s_waitcnt vmcnt(0) lgkmcnt(0)
	v_mul_f64 v[12:13], v[56:57], v[52:53]
	v_mul_f64 v[52:53], v[54:55], v[52:53]
	v_fma_f64 v[12:13], v[54:55], v[50:51], -v[12:13]
	v_fmac_f64_e32 v[52:53], v[56:57], v[50:51]
	v_add_f64 v[2:3], v[2:3], v[12:13]
	v_add_f64 v[4:5], v[4:5], v[52:53]
	s_andn2_b64 exec, exec, s[8:9]
	s_cbranch_execnz .LBB75_124
; %bb.125:
	s_or_b64 exec, exec, s[8:9]
.LBB75_126:
	s_or_b64 exec, exec, s[6:7]
	v_mov_b32_e32 v6, 0
	ds_read_b128 v[10:13], v6 offset:80
	s_waitcnt lgkmcnt(0)
	v_mul_f64 v[6:7], v[4:5], v[12:13]
	v_mul_f64 v[52:53], v[2:3], v[12:13]
	v_fma_f64 v[50:51], v[2:3], v[10:11], -v[6:7]
	v_fmac_f64_e32 v[52:53], v[4:5], v[10:11]
	scratch_store_dwordx4 off, v[50:53], off offset:80
.LBB75_127:
	;; [unrolled: 63-line block ×6, first 2 shown]
	s_or_b64 exec, exec, s[2:3]
	scratch_load_dwordx4 v[2:5], v1, off
	v_cmp_gt_u32_e64 s[2:3], 10, v0
	s_waitcnt vmcnt(0)
	ds_write_b128 v9, v[2:5]
	s_waitcnt lgkmcnt(0)
	; wave barrier
	s_waitcnt lgkmcnt(0)
	s_and_saveexec_b64 s[6:7], s[2:3]
	s_cbranch_execz .LBB75_167
; %bb.160:
	ds_read_b128 v[2:5], v9
	s_and_b64 vcc, exec, s[0:1]
	s_cbranch_vccnz .LBB75_162
; %bb.161:
	scratch_load_dwordx4 v[10:13], v8, off
	s_waitcnt vmcnt(0) lgkmcnt(0)
	v_mul_f64 v[6:7], v[4:5], v[12:13]
	v_mul_f64 v[12:13], v[2:3], v[12:13]
	v_fmac_f64_e32 v[12:13], v[4:5], v[10:11]
	v_fma_f64 v[2:3], v[2:3], v[10:11], -v[6:7]
	v_mov_b64_e32 v[4:5], v[12:13]
.LBB75_162:
	v_cmp_ne_u32_e32 vcc, 9, v0
	s_and_saveexec_b64 s[8:9], vcc
	s_cbranch_execz .LBB75_166
; %bb.163:
	v_mov_b32_e32 v7, 0
	v_add_u32_e32 v6, 0xd0, v38
	v_add3_u32 v7, v38, v7, 24
	s_mov_b64 s[10:11], 0
	v_mov_b32_e32 v10, v0
.LBB75_164:                             ; =>This Inner Loop Header: Depth=1
	v_add_u32_e32 v11, -8, v7
	scratch_load_dwordx4 v[50:53], v11, off
	ds_read_b128 v[54:57], v6
	v_add_u32_e32 v10, 1, v10
	v_cmp_lt_u32_e32 vcc, 8, v10
	v_add_u32_e32 v6, 16, v6
	v_add_u32_e32 v7, 16, v7
	s_or_b64 s[10:11], vcc, s[10:11]
	s_waitcnt vmcnt(0) lgkmcnt(0)
	v_mul_f64 v[12:13], v[56:57], v[52:53]
	v_mul_f64 v[52:53], v[54:55], v[52:53]
	v_fma_f64 v[12:13], v[54:55], v[50:51], -v[12:13]
	v_fmac_f64_e32 v[52:53], v[56:57], v[50:51]
	v_add_f64 v[2:3], v[2:3], v[12:13]
	v_add_f64 v[4:5], v[4:5], v[52:53]
	s_andn2_b64 exec, exec, s[10:11]
	s_cbranch_execnz .LBB75_164
; %bb.165:
	s_or_b64 exec, exec, s[10:11]
.LBB75_166:
	s_or_b64 exec, exec, s[8:9]
	v_mov_b32_e32 v6, 0
	ds_read_b128 v[10:13], v6 offset:160
	s_waitcnt lgkmcnt(0)
	v_mul_f64 v[6:7], v[4:5], v[12:13]
	v_mul_f64 v[52:53], v[2:3], v[12:13]
	v_fma_f64 v[50:51], v[2:3], v[10:11], -v[6:7]
	v_fmac_f64_e32 v[52:53], v[4:5], v[10:11]
	scratch_store_dwordx4 off, v[50:53], off offset:160
.LBB75_167:
	s_or_b64 exec, exec, s[6:7]
	scratch_load_dwordx4 v[2:5], v39, off
	v_cmp_ne_u32_e32 vcc, 11, v0
                                        ; implicit-def: $vgpr6_vgpr7
                                        ; implicit-def: $vgpr10
	s_waitcnt vmcnt(0)
	ds_write_b128 v9, v[2:5]
	s_waitcnt lgkmcnt(0)
	; wave barrier
	s_waitcnt lgkmcnt(0)
	s_and_saveexec_b64 s[6:7], vcc
	s_cbranch_execz .LBB75_175
; %bb.168:
	ds_read_b128 v[2:5], v9
	s_and_b64 vcc, exec, s[0:1]
	s_cbranch_vccnz .LBB75_170
; %bb.169:
	scratch_load_dwordx4 v[6:9], v8, off
	s_waitcnt vmcnt(0) lgkmcnt(0)
	v_mul_f64 v[10:11], v[4:5], v[8:9]
	v_mul_f64 v[8:9], v[2:3], v[8:9]
	v_fmac_f64_e32 v[8:9], v[4:5], v[6:7]
	v_fma_f64 v[2:3], v[2:3], v[6:7], -v[10:11]
	v_mov_b64_e32 v[4:5], v[8:9]
.LBB75_170:
	s_and_saveexec_b64 s[0:1], s[2:3]
	s_cbranch_execz .LBB75_174
; %bb.171:
	v_mov_b32_e32 v7, 0
	v_add_u32_e32 v6, 0xd0, v38
	v_add3_u32 v7, v38, v7, 24
	s_mov_b64 s[2:3], 0
.LBB75_172:                             ; =>This Inner Loop Header: Depth=1
	v_add_u32_e32 v8, -8, v7
	scratch_load_dwordx4 v[8:11], v8, off
	ds_read_b128 v[50:53], v6
	v_add_u32_e32 v0, 1, v0
	v_cmp_lt_u32_e32 vcc, 9, v0
	v_add_u32_e32 v6, 16, v6
	v_add_u32_e32 v7, 16, v7
	s_or_b64 s[2:3], vcc, s[2:3]
	s_waitcnt vmcnt(0) lgkmcnt(0)
	v_mul_f64 v[12:13], v[52:53], v[10:11]
	v_mul_f64 v[10:11], v[50:51], v[10:11]
	v_fma_f64 v[12:13], v[50:51], v[8:9], -v[12:13]
	v_fmac_f64_e32 v[10:11], v[52:53], v[8:9]
	v_add_f64 v[2:3], v[2:3], v[12:13]
	v_add_f64 v[4:5], v[4:5], v[10:11]
	s_andn2_b64 exec, exec, s[2:3]
	s_cbranch_execnz .LBB75_172
; %bb.173:
	s_or_b64 exec, exec, s[2:3]
.LBB75_174:
	s_or_b64 exec, exec, s[0:1]
	v_mov_b32_e32 v0, 0
	ds_read_b128 v[50:53], v0 offset:176
	v_mov_b32_e32 v0, 0
	v_add_u32_e32 v10, 0xb8, v0
	s_or_b64 s[4:5], s[4:5], exec
	s_waitcnt lgkmcnt(0)
	v_mul_f64 v[8:9], v[4:5], v[52:53]
	v_mul_f64 v[6:7], v[2:3], v[52:53]
	v_fma_f64 v[2:3], v[2:3], v[50:51], -v[8:9]
	v_fmac_f64_e32 v[6:7], v[4:5], v[50:51]
	scratch_store_dwordx2 off, v[2:3], off offset:176
.LBB75_175:
	s_or_b64 exec, exec, s[6:7]
.LBB75_176:
	s_and_saveexec_b64 s[0:1], s[4:5]
	s_cbranch_execz .LBB75_178
; %bb.177:
	scratch_store_dwordx2 v10, v[6:7], off
.LBB75_178:
	s_or_b64 exec, exec, s[0:1]
	scratch_load_dwordx4 v[2:5], off, off
	scratch_load_dwordx4 v[6:9], v41, off
	scratch_load_dwordx4 v[10:13], v44, off
	;; [unrolled: 1-line block ×7, first 2 shown]
	s_waitcnt vmcnt(7)
	global_store_dwordx4 v[16:17], v[2:5], off
	scratch_load_dwordx4 v[2:5], v40, off
	s_nop 0
	scratch_load_dwordx4 v[44:47], v42, off
	s_waitcnt vmcnt(9)
	global_store_dwordx4 v[14:15], v[6:9], off
	scratch_load_dwordx4 v[6:9], v1, off
	s_nop 0
	scratch_load_dwordx4 v[14:17], v39, off
	s_waitcnt vmcnt(11)
	global_store_dwordx4 v[18:19], v[10:13], off
	s_waitcnt vmcnt(11)
	global_store_dwordx4 v[20:21], v[50:53], off
	;; [unrolled: 2-line block ×10, first 2 shown]
.LBB75_179:
	s_endpgm
	.section	.rodata,"a",@progbits
	.p2align	6, 0x0
	.amdhsa_kernel _ZN9rocsolver6v33100L18trti2_kernel_smallILi12E19rocblas_complex_numIdEPKPS3_EEv13rocblas_fill_17rocblas_diagonal_T1_iil
		.amdhsa_group_segment_fixed_size 384
		.amdhsa_private_segment_fixed_size 208
		.amdhsa_kernarg_size 32
		.amdhsa_user_sgpr_count 2
		.amdhsa_user_sgpr_dispatch_ptr 0
		.amdhsa_user_sgpr_queue_ptr 0
		.amdhsa_user_sgpr_kernarg_segment_ptr 1
		.amdhsa_user_sgpr_dispatch_id 0
		.amdhsa_user_sgpr_kernarg_preload_length 0
		.amdhsa_user_sgpr_kernarg_preload_offset 0
		.amdhsa_user_sgpr_private_segment_size 0
		.amdhsa_uses_dynamic_stack 0
		.amdhsa_enable_private_segment 1
		.amdhsa_system_sgpr_workgroup_id_x 1
		.amdhsa_system_sgpr_workgroup_id_y 0
		.amdhsa_system_sgpr_workgroup_id_z 0
		.amdhsa_system_sgpr_workgroup_info 0
		.amdhsa_system_vgpr_workitem_id 0
		.amdhsa_next_free_vgpr 70
		.amdhsa_next_free_sgpr 12
		.amdhsa_accum_offset 72
		.amdhsa_reserve_vcc 1
		.amdhsa_float_round_mode_32 0
		.amdhsa_float_round_mode_16_64 0
		.amdhsa_float_denorm_mode_32 3
		.amdhsa_float_denorm_mode_16_64 3
		.amdhsa_dx10_clamp 1
		.amdhsa_ieee_mode 1
		.amdhsa_fp16_overflow 0
		.amdhsa_tg_split 0
		.amdhsa_exception_fp_ieee_invalid_op 0
		.amdhsa_exception_fp_denorm_src 0
		.amdhsa_exception_fp_ieee_div_zero 0
		.amdhsa_exception_fp_ieee_overflow 0
		.amdhsa_exception_fp_ieee_underflow 0
		.amdhsa_exception_fp_ieee_inexact 0
		.amdhsa_exception_int_div_zero 0
	.end_amdhsa_kernel
	.section	.text._ZN9rocsolver6v33100L18trti2_kernel_smallILi12E19rocblas_complex_numIdEPKPS3_EEv13rocblas_fill_17rocblas_diagonal_T1_iil,"axG",@progbits,_ZN9rocsolver6v33100L18trti2_kernel_smallILi12E19rocblas_complex_numIdEPKPS3_EEv13rocblas_fill_17rocblas_diagonal_T1_iil,comdat
.Lfunc_end75:
	.size	_ZN9rocsolver6v33100L18trti2_kernel_smallILi12E19rocblas_complex_numIdEPKPS3_EEv13rocblas_fill_17rocblas_diagonal_T1_iil, .Lfunc_end75-_ZN9rocsolver6v33100L18trti2_kernel_smallILi12E19rocblas_complex_numIdEPKPS3_EEv13rocblas_fill_17rocblas_diagonal_T1_iil
                                        ; -- End function
	.section	.AMDGPU.csdata,"",@progbits
; Kernel info:
; codeLenInByte = 7680
; NumSgprs: 18
; NumVgprs: 70
; NumAgprs: 0
; TotalNumVgprs: 70
; ScratchSize: 208
; MemoryBound: 0
; FloatMode: 240
; IeeeMode: 1
; LDSByteSize: 384 bytes/workgroup (compile time only)
; SGPRBlocks: 2
; VGPRBlocks: 8
; NumSGPRsForWavesPerEU: 18
; NumVGPRsForWavesPerEU: 70
; AccumOffset: 72
; Occupancy: 7
; WaveLimiterHint : 1
; COMPUTE_PGM_RSRC2:SCRATCH_EN: 1
; COMPUTE_PGM_RSRC2:USER_SGPR: 2
; COMPUTE_PGM_RSRC2:TRAP_HANDLER: 0
; COMPUTE_PGM_RSRC2:TGID_X_EN: 1
; COMPUTE_PGM_RSRC2:TGID_Y_EN: 0
; COMPUTE_PGM_RSRC2:TGID_Z_EN: 0
; COMPUTE_PGM_RSRC2:TIDIG_COMP_CNT: 0
; COMPUTE_PGM_RSRC3_GFX90A:ACCUM_OFFSET: 17
; COMPUTE_PGM_RSRC3_GFX90A:TG_SPLIT: 0
	.section	.text._ZN9rocsolver6v33100L18trti2_kernel_smallILi13E19rocblas_complex_numIdEPKPS3_EEv13rocblas_fill_17rocblas_diagonal_T1_iil,"axG",@progbits,_ZN9rocsolver6v33100L18trti2_kernel_smallILi13E19rocblas_complex_numIdEPKPS3_EEv13rocblas_fill_17rocblas_diagonal_T1_iil,comdat
	.globl	_ZN9rocsolver6v33100L18trti2_kernel_smallILi13E19rocblas_complex_numIdEPKPS3_EEv13rocblas_fill_17rocblas_diagonal_T1_iil ; -- Begin function _ZN9rocsolver6v33100L18trti2_kernel_smallILi13E19rocblas_complex_numIdEPKPS3_EEv13rocblas_fill_17rocblas_diagonal_T1_iil
	.p2align	8
	.type	_ZN9rocsolver6v33100L18trti2_kernel_smallILi13E19rocblas_complex_numIdEPKPS3_EEv13rocblas_fill_17rocblas_diagonal_T1_iil,@function
_ZN9rocsolver6v33100L18trti2_kernel_smallILi13E19rocblas_complex_numIdEPKPS3_EEv13rocblas_fill_17rocblas_diagonal_T1_iil: ; @_ZN9rocsolver6v33100L18trti2_kernel_smallILi13E19rocblas_complex_numIdEPKPS3_EEv13rocblas_fill_17rocblas_diagonal_T1_iil
; %bb.0:
	v_cmp_gt_u32_e32 vcc, 13, v0
	s_and_saveexec_b64 s[4:5], vcc
	s_cbranch_execz .LBB76_195
; %bb.1:
	s_load_dwordx2 s[8:9], s[0:1], 0x10
	s_load_dwordx4 s[4:7], s[0:1], 0x0
	s_ashr_i32 s3, s2, 31
	s_lshl_b64 s[0:1], s[2:3], 3
	v_lshlrev_b32_e32 v40, 4, v0
	s_waitcnt lgkmcnt(0)
	s_ashr_i32 s3, s8, 31
	s_add_u32 s0, s6, s0
	s_addc_u32 s1, s7, s1
	s_load_dwordx2 s[0:1], s[0:1], 0x0
	s_mov_b32 s2, s8
	s_lshl_b64 s[2:3], s[2:3], 4
	v_mov_b32_e32 v41, 0
	v_mov_b32_e32 v1, 0
	s_waitcnt lgkmcnt(0)
	s_add_u32 s0, s0, s2
	s_addc_u32 s1, s1, s3
	v_lshl_add_u64 v[16:17], s[0:1], 0, v[40:41]
	s_ashr_i32 s3, s9, 31
	s_mov_b32 s2, s9
	v_lshl_add_u64 v[14:15], s[2:3], 4, v[16:17]
	s_add_i32 s2, s9, s9
	v_add_u32_e32 v20, s2, v0
	v_add_u32_e32 v22, s9, v20
	;; [unrolled: 1-line block ×4, first 2 shown]
	global_load_dwordx4 v[2:5], v40, s[0:1]
	v_ashrrev_i32_e32 v21, 31, v20
	v_ashrrev_i32_e32 v23, 31, v22
	;; [unrolled: 1-line block ×4, first 2 shown]
	v_lshl_add_u64 v[18:19], v[20:21], 4, s[0:1]
	global_load_dwordx4 v[6:9], v[14:15], off
	global_load_dwordx4 v[10:13], v[18:19], off
	v_lshl_add_u64 v[20:21], v[22:23], 4, s[0:1]
	v_lshl_add_u64 v[22:23], v[24:25], 4, s[0:1]
	;; [unrolled: 1-line block ×3, first 2 shown]
	global_load_dwordx4 v[36:39], v[20:21], off
	global_load_dwordx4 v[42:45], v[22:23], off
	;; [unrolled: 1-line block ×3, first 2 shown]
	v_add_u32_e32 v26, s9, v26
	v_add_u32_e32 v28, s9, v26
	;; [unrolled: 1-line block ×6, first 2 shown]
	v_ashrrev_i32_e32 v27, 31, v26
	v_ashrrev_i32_e32 v29, 31, v28
	v_add_u32_e32 v60, s9, v58
	v_lshl_add_u64 v[26:27], v[26:27], 4, s[0:1]
	global_load_dwordx4 v[50:53], v[26:27], off
	v_lshl_add_u64 v[28:29], v[28:29], 4, s[0:1]
	v_ashrrev_i32_e32 v31, 31, v30
	v_ashrrev_i32_e32 v33, 31, v32
	v_ashrrev_i32_e32 v59, 31, v58
	v_ashrrev_i32_e32 v61, 31, v60
	v_lshl_add_u64 v[30:31], v[30:31], 4, s[0:1]
	v_lshl_add_u64 v[32:33], v[32:33], 4, s[0:1]
	v_ashrrev_i32_e32 v35, 31, v34
	v_lshl_add_u64 v[34:35], v[34:35], 4, s[0:1]
	s_cmpk_lg_i32 s5, 0x84
	s_cselect_b64 s[6:7], -1, 0
	s_cmpk_eq_i32 s5, 0x84
	s_waitcnt vmcnt(6)
	scratch_store_dwordx4 off, v[2:5], off
	global_load_dwordx4 v[2:5], v[28:29], off
	s_nop 0
	global_load_dwordx4 v[54:57], v[30:31], off
	s_waitcnt vmcnt(8)
	scratch_store_dwordx4 off, v[6:9], off offset:16
	s_waitcnt vmcnt(8)
	scratch_store_dwordx4 off, v[10:13], off offset:32
	;; [unrolled: 2-line block ×3, first 2 shown]
	s_nop 1
	v_lshl_add_u64 v[36:37], v[58:59], 4, s[0:1]
	v_lshl_add_u64 v[38:39], v[60:61], 4, s[0:1]
	global_load_dwordx4 v[6:9], v[32:33], off
	global_load_dwordx4 v[10:13], v[34:35], off
	s_waitcnt vmcnt(10)
	scratch_store_dwordx4 off, v[42:45], off offset:64
	global_load_dwordx4 v[42:45], v[36:37], off
	s_waitcnt vmcnt(11)
	scratch_store_dwordx4 off, v[46:49], off offset:80
	;; [unrolled: 3-line block ×3, first 2 shown]
	s_waitcnt vmcnt(11)
	scratch_store_dwordx4 off, v[2:5], off offset:112
	s_waitcnt vmcnt(11)
	scratch_store_dwordx4 off, v[54:57], off offset:128
	;; [unrolled: 2-line block ×6, first 2 shown]
	s_cbranch_scc1 .LBB76_7
; %bb.2:
	scratch_load_dwordx4 v[2:5], v40, off
                                        ; implicit-def: $vgpr10_vgpr11
	s_waitcnt vmcnt(0)
	v_xor_b32_e32 v7, 0x80000000, v3
	v_cmp_gt_f64_e32 vcc, 0, v[2:3]
	v_xor_b32_e32 v8, 0x80000000, v5
	v_mov_b32_e32 v6, v2
	v_cndmask_b32_e32 v7, v3, v7, vcc
	v_cmp_gt_f64_e32 vcc, 0, v[4:5]
	s_nop 1
	v_cndmask_b32_e32 v9, v5, v8, vcc
	v_mov_b32_e32 v8, v4
	v_cmp_ngt_f64_e32 vcc, v[6:7], v[8:9]
                                        ; implicit-def: $vgpr6_vgpr7
	s_and_saveexec_b64 s[0:1], vcc
	s_xor_b64 s[0:1], exec, s[0:1]
	s_cbranch_execz .LBB76_4
; %bb.3:
	v_div_scale_f64 v[6:7], s[2:3], v[4:5], v[4:5], v[2:3]
	v_rcp_f64_e32 v[8:9], v[6:7]
	v_div_scale_f64 v[10:11], vcc, v[2:3], v[4:5], v[2:3]
	v_fma_f64 v[12:13], -v[6:7], v[8:9], 1.0
	v_fmac_f64_e32 v[8:9], v[8:9], v[12:13]
	v_fma_f64 v[12:13], -v[6:7], v[8:9], 1.0
	v_fmac_f64_e32 v[8:9], v[8:9], v[12:13]
	v_mul_f64 v[12:13], v[10:11], v[8:9]
	v_fma_f64 v[6:7], -v[6:7], v[12:13], v[10:11]
	v_div_fmas_f64 v[6:7], v[6:7], v[8:9], v[12:13]
	v_div_fixup_f64 v[6:7], v[6:7], v[4:5], v[2:3]
	v_fmac_f64_e32 v[4:5], v[2:3], v[6:7]
	v_div_scale_f64 v[2:3], s[2:3], v[4:5], v[4:5], 1.0
	v_rcp_f64_e32 v[8:9], v[2:3]
	s_nop 0
	v_fma_f64 v[10:11], -v[2:3], v[8:9], 1.0
	v_fmac_f64_e32 v[8:9], v[8:9], v[10:11]
	v_fma_f64 v[10:11], -v[2:3], v[8:9], 1.0
	v_fmac_f64_e32 v[8:9], v[8:9], v[10:11]
	v_div_scale_f64 v[10:11], vcc, 1.0, v[4:5], 1.0
	v_mul_f64 v[12:13], v[10:11], v[8:9]
	v_fma_f64 v[2:3], -v[2:3], v[12:13], v[10:11]
	s_nop 1
	v_div_fmas_f64 v[2:3], v[2:3], v[8:9], v[12:13]
	v_div_fixup_f64 v[8:9], v[2:3], v[4:5], 1.0
	v_mul_f64 v[6:7], v[6:7], v[8:9]
	v_xor_b32_e32 v9, 0x80000000, v9
	v_xor_b32_e32 v11, 0x80000000, v7
	v_mov_b32_e32 v10, v6
                                        ; implicit-def: $vgpr2_vgpr3
.LBB76_4:
	s_or_saveexec_b64 s[0:1], s[0:1]
	v_add_u32_e32 v12, 0, v40
	s_xor_b64 exec, exec, s[0:1]
	s_cbranch_execz .LBB76_6
; %bb.5:
	v_div_scale_f64 v[6:7], s[2:3], v[2:3], v[2:3], v[4:5]
	v_rcp_f64_e32 v[8:9], v[6:7]
	v_div_scale_f64 v[10:11], vcc, v[4:5], v[2:3], v[4:5]
	v_fma_f64 v[42:43], -v[6:7], v[8:9], 1.0
	v_fmac_f64_e32 v[8:9], v[8:9], v[42:43]
	v_fma_f64 v[42:43], -v[6:7], v[8:9], 1.0
	v_fmac_f64_e32 v[8:9], v[8:9], v[42:43]
	v_mul_f64 v[42:43], v[10:11], v[8:9]
	v_fma_f64 v[6:7], -v[6:7], v[42:43], v[10:11]
	v_div_fmas_f64 v[6:7], v[6:7], v[8:9], v[42:43]
	v_div_fixup_f64 v[8:9], v[6:7], v[2:3], v[4:5]
	v_fmac_f64_e32 v[2:3], v[4:5], v[8:9]
	v_div_scale_f64 v[4:5], s[2:3], v[2:3], v[2:3], 1.0
	v_rcp_f64_e32 v[6:7], v[4:5]
	s_nop 0
	v_fma_f64 v[10:11], -v[4:5], v[6:7], 1.0
	v_fmac_f64_e32 v[6:7], v[6:7], v[10:11]
	v_fma_f64 v[10:11], -v[4:5], v[6:7], 1.0
	v_fmac_f64_e32 v[6:7], v[6:7], v[10:11]
	v_div_scale_f64 v[10:11], vcc, 1.0, v[2:3], 1.0
	v_mul_f64 v[42:43], v[10:11], v[6:7]
	v_fma_f64 v[4:5], -v[4:5], v[42:43], v[10:11]
	s_nop 1
	v_div_fmas_f64 v[4:5], v[4:5], v[6:7], v[42:43]
	v_div_fixup_f64 v[6:7], v[4:5], v[2:3], 1.0
	v_xor_b32_e32 v11, 0x80000000, v7
	v_mov_b32_e32 v10, v6
	v_mul_f64 v[8:9], v[8:9], -v[6:7]
.LBB76_6:
	s_or_b64 exec, exec, s[0:1]
	scratch_store_dwordx4 v12, v[6:9], off
	s_nop 1
	v_xor_b32_e32 v9, 0x80000000, v9
	s_branch .LBB76_8
.LBB76_7:
	v_mov_b64_e32 v[8:9], 0
	v_mov_b64_e32 v[10:11], -1.0
.LBB76_8:
	v_add_u32_e32 v46, 16, v1
	v_add_u32_e32 v49, 32, v1
	;; [unrolled: 1-line block ×12, first 2 shown]
	v_mov_b32_e32 v12, v8
	v_mov_b32_e32 v13, v9
	s_cmpk_eq_i32 s4, 0x79
	v_add_u32_e32 v9, 0xd0, v40
	v_add_u32_e32 v8, 0, v40
	ds_write_b128 v40, v[10:13]
	s_cbranch_scc1 .LBB76_100
; %bb.9:
	scratch_load_dwordx4 v[2:5], v41, off
	v_cmp_eq_u32_e64 s[0:1], 12, v0
	s_waitcnt vmcnt(0)
	ds_write_b128 v9, v[2:5]
	s_waitcnt lgkmcnt(0)
	; wave barrier
	s_waitcnt lgkmcnt(0)
	s_and_saveexec_b64 s[2:3], s[0:1]
	s_cbranch_execz .LBB76_13
; %bb.10:
	ds_read_b128 v[2:5], v9
	s_andn2_b64 vcc, exec, s[6:7]
	s_cbranch_vccnz .LBB76_12
; %bb.11:
	scratch_load_dwordx4 v[10:13], v8, off
	s_waitcnt vmcnt(0) lgkmcnt(0)
	v_mul_f64 v[6:7], v[4:5], v[12:13]
	v_mul_f64 v[12:13], v[2:3], v[12:13]
	v_fmac_f64_e32 v[12:13], v[4:5], v[10:11]
	v_fma_f64 v[2:3], v[2:3], v[10:11], -v[6:7]
	v_mov_b64_e32 v[4:5], v[12:13]
.LBB76_12:
	v_mov_b32_e32 v6, 0
	ds_read_b128 v[10:13], v6 offset:176
	s_waitcnt lgkmcnt(0)
	v_mul_f64 v[6:7], v[4:5], v[12:13]
	v_mul_f64 v[54:55], v[2:3], v[12:13]
	v_fma_f64 v[52:53], v[2:3], v[10:11], -v[6:7]
	v_fmac_f64_e32 v[54:55], v[4:5], v[10:11]
	scratch_store_dwordx4 off, v[52:55], off offset:176
.LBB76_13:
	s_or_b64 exec, exec, s[2:3]
	scratch_load_dwordx4 v[2:5], v42, off
	v_cmp_lt_u32_e64 s[2:3], 10, v0
	s_waitcnt vmcnt(0)
	ds_write_b128 v9, v[2:5]
	s_waitcnt lgkmcnt(0)
	; wave barrier
	s_waitcnt lgkmcnt(0)
	s_and_saveexec_b64 s[4:5], s[2:3]
	s_cbranch_execz .LBB76_19
; %bb.14:
	ds_read_b128 v[2:5], v9
	s_andn2_b64 vcc, exec, s[6:7]
	s_cbranch_vccnz .LBB76_16
; %bb.15:
	scratch_load_dwordx4 v[10:13], v8, off
	s_waitcnt vmcnt(0) lgkmcnt(0)
	v_mul_f64 v[6:7], v[4:5], v[12:13]
	v_mul_f64 v[12:13], v[2:3], v[12:13]
	v_fmac_f64_e32 v[12:13], v[4:5], v[10:11]
	v_fma_f64 v[2:3], v[2:3], v[10:11], -v[6:7]
	v_mov_b64_e32 v[4:5], v[12:13]
.LBB76_16:
	s_and_saveexec_b64 s[8:9], s[0:1]
	s_cbranch_execz .LBB76_18
; %bb.17:
	scratch_load_dwordx4 v[10:13], off, off offset:176
	v_mov_b32_e32 v6, 0
	ds_read_b128 v[52:55], v6 offset:384
	s_waitcnt vmcnt(0) lgkmcnt(0)
	v_mul_f64 v[6:7], v[52:53], v[12:13]
	v_mul_f64 v[12:13], v[54:55], v[12:13]
	v_fmac_f64_e32 v[6:7], v[54:55], v[10:11]
	v_fma_f64 v[10:11], v[52:53], v[10:11], -v[12:13]
	v_add_f64 v[4:5], v[4:5], v[6:7]
	v_add_f64 v[2:3], v[2:3], v[10:11]
.LBB76_18:
	s_or_b64 exec, exec, s[8:9]
	v_mov_b32_e32 v6, 0
	ds_read_b128 v[10:13], v6 offset:160
	s_waitcnt lgkmcnt(0)
	v_mul_f64 v[6:7], v[4:5], v[12:13]
	v_mul_f64 v[54:55], v[2:3], v[12:13]
	v_fma_f64 v[52:53], v[2:3], v[10:11], -v[6:7]
	v_fmac_f64_e32 v[54:55], v[4:5], v[10:11]
	scratch_store_dwordx4 off, v[52:55], off offset:160
.LBB76_19:
	s_or_b64 exec, exec, s[4:5]
	scratch_load_dwordx4 v[2:5], v43, off
	v_cmp_lt_u32_e64 s[0:1], 9, v0
	s_waitcnt vmcnt(0)
	ds_write_b128 v9, v[2:5]
	s_waitcnt lgkmcnt(0)
	; wave barrier
	s_waitcnt lgkmcnt(0)
	s_and_saveexec_b64 s[4:5], s[0:1]
	s_cbranch_execz .LBB76_27
; %bb.20:
	ds_read_b128 v[2:5], v9
	s_andn2_b64 vcc, exec, s[6:7]
	s_cbranch_vccnz .LBB76_22
; %bb.21:
	scratch_load_dwordx4 v[10:13], v8, off
	s_waitcnt vmcnt(0) lgkmcnt(0)
	v_mul_f64 v[6:7], v[4:5], v[12:13]
	v_mul_f64 v[12:13], v[2:3], v[12:13]
	v_fmac_f64_e32 v[12:13], v[4:5], v[10:11]
	v_fma_f64 v[2:3], v[2:3], v[10:11], -v[6:7]
	v_mov_b64_e32 v[4:5], v[12:13]
.LBB76_22:
	s_and_saveexec_b64 s[8:9], s[2:3]
	s_cbranch_execz .LBB76_26
; %bb.23:
	v_mov_b32_e32 v7, 0
	v_add_u32_e32 v6, -10, v0
	v_add_u32_e32 v7, 0xa8, v7
	s_movk_i32 s10, 0x170
	s_mov_b64 s[2:3], 0
.LBB76_24:                              ; =>This Inner Loop Header: Depth=1
	v_add_u32_e32 v10, -8, v7
	scratch_load_dwordx4 v[10:13], v10, off
	v_mov_b32_e32 v52, s10
	ds_read_b128 v[52:55], v52
	v_add_u32_e32 v6, -1, v6
	s_add_i32 s10, s10, 16
	v_cmp_eq_u32_e32 vcc, 0, v6
	v_add_u32_e32 v7, 16, v7
	s_or_b64 s[2:3], vcc, s[2:3]
	s_waitcnt vmcnt(0) lgkmcnt(0)
	v_mul_f64 v[56:57], v[54:55], v[12:13]
	v_mul_f64 v[12:13], v[52:53], v[12:13]
	v_fma_f64 v[52:53], v[52:53], v[10:11], -v[56:57]
	v_fmac_f64_e32 v[12:13], v[54:55], v[10:11]
	v_add_f64 v[2:3], v[2:3], v[52:53]
	v_add_f64 v[4:5], v[4:5], v[12:13]
	s_andn2_b64 exec, exec, s[2:3]
	s_cbranch_execnz .LBB76_24
; %bb.25:
	s_or_b64 exec, exec, s[2:3]
.LBB76_26:
	s_or_b64 exec, exec, s[8:9]
	v_mov_b32_e32 v6, 0
	ds_read_b128 v[10:13], v6 offset:144
	s_waitcnt lgkmcnt(0)
	v_mul_f64 v[6:7], v[4:5], v[12:13]
	v_mul_f64 v[54:55], v[2:3], v[12:13]
	v_fma_f64 v[52:53], v[2:3], v[10:11], -v[6:7]
	v_fmac_f64_e32 v[54:55], v[4:5], v[10:11]
	scratch_store_dwordx4 off, v[52:55], off offset:144
.LBB76_27:
	s_or_b64 exec, exec, s[4:5]
	scratch_load_dwordx4 v[2:5], v44, off
	v_cmp_lt_u32_e64 s[2:3], 8, v0
	s_waitcnt vmcnt(0)
	ds_write_b128 v9, v[2:5]
	s_waitcnt lgkmcnt(0)
	; wave barrier
	s_waitcnt lgkmcnt(0)
	s_and_saveexec_b64 s[4:5], s[2:3]
	s_cbranch_execz .LBB76_35
; %bb.28:
	ds_read_b128 v[2:5], v9
	s_andn2_b64 vcc, exec, s[6:7]
	s_cbranch_vccnz .LBB76_30
; %bb.29:
	scratch_load_dwordx4 v[10:13], v8, off
	s_waitcnt vmcnt(0) lgkmcnt(0)
	v_mul_f64 v[6:7], v[4:5], v[12:13]
	v_mul_f64 v[12:13], v[2:3], v[12:13]
	v_fmac_f64_e32 v[12:13], v[4:5], v[10:11]
	v_fma_f64 v[2:3], v[2:3], v[10:11], -v[6:7]
	v_mov_b64_e32 v[4:5], v[12:13]
.LBB76_30:
	s_and_saveexec_b64 s[8:9], s[0:1]
	s_cbranch_execz .LBB76_34
; %bb.31:
	v_mov_b32_e32 v7, 0
	v_add_u32_e32 v6, -9, v0
	v_add_u32_e32 v7, 0x98, v7
	s_movk_i32 s10, 0x160
	s_mov_b64 s[0:1], 0
.LBB76_32:                              ; =>This Inner Loop Header: Depth=1
	v_add_u32_e32 v10, -8, v7
	scratch_load_dwordx4 v[10:13], v10, off
	v_mov_b32_e32 v52, s10
	ds_read_b128 v[52:55], v52
	v_add_u32_e32 v6, -1, v6
	s_add_i32 s10, s10, 16
	v_cmp_eq_u32_e32 vcc, 0, v6
	v_add_u32_e32 v7, 16, v7
	s_or_b64 s[0:1], vcc, s[0:1]
	s_waitcnt vmcnt(0) lgkmcnt(0)
	v_mul_f64 v[56:57], v[54:55], v[12:13]
	v_mul_f64 v[12:13], v[52:53], v[12:13]
	v_fma_f64 v[52:53], v[52:53], v[10:11], -v[56:57]
	v_fmac_f64_e32 v[12:13], v[54:55], v[10:11]
	v_add_f64 v[2:3], v[2:3], v[52:53]
	v_add_f64 v[4:5], v[4:5], v[12:13]
	s_andn2_b64 exec, exec, s[0:1]
	s_cbranch_execnz .LBB76_32
; %bb.33:
	s_or_b64 exec, exec, s[0:1]
.LBB76_34:
	s_or_b64 exec, exec, s[8:9]
	v_mov_b32_e32 v6, 0
	ds_read_b128 v[10:13], v6 offset:128
	s_waitcnt lgkmcnt(0)
	v_mul_f64 v[6:7], v[4:5], v[12:13]
	v_mul_f64 v[54:55], v[2:3], v[12:13]
	v_fma_f64 v[52:53], v[2:3], v[10:11], -v[6:7]
	v_fmac_f64_e32 v[54:55], v[4:5], v[10:11]
	scratch_store_dwordx4 off, v[52:55], off offset:128
.LBB76_35:
	;; [unrolled: 63-line block ×9, first 2 shown]
	s_or_b64 exec, exec, s[4:5]
	scratch_load_dwordx4 v[2:5], off, off
	v_cmp_ne_u32_e32 vcc, 0, v0
	s_mov_b64 s[2:3], 0
	s_mov_b64 s[4:5], 0
                                        ; implicit-def: $vgpr6_vgpr7
                                        ; implicit-def: $vgpr10
	s_waitcnt vmcnt(0)
	ds_write_b128 v9, v[2:5]
	s_waitcnt lgkmcnt(0)
	; wave barrier
	s_waitcnt lgkmcnt(0)
	s_and_saveexec_b64 s[8:9], vcc
	s_cbranch_execz .LBB76_99
; %bb.92:
	ds_read_b128 v[2:5], v9
	s_andn2_b64 vcc, exec, s[6:7]
	s_cbranch_vccnz .LBB76_94
; %bb.93:
	scratch_load_dwordx4 v[10:13], v8, off
	s_waitcnt vmcnt(0) lgkmcnt(0)
	v_mul_f64 v[6:7], v[4:5], v[12:13]
	v_mul_f64 v[12:13], v[2:3], v[12:13]
	v_fmac_f64_e32 v[12:13], v[4:5], v[10:11]
	v_fma_f64 v[2:3], v[2:3], v[10:11], -v[6:7]
	v_mov_b64_e32 v[4:5], v[12:13]
.LBB76_94:
	s_and_saveexec_b64 s[4:5], s[0:1]
	s_cbranch_execz .LBB76_98
; %bb.95:
	v_mov_b32_e32 v7, 0
	v_add_u32_e32 v6, -1, v0
	v_add_u32_e32 v7, 24, v7
	s_movk_i32 s10, 0xe0
	s_mov_b64 s[0:1], 0
.LBB76_96:                              ; =>This Inner Loop Header: Depth=1
	v_add_u32_e32 v10, -8, v7
	scratch_load_dwordx4 v[10:13], v10, off
	v_mov_b32_e32 v52, s10
	ds_read_b128 v[52:55], v52
	v_add_u32_e32 v6, -1, v6
	s_add_i32 s10, s10, 16
	v_cmp_eq_u32_e32 vcc, 0, v6
	v_add_u32_e32 v7, 16, v7
	s_or_b64 s[0:1], vcc, s[0:1]
	s_waitcnt vmcnt(0) lgkmcnt(0)
	v_mul_f64 v[56:57], v[54:55], v[12:13]
	v_mul_f64 v[12:13], v[52:53], v[12:13]
	v_fma_f64 v[52:53], v[52:53], v[10:11], -v[56:57]
	v_fmac_f64_e32 v[12:13], v[54:55], v[10:11]
	v_add_f64 v[2:3], v[2:3], v[52:53]
	v_add_f64 v[4:5], v[4:5], v[12:13]
	s_andn2_b64 exec, exec, s[0:1]
	s_cbranch_execnz .LBB76_96
; %bb.97:
	s_or_b64 exec, exec, s[0:1]
.LBB76_98:
	s_or_b64 exec, exec, s[4:5]
	v_mov_b32_e32 v6, 0
	ds_read_b128 v[52:55], v6
	v_mov_b32_e32 v6, 0
	v_or_b32_e32 v10, 8, v6
	s_mov_b64 s[4:5], exec
	s_waitcnt lgkmcnt(0)
	v_mul_f64 v[12:13], v[4:5], v[54:55]
	v_mul_f64 v[6:7], v[2:3], v[54:55]
	v_fma_f64 v[2:3], v[2:3], v[52:53], -v[12:13]
	v_fmac_f64_e32 v[6:7], v[4:5], v[52:53]
	scratch_store_dwordx2 off, v[2:3], off
.LBB76_99:
	s_or_b64 exec, exec, s[8:9]
	s_and_b64 vcc, exec, s[2:3]
	s_cbranch_vccnz .LBB76_101
	s_branch .LBB76_192
.LBB76_100:
	s_mov_b64 s[4:5], 0
                                        ; implicit-def: $vgpr6_vgpr7
                                        ; implicit-def: $vgpr10
	s_cbranch_execz .LBB76_192
.LBB76_101:
	scratch_load_dwordx4 v[2:5], v46, off
	v_cndmask_b32_e64 v6, 0, 1, s[6:7]
	v_cmp_eq_u32_e64 s[2:3], 0, v0
	v_cmp_ne_u32_e64 s[0:1], 1, v6
	s_waitcnt vmcnt(0)
	ds_write_b128 v9, v[2:5]
	s_waitcnt lgkmcnt(0)
	; wave barrier
	s_waitcnt lgkmcnt(0)
	s_and_saveexec_b64 s[6:7], s[2:3]
	s_cbranch_execz .LBB76_105
; %bb.102:
	ds_read_b128 v[2:5], v9
	s_and_b64 vcc, exec, s[0:1]
	s_cbranch_vccnz .LBB76_104
; %bb.103:
	scratch_load_dwordx4 v[10:13], v8, off
	s_waitcnt vmcnt(0) lgkmcnt(0)
	v_mul_f64 v[6:7], v[4:5], v[12:13]
	v_mul_f64 v[12:13], v[2:3], v[12:13]
	v_fmac_f64_e32 v[12:13], v[4:5], v[10:11]
	v_fma_f64 v[2:3], v[2:3], v[10:11], -v[6:7]
	v_mov_b64_e32 v[4:5], v[12:13]
.LBB76_104:
	v_mov_b32_e32 v6, 0
	ds_read_b128 v[10:13], v6 offset:16
	s_waitcnt lgkmcnt(0)
	v_mul_f64 v[6:7], v[4:5], v[12:13]
	v_mul_f64 v[54:55], v[2:3], v[12:13]
	v_fma_f64 v[52:53], v[2:3], v[10:11], -v[6:7]
	v_fmac_f64_e32 v[54:55], v[4:5], v[10:11]
	scratch_store_dwordx4 off, v[52:55], off offset:16
.LBB76_105:
	s_or_b64 exec, exec, s[6:7]
	scratch_load_dwordx4 v[2:5], v49, off
	v_cmp_gt_u32_e32 vcc, 2, v0
	s_waitcnt vmcnt(0)
	ds_write_b128 v9, v[2:5]
	s_waitcnt lgkmcnt(0)
	; wave barrier
	s_waitcnt lgkmcnt(0)
	s_and_saveexec_b64 s[6:7], vcc
	s_cbranch_execz .LBB76_111
; %bb.106:
	ds_read_b128 v[2:5], v9
	s_and_b64 vcc, exec, s[0:1]
	s_cbranch_vccnz .LBB76_108
; %bb.107:
	scratch_load_dwordx4 v[10:13], v8, off
	s_waitcnt vmcnt(0) lgkmcnt(0)
	v_mul_f64 v[6:7], v[4:5], v[12:13]
	v_mul_f64 v[12:13], v[2:3], v[12:13]
	v_fmac_f64_e32 v[12:13], v[4:5], v[10:11]
	v_fma_f64 v[2:3], v[2:3], v[10:11], -v[6:7]
	v_mov_b64_e32 v[4:5], v[12:13]
.LBB76_108:
	s_and_saveexec_b64 s[8:9], s[2:3]
	s_cbranch_execz .LBB76_110
; %bb.109:
	scratch_load_dwordx4 v[10:13], v8, off offset:16
	ds_read_b128 v[52:55], v9 offset:16
	s_waitcnt vmcnt(0) lgkmcnt(0)
	v_mul_f64 v[6:7], v[54:55], v[12:13]
	v_mul_f64 v[12:13], v[52:53], v[12:13]
	v_fma_f64 v[6:7], v[52:53], v[10:11], -v[6:7]
	v_fmac_f64_e32 v[12:13], v[54:55], v[10:11]
	v_add_f64 v[2:3], v[2:3], v[6:7]
	v_add_f64 v[4:5], v[4:5], v[12:13]
.LBB76_110:
	s_or_b64 exec, exec, s[8:9]
	v_mov_b32_e32 v6, 0
	ds_read_b128 v[10:13], v6 offset:32
	s_waitcnt lgkmcnt(0)
	v_mul_f64 v[6:7], v[4:5], v[12:13]
	v_mul_f64 v[54:55], v[2:3], v[12:13]
	v_fma_f64 v[52:53], v[2:3], v[10:11], -v[6:7]
	v_fmac_f64_e32 v[54:55], v[4:5], v[10:11]
	scratch_store_dwordx4 off, v[52:55], off offset:32
.LBB76_111:
	s_or_b64 exec, exec, s[6:7]
	scratch_load_dwordx4 v[2:5], v47, off
	v_cmp_gt_u32_e32 vcc, 3, v0
	s_waitcnt vmcnt(0)
	ds_write_b128 v9, v[2:5]
	s_waitcnt lgkmcnt(0)
	; wave barrier
	s_waitcnt lgkmcnt(0)
	s_and_saveexec_b64 s[6:7], vcc
	s_cbranch_execz .LBB76_119
; %bb.112:
	ds_read_b128 v[2:5], v9
	s_and_b64 vcc, exec, s[0:1]
	s_cbranch_vccnz .LBB76_114
; %bb.113:
	scratch_load_dwordx4 v[10:13], v8, off
	s_waitcnt vmcnt(0) lgkmcnt(0)
	v_mul_f64 v[6:7], v[4:5], v[12:13]
	v_mul_f64 v[12:13], v[2:3], v[12:13]
	v_fmac_f64_e32 v[12:13], v[4:5], v[10:11]
	v_fma_f64 v[2:3], v[2:3], v[10:11], -v[6:7]
	v_mov_b64_e32 v[4:5], v[12:13]
.LBB76_114:
	v_cmp_ne_u32_e32 vcc, 2, v0
	s_and_saveexec_b64 s[8:9], vcc
	s_cbranch_execz .LBB76_118
; %bb.115:
	scratch_load_dwordx4 v[10:13], v8, off offset:16
	ds_read_b128 v[52:55], v9 offset:16
	s_waitcnt vmcnt(0) lgkmcnt(0)
	v_mul_f64 v[6:7], v[54:55], v[12:13]
	v_mul_f64 v[12:13], v[52:53], v[12:13]
	v_fma_f64 v[6:7], v[52:53], v[10:11], -v[6:7]
	v_fmac_f64_e32 v[12:13], v[54:55], v[10:11]
	v_add_f64 v[2:3], v[2:3], v[6:7]
	v_add_f64 v[4:5], v[4:5], v[12:13]
	s_and_saveexec_b64 s[10:11], s[2:3]
	s_cbranch_execz .LBB76_117
; %bb.116:
	scratch_load_dwordx4 v[10:13], off, off offset:32
	v_mov_b32_e32 v6, 0
	ds_read_b128 v[52:55], v6 offset:240
	s_waitcnt vmcnt(0) lgkmcnt(0)
	v_mul_f64 v[6:7], v[52:53], v[12:13]
	v_mul_f64 v[12:13], v[54:55], v[12:13]
	v_fmac_f64_e32 v[6:7], v[54:55], v[10:11]
	v_fma_f64 v[10:11], v[52:53], v[10:11], -v[12:13]
	v_add_f64 v[4:5], v[4:5], v[6:7]
	v_add_f64 v[2:3], v[2:3], v[10:11]
.LBB76_117:
	s_or_b64 exec, exec, s[10:11]
.LBB76_118:
	s_or_b64 exec, exec, s[8:9]
	v_mov_b32_e32 v6, 0
	ds_read_b128 v[10:13], v6 offset:48
	s_waitcnt lgkmcnt(0)
	v_mul_f64 v[6:7], v[4:5], v[12:13]
	v_mul_f64 v[54:55], v[2:3], v[12:13]
	v_fma_f64 v[52:53], v[2:3], v[10:11], -v[6:7]
	v_fmac_f64_e32 v[54:55], v[4:5], v[10:11]
	scratch_store_dwordx4 off, v[52:55], off offset:48
.LBB76_119:
	s_or_b64 exec, exec, s[6:7]
	scratch_load_dwordx4 v[2:5], v50, off
	v_cmp_gt_u32_e32 vcc, 4, v0
	s_waitcnt vmcnt(0)
	ds_write_b128 v9, v[2:5]
	s_waitcnt lgkmcnt(0)
	; wave barrier
	s_waitcnt lgkmcnt(0)
	s_and_saveexec_b64 s[2:3], vcc
	s_cbranch_execz .LBB76_127
; %bb.120:
	ds_read_b128 v[2:5], v9
	s_and_b64 vcc, exec, s[0:1]
	s_cbranch_vccnz .LBB76_122
; %bb.121:
	scratch_load_dwordx4 v[10:13], v8, off
	s_waitcnt vmcnt(0) lgkmcnt(0)
	v_mul_f64 v[6:7], v[4:5], v[12:13]
	v_mul_f64 v[12:13], v[2:3], v[12:13]
	v_fmac_f64_e32 v[12:13], v[4:5], v[10:11]
	v_fma_f64 v[2:3], v[2:3], v[10:11], -v[6:7]
	v_mov_b64_e32 v[4:5], v[12:13]
.LBB76_122:
	v_cmp_ne_u32_e32 vcc, 3, v0
	s_and_saveexec_b64 s[6:7], vcc
	s_cbranch_execz .LBB76_126
; %bb.123:
	v_mov_b32_e32 v7, 0
	v_add_u32_e32 v6, 0xe0, v40
	v_add3_u32 v7, v40, v7, 24
	s_mov_b64 s[8:9], 0
	v_mov_b32_e32 v10, v0
.LBB76_124:                             ; =>This Inner Loop Header: Depth=1
	v_add_u32_e32 v11, -8, v7
	scratch_load_dwordx4 v[52:55], v11, off
	ds_read_b128 v[56:59], v6
	v_add_u32_e32 v10, 1, v10
	v_cmp_lt_u32_e32 vcc, 2, v10
	v_add_u32_e32 v6, 16, v6
	v_add_u32_e32 v7, 16, v7
	s_or_b64 s[8:9], vcc, s[8:9]
	s_waitcnt vmcnt(0) lgkmcnt(0)
	v_mul_f64 v[12:13], v[58:59], v[54:55]
	v_mul_f64 v[54:55], v[56:57], v[54:55]
	v_fma_f64 v[12:13], v[56:57], v[52:53], -v[12:13]
	v_fmac_f64_e32 v[54:55], v[58:59], v[52:53]
	v_add_f64 v[2:3], v[2:3], v[12:13]
	v_add_f64 v[4:5], v[4:5], v[54:55]
	s_andn2_b64 exec, exec, s[8:9]
	s_cbranch_execnz .LBB76_124
; %bb.125:
	s_or_b64 exec, exec, s[8:9]
.LBB76_126:
	s_or_b64 exec, exec, s[6:7]
	v_mov_b32_e32 v6, 0
	ds_read_b128 v[10:13], v6 offset:64
	s_waitcnt lgkmcnt(0)
	v_mul_f64 v[6:7], v[4:5], v[12:13]
	v_mul_f64 v[54:55], v[2:3], v[12:13]
	v_fma_f64 v[52:53], v[2:3], v[10:11], -v[6:7]
	v_fmac_f64_e32 v[54:55], v[4:5], v[10:11]
	scratch_store_dwordx4 off, v[52:55], off offset:64
.LBB76_127:
	s_or_b64 exec, exec, s[2:3]
	scratch_load_dwordx4 v[2:5], v48, off
	v_cmp_gt_u32_e32 vcc, 5, v0
	s_waitcnt vmcnt(0)
	ds_write_b128 v9, v[2:5]
	s_waitcnt lgkmcnt(0)
	; wave barrier
	s_waitcnt lgkmcnt(0)
	s_and_saveexec_b64 s[2:3], vcc
	s_cbranch_execz .LBB76_135
; %bb.128:
	ds_read_b128 v[2:5], v9
	s_and_b64 vcc, exec, s[0:1]
	s_cbranch_vccnz .LBB76_130
; %bb.129:
	scratch_load_dwordx4 v[10:13], v8, off
	s_waitcnt vmcnt(0) lgkmcnt(0)
	v_mul_f64 v[6:7], v[4:5], v[12:13]
	v_mul_f64 v[12:13], v[2:3], v[12:13]
	v_fmac_f64_e32 v[12:13], v[4:5], v[10:11]
	v_fma_f64 v[2:3], v[2:3], v[10:11], -v[6:7]
	v_mov_b64_e32 v[4:5], v[12:13]
.LBB76_130:
	v_cmp_ne_u32_e32 vcc, 4, v0
	s_and_saveexec_b64 s[6:7], vcc
	s_cbranch_execz .LBB76_134
; %bb.131:
	v_mov_b32_e32 v7, 0
	v_add_u32_e32 v6, 0xe0, v40
	v_add3_u32 v7, v40, v7, 24
	s_mov_b64 s[8:9], 0
	v_mov_b32_e32 v10, v0
.LBB76_132:                             ; =>This Inner Loop Header: Depth=1
	v_add_u32_e32 v11, -8, v7
	scratch_load_dwordx4 v[52:55], v11, off
	ds_read_b128 v[56:59], v6
	v_add_u32_e32 v10, 1, v10
	v_cmp_lt_u32_e32 vcc, 3, v10
	v_add_u32_e32 v6, 16, v6
	v_add_u32_e32 v7, 16, v7
	s_or_b64 s[8:9], vcc, s[8:9]
	s_waitcnt vmcnt(0) lgkmcnt(0)
	v_mul_f64 v[12:13], v[58:59], v[54:55]
	v_mul_f64 v[54:55], v[56:57], v[54:55]
	v_fma_f64 v[12:13], v[56:57], v[52:53], -v[12:13]
	v_fmac_f64_e32 v[54:55], v[58:59], v[52:53]
	v_add_f64 v[2:3], v[2:3], v[12:13]
	v_add_f64 v[4:5], v[4:5], v[54:55]
	s_andn2_b64 exec, exec, s[8:9]
	s_cbranch_execnz .LBB76_132
; %bb.133:
	s_or_b64 exec, exec, s[8:9]
.LBB76_134:
	s_or_b64 exec, exec, s[6:7]
	v_mov_b32_e32 v6, 0
	ds_read_b128 v[10:13], v6 offset:80
	s_waitcnt lgkmcnt(0)
	v_mul_f64 v[6:7], v[4:5], v[12:13]
	v_mul_f64 v[54:55], v[2:3], v[12:13]
	v_fma_f64 v[52:53], v[2:3], v[10:11], -v[6:7]
	v_fmac_f64_e32 v[54:55], v[4:5], v[10:11]
	scratch_store_dwordx4 off, v[52:55], off offset:80
.LBB76_135:
	;; [unrolled: 63-line block ×7, first 2 shown]
	s_or_b64 exec, exec, s[2:3]
	scratch_load_dwordx4 v[2:5], v41, off
	v_cmp_gt_u32_e64 s[2:3], 11, v0
	s_waitcnt vmcnt(0)
	ds_write_b128 v9, v[2:5]
	s_waitcnt lgkmcnt(0)
	; wave barrier
	s_waitcnt lgkmcnt(0)
	s_and_saveexec_b64 s[6:7], s[2:3]
	s_cbranch_execz .LBB76_183
; %bb.176:
	ds_read_b128 v[2:5], v9
	s_and_b64 vcc, exec, s[0:1]
	s_cbranch_vccnz .LBB76_178
; %bb.177:
	scratch_load_dwordx4 v[10:13], v8, off
	s_waitcnt vmcnt(0) lgkmcnt(0)
	v_mul_f64 v[6:7], v[4:5], v[12:13]
	v_mul_f64 v[12:13], v[2:3], v[12:13]
	v_fmac_f64_e32 v[12:13], v[4:5], v[10:11]
	v_fma_f64 v[2:3], v[2:3], v[10:11], -v[6:7]
	v_mov_b64_e32 v[4:5], v[12:13]
.LBB76_178:
	v_cmp_ne_u32_e32 vcc, 10, v0
	s_and_saveexec_b64 s[8:9], vcc
	s_cbranch_execz .LBB76_182
; %bb.179:
	v_mov_b32_e32 v7, 0
	v_add_u32_e32 v6, 0xe0, v40
	v_add3_u32 v7, v40, v7, 24
	s_mov_b64 s[10:11], 0
	v_mov_b32_e32 v10, v0
.LBB76_180:                             ; =>This Inner Loop Header: Depth=1
	v_add_u32_e32 v11, -8, v7
	scratch_load_dwordx4 v[52:55], v11, off
	ds_read_b128 v[56:59], v6
	v_add_u32_e32 v10, 1, v10
	v_cmp_lt_u32_e32 vcc, 9, v10
	v_add_u32_e32 v6, 16, v6
	v_add_u32_e32 v7, 16, v7
	s_or_b64 s[10:11], vcc, s[10:11]
	s_waitcnt vmcnt(0) lgkmcnt(0)
	v_mul_f64 v[12:13], v[58:59], v[54:55]
	v_mul_f64 v[54:55], v[56:57], v[54:55]
	v_fma_f64 v[12:13], v[56:57], v[52:53], -v[12:13]
	v_fmac_f64_e32 v[54:55], v[58:59], v[52:53]
	v_add_f64 v[2:3], v[2:3], v[12:13]
	v_add_f64 v[4:5], v[4:5], v[54:55]
	s_andn2_b64 exec, exec, s[10:11]
	s_cbranch_execnz .LBB76_180
; %bb.181:
	s_or_b64 exec, exec, s[10:11]
.LBB76_182:
	s_or_b64 exec, exec, s[8:9]
	v_mov_b32_e32 v6, 0
	ds_read_b128 v[10:13], v6 offset:176
	s_waitcnt lgkmcnt(0)
	v_mul_f64 v[6:7], v[4:5], v[12:13]
	v_mul_f64 v[54:55], v[2:3], v[12:13]
	v_fma_f64 v[52:53], v[2:3], v[10:11], -v[6:7]
	v_fmac_f64_e32 v[54:55], v[4:5], v[10:11]
	scratch_store_dwordx4 off, v[52:55], off offset:176
.LBB76_183:
	s_or_b64 exec, exec, s[6:7]
	scratch_load_dwordx4 v[2:5], v1, off
	v_cmp_ne_u32_e32 vcc, 12, v0
                                        ; implicit-def: $vgpr6_vgpr7
                                        ; implicit-def: $vgpr10
	s_waitcnt vmcnt(0)
	ds_write_b128 v9, v[2:5]
	s_waitcnt lgkmcnt(0)
	; wave barrier
	s_waitcnt lgkmcnt(0)
	s_and_saveexec_b64 s[6:7], vcc
	s_cbranch_execz .LBB76_191
; %bb.184:
	ds_read_b128 v[2:5], v9
	s_and_b64 vcc, exec, s[0:1]
	s_cbranch_vccnz .LBB76_186
; %bb.185:
	scratch_load_dwordx4 v[6:9], v8, off
	s_waitcnt vmcnt(0) lgkmcnt(0)
	v_mul_f64 v[10:11], v[4:5], v[8:9]
	v_mul_f64 v[8:9], v[2:3], v[8:9]
	v_fmac_f64_e32 v[8:9], v[4:5], v[6:7]
	v_fma_f64 v[2:3], v[2:3], v[6:7], -v[10:11]
	v_mov_b64_e32 v[4:5], v[8:9]
.LBB76_186:
	s_and_saveexec_b64 s[0:1], s[2:3]
	s_cbranch_execz .LBB76_190
; %bb.187:
	v_mov_b32_e32 v7, 0
	v_add_u32_e32 v6, 0xe0, v40
	v_add3_u32 v7, v40, v7, 24
	s_mov_b64 s[2:3], 0
.LBB76_188:                             ; =>This Inner Loop Header: Depth=1
	v_add_u32_e32 v8, -8, v7
	scratch_load_dwordx4 v[8:11], v8, off
	ds_read_b128 v[52:55], v6
	v_add_u32_e32 v0, 1, v0
	v_cmp_lt_u32_e32 vcc, 10, v0
	v_add_u32_e32 v6, 16, v6
	v_add_u32_e32 v7, 16, v7
	s_or_b64 s[2:3], vcc, s[2:3]
	s_waitcnt vmcnt(0) lgkmcnt(0)
	v_mul_f64 v[12:13], v[54:55], v[10:11]
	v_mul_f64 v[10:11], v[52:53], v[10:11]
	v_fma_f64 v[12:13], v[52:53], v[8:9], -v[12:13]
	v_fmac_f64_e32 v[10:11], v[54:55], v[8:9]
	v_add_f64 v[2:3], v[2:3], v[12:13]
	v_add_f64 v[4:5], v[4:5], v[10:11]
	s_andn2_b64 exec, exec, s[2:3]
	s_cbranch_execnz .LBB76_188
; %bb.189:
	s_or_b64 exec, exec, s[2:3]
.LBB76_190:
	s_or_b64 exec, exec, s[0:1]
	v_mov_b32_e32 v0, 0
	ds_read_b128 v[52:55], v0 offset:192
	v_mov_b32_e32 v0, 0
	v_add_u32_e32 v10, 0xc8, v0
	s_or_b64 s[4:5], s[4:5], exec
	s_waitcnt lgkmcnt(0)
	v_mul_f64 v[8:9], v[4:5], v[54:55]
	v_mul_f64 v[6:7], v[2:3], v[54:55]
	v_fma_f64 v[2:3], v[2:3], v[52:53], -v[8:9]
	v_fmac_f64_e32 v[6:7], v[4:5], v[52:53]
	scratch_store_dwordx2 off, v[2:3], off offset:192
.LBB76_191:
	s_or_b64 exec, exec, s[6:7]
.LBB76_192:
	s_and_saveexec_b64 s[0:1], s[4:5]
	s_cbranch_execz .LBB76_194
; %bb.193:
	scratch_store_dwordx2 v10, v[6:7], off
.LBB76_194:
	s_or_b64 exec, exec, s[0:1]
	scratch_load_dwordx4 v[2:5], off, off
	scratch_load_dwordx4 v[6:9], v46, off
	scratch_load_dwordx4 v[10:13], v49, off
	;; [unrolled: 1-line block ×6, first 2 shown]
	s_waitcnt vmcnt(6)
	global_store_dwordx4 v[16:17], v[2:5], off
	scratch_load_dwordx4 v[2:5], v45, off
	s_nop 0
	scratch_load_dwordx4 v[46:49], v44, off
	s_waitcnt vmcnt(8)
	global_store_dwordx4 v[14:15], v[6:9], off
	scratch_load_dwordx4 v[6:9], v43, off
	s_nop 0
	scratch_load_dwordx4 v[14:17], v42, off
	;; [unrolled: 5-line block ×3, first 2 shown]
	s_waitcnt vmcnt(12)
	global_store_dwordx4 v[20:21], v[52:55], off
	s_waitcnt vmcnt(12)
	global_store_dwordx4 v[22:23], v[56:59], off
	;; [unrolled: 2-line block ×10, first 2 shown]
.LBB76_195:
	s_endpgm
	.section	.rodata,"a",@progbits
	.p2align	6, 0x0
	.amdhsa_kernel _ZN9rocsolver6v33100L18trti2_kernel_smallILi13E19rocblas_complex_numIdEPKPS3_EEv13rocblas_fill_17rocblas_diagonal_T1_iil
		.amdhsa_group_segment_fixed_size 416
		.amdhsa_private_segment_fixed_size 224
		.amdhsa_kernarg_size 32
		.amdhsa_user_sgpr_count 2
		.amdhsa_user_sgpr_dispatch_ptr 0
		.amdhsa_user_sgpr_queue_ptr 0
		.amdhsa_user_sgpr_kernarg_segment_ptr 1
		.amdhsa_user_sgpr_dispatch_id 0
		.amdhsa_user_sgpr_kernarg_preload_length 0
		.amdhsa_user_sgpr_kernarg_preload_offset 0
		.amdhsa_user_sgpr_private_segment_size 0
		.amdhsa_uses_dynamic_stack 0
		.amdhsa_enable_private_segment 1
		.amdhsa_system_sgpr_workgroup_id_x 1
		.amdhsa_system_sgpr_workgroup_id_y 0
		.amdhsa_system_sgpr_workgroup_id_z 0
		.amdhsa_system_sgpr_workgroup_info 0
		.amdhsa_system_vgpr_workitem_id 0
		.amdhsa_next_free_vgpr 68
		.amdhsa_next_free_sgpr 12
		.amdhsa_accum_offset 68
		.amdhsa_reserve_vcc 1
		.amdhsa_float_round_mode_32 0
		.amdhsa_float_round_mode_16_64 0
		.amdhsa_float_denorm_mode_32 3
		.amdhsa_float_denorm_mode_16_64 3
		.amdhsa_dx10_clamp 1
		.amdhsa_ieee_mode 1
		.amdhsa_fp16_overflow 0
		.amdhsa_tg_split 0
		.amdhsa_exception_fp_ieee_invalid_op 0
		.amdhsa_exception_fp_denorm_src 0
		.amdhsa_exception_fp_ieee_div_zero 0
		.amdhsa_exception_fp_ieee_overflow 0
		.amdhsa_exception_fp_ieee_underflow 0
		.amdhsa_exception_fp_ieee_inexact 0
		.amdhsa_exception_int_div_zero 0
	.end_amdhsa_kernel
	.section	.text._ZN9rocsolver6v33100L18trti2_kernel_smallILi13E19rocblas_complex_numIdEPKPS3_EEv13rocblas_fill_17rocblas_diagonal_T1_iil,"axG",@progbits,_ZN9rocsolver6v33100L18trti2_kernel_smallILi13E19rocblas_complex_numIdEPKPS3_EEv13rocblas_fill_17rocblas_diagonal_T1_iil,comdat
.Lfunc_end76:
	.size	_ZN9rocsolver6v33100L18trti2_kernel_smallILi13E19rocblas_complex_numIdEPKPS3_EEv13rocblas_fill_17rocblas_diagonal_T1_iil, .Lfunc_end76-_ZN9rocsolver6v33100L18trti2_kernel_smallILi13E19rocblas_complex_numIdEPKPS3_EEv13rocblas_fill_17rocblas_diagonal_T1_iil
                                        ; -- End function
	.section	.AMDGPU.csdata,"",@progbits
; Kernel info:
; codeLenInByte = 8352
; NumSgprs: 18
; NumVgprs: 68
; NumAgprs: 0
; TotalNumVgprs: 68
; ScratchSize: 224
; MemoryBound: 0
; FloatMode: 240
; IeeeMode: 1
; LDSByteSize: 416 bytes/workgroup (compile time only)
; SGPRBlocks: 2
; VGPRBlocks: 8
; NumSGPRsForWavesPerEU: 18
; NumVGPRsForWavesPerEU: 68
; AccumOffset: 68
; Occupancy: 7
; WaveLimiterHint : 1
; COMPUTE_PGM_RSRC2:SCRATCH_EN: 1
; COMPUTE_PGM_RSRC2:USER_SGPR: 2
; COMPUTE_PGM_RSRC2:TRAP_HANDLER: 0
; COMPUTE_PGM_RSRC2:TGID_X_EN: 1
; COMPUTE_PGM_RSRC2:TGID_Y_EN: 0
; COMPUTE_PGM_RSRC2:TGID_Z_EN: 0
; COMPUTE_PGM_RSRC2:TIDIG_COMP_CNT: 0
; COMPUTE_PGM_RSRC3_GFX90A:ACCUM_OFFSET: 16
; COMPUTE_PGM_RSRC3_GFX90A:TG_SPLIT: 0
	.section	.text._ZN9rocsolver6v33100L18trti2_kernel_smallILi14E19rocblas_complex_numIdEPKPS3_EEv13rocblas_fill_17rocblas_diagonal_T1_iil,"axG",@progbits,_ZN9rocsolver6v33100L18trti2_kernel_smallILi14E19rocblas_complex_numIdEPKPS3_EEv13rocblas_fill_17rocblas_diagonal_T1_iil,comdat
	.globl	_ZN9rocsolver6v33100L18trti2_kernel_smallILi14E19rocblas_complex_numIdEPKPS3_EEv13rocblas_fill_17rocblas_diagonal_T1_iil ; -- Begin function _ZN9rocsolver6v33100L18trti2_kernel_smallILi14E19rocblas_complex_numIdEPKPS3_EEv13rocblas_fill_17rocblas_diagonal_T1_iil
	.p2align	8
	.type	_ZN9rocsolver6v33100L18trti2_kernel_smallILi14E19rocblas_complex_numIdEPKPS3_EEv13rocblas_fill_17rocblas_diagonal_T1_iil,@function
_ZN9rocsolver6v33100L18trti2_kernel_smallILi14E19rocblas_complex_numIdEPKPS3_EEv13rocblas_fill_17rocblas_diagonal_T1_iil: ; @_ZN9rocsolver6v33100L18trti2_kernel_smallILi14E19rocblas_complex_numIdEPKPS3_EEv13rocblas_fill_17rocblas_diagonal_T1_iil
; %bb.0:
	v_cmp_gt_u32_e32 vcc, 14, v0
	s_and_saveexec_b64 s[4:5], vcc
	s_cbranch_execz .LBB77_211
; %bb.1:
	s_load_dwordx2 s[8:9], s[0:1], 0x10
	s_load_dwordx4 s[4:7], s[0:1], 0x0
	s_ashr_i32 s3, s2, 31
	s_lshl_b64 s[0:1], s[2:3], 3
	v_lshlrev_b32_e32 v42, 4, v0
	s_waitcnt lgkmcnt(0)
	s_ashr_i32 s3, s8, 31
	s_add_u32 s0, s6, s0
	s_addc_u32 s1, s7, s1
	s_load_dwordx2 s[0:1], s[0:1], 0x0
	s_mov_b32 s2, s8
	s_lshl_b64 s[2:3], s[2:3], 4
	v_mov_b32_e32 v43, 0
	s_waitcnt lgkmcnt(0)
	s_add_u32 s0, s0, s2
	s_addc_u32 s1, s1, s3
	global_load_dwordx4 v[2:5], v42, s[0:1]
	s_add_i32 s6, s9, s9
	v_add_u32_e32 v6, s6, v0
	v_add_u32_e32 v18, s9, v6
	;; [unrolled: 1-line block ×10, first 2 shown]
	s_mov_b32 s2, s9
	s_ashr_i32 s3, s9, 31
	v_lshl_add_u64 v[20:21], s[0:1], 0, v[42:43]
	v_add_u32_e32 v66, s9, v64
	v_lshl_add_u64 v[14:15], s[2:3], 4, v[20:21]
	v_ashrrev_i32_e32 v7, 31, v6
	v_ashrrev_i32_e32 v19, 31, v18
	v_add_u32_e32 v28, s9, v66
	v_lshl_add_u64 v[16:17], v[6:7], 4, s[0:1]
	global_load_dwordx4 v[6:9], v[14:15], off
	global_load_dwordx4 v[10:13], v[16:17], off
	v_lshl_add_u64 v[18:19], v[18:19], 4, s[0:1]
	v_ashrrev_i32_e32 v23, 31, v22
	v_ashrrev_i32_e32 v25, 31, v24
	;; [unrolled: 1-line block ×3, first 2 shown]
	v_lshl_add_u64 v[22:23], v[22:23], 4, s[0:1]
	global_load_dwordx4 v[38:41], v[18:19], off
	global_load_dwordx4 v[44:47], v[22:23], off
	v_lshl_add_u64 v[24:25], v[24:25], 4, s[0:1]
	v_ashrrev_i32_e32 v27, 31, v26
	v_lshl_add_u64 v[28:29], v[28:29], 4, s[0:1]
	v_lshl_add_u64 v[26:27], v[26:27], 4, s[0:1]
	global_load_dwordx4 v[48:51], v[28:29], off
	v_ashrrev_i32_e32 v31, 31, v30
	v_lshl_add_u64 v[30:31], v[30:31], 4, s[0:1]
	v_ashrrev_i32_e32 v33, 31, v32
	v_ashrrev_i32_e32 v35, 31, v34
	v_lshl_add_u64 v[32:33], v[32:33], 4, s[0:1]
	v_lshl_add_u64 v[34:35], v[34:35], 4, s[0:1]
	v_ashrrev_i32_e32 v37, 31, v36
	v_ashrrev_i32_e32 v65, 31, v64
	v_lshl_add_u64 v[36:37], v[36:37], 4, s[0:1]
	v_ashrrev_i32_e32 v67, 31, v66
	s_cmpk_lg_i32 s5, 0x84
	s_cselect_b64 s[6:7], -1, 0
	s_cmpk_eq_i32 s5, 0x84
	s_waitcnt vmcnt(5)
	scratch_store_dwordx4 off, v[2:5], off
	global_load_dwordx4 v[2:5], v[24:25], off
	s_nop 0
	global_load_dwordx4 v[52:55], v[26:27], off
	s_waitcnt vmcnt(7)
	scratch_store_dwordx4 off, v[6:9], off offset:16
	s_waitcnt vmcnt(7)
	scratch_store_dwordx4 off, v[10:13], off offset:32
	global_load_dwordx4 v[6:9], v[30:31], off
	global_load_dwordx4 v[56:59], v[32:33], off
	s_waitcnt vmcnt(9)
	scratch_store_dwordx4 off, v[38:41], off offset:48
	s_waitcnt vmcnt(9)
	scratch_store_dwordx4 off, v[44:47], off offset:64
	global_load_dwordx4 v[44:47], v[34:35], off
	s_nop 0
	global_load_dwordx4 v[60:63], v[36:37], off
	v_lshl_add_u64 v[38:39], v[64:65], 4, s[0:1]
	v_lshl_add_u64 v[40:41], v[66:67], 4, s[0:1]
	v_mov_b32_e32 v12, 0
	s_waitcnt vmcnt(9)
	scratch_store_dwordx4 off, v[2:5], off offset:80
	s_waitcnt vmcnt(9)
	scratch_store_dwordx4 off, v[52:55], off offset:96
	global_load_dwordx4 v[2:5], v[38:39], off
	s_nop 0
	global_load_dwordx4 v[52:55], v[40:41], off
	s_waitcnt vmcnt(9)
	scratch_store_dwordx4 off, v[6:9], off offset:112
	s_waitcnt vmcnt(9)
	scratch_store_dwordx4 off, v[56:59], off offset:128
	;; [unrolled: 2-line block ×6, first 2 shown]
	scratch_store_dwordx4 off, v[48:51], off offset:208
	s_cbranch_scc1 .LBB77_7
; %bb.2:
	scratch_load_dwordx4 v[2:5], v42, off
                                        ; implicit-def: $vgpr10_vgpr11
	s_waitcnt vmcnt(0)
	v_xor_b32_e32 v1, 0x80000000, v3
	v_cmp_gt_f64_e32 vcc, 0, v[2:3]
	v_xor_b32_e32 v8, 0x80000000, v5
	v_mov_b32_e32 v6, v2
	v_cndmask_b32_e32 v7, v3, v1, vcc
	v_cmp_gt_f64_e32 vcc, 0, v[4:5]
	s_nop 1
	v_cndmask_b32_e32 v9, v5, v8, vcc
	v_mov_b32_e32 v8, v4
	v_cmp_ngt_f64_e32 vcc, v[6:7], v[8:9]
                                        ; implicit-def: $vgpr6_vgpr7
	s_and_saveexec_b64 s[0:1], vcc
	s_xor_b64 s[0:1], exec, s[0:1]
	s_cbranch_execz .LBB77_4
; %bb.3:
	v_div_scale_f64 v[6:7], s[2:3], v[4:5], v[4:5], v[2:3]
	v_rcp_f64_e32 v[8:9], v[6:7]
	v_div_scale_f64 v[10:11], vcc, v[2:3], v[4:5], v[2:3]
	v_fma_f64 v[44:45], -v[6:7], v[8:9], 1.0
	v_fmac_f64_e32 v[8:9], v[8:9], v[44:45]
	v_fma_f64 v[44:45], -v[6:7], v[8:9], 1.0
	v_fmac_f64_e32 v[8:9], v[8:9], v[44:45]
	v_mul_f64 v[44:45], v[10:11], v[8:9]
	v_fma_f64 v[6:7], -v[6:7], v[44:45], v[10:11]
	v_div_fmas_f64 v[6:7], v[6:7], v[8:9], v[44:45]
	v_div_fixup_f64 v[6:7], v[6:7], v[4:5], v[2:3]
	v_fmac_f64_e32 v[4:5], v[2:3], v[6:7]
	v_div_scale_f64 v[2:3], s[2:3], v[4:5], v[4:5], 1.0
	v_rcp_f64_e32 v[8:9], v[2:3]
	s_nop 0
	v_fma_f64 v[10:11], -v[2:3], v[8:9], 1.0
	v_fmac_f64_e32 v[8:9], v[8:9], v[10:11]
	v_fma_f64 v[10:11], -v[2:3], v[8:9], 1.0
	v_fmac_f64_e32 v[8:9], v[8:9], v[10:11]
	v_div_scale_f64 v[10:11], vcc, 1.0, v[4:5], 1.0
	v_mul_f64 v[44:45], v[10:11], v[8:9]
	v_fma_f64 v[2:3], -v[2:3], v[44:45], v[10:11]
	s_nop 1
	v_div_fmas_f64 v[2:3], v[2:3], v[8:9], v[44:45]
	v_div_fixup_f64 v[8:9], v[2:3], v[4:5], 1.0
	v_mul_f64 v[6:7], v[6:7], v[8:9]
	v_xor_b32_e32 v9, 0x80000000, v9
	v_xor_b32_e32 v11, 0x80000000, v7
	v_mov_b32_e32 v10, v6
                                        ; implicit-def: $vgpr2_vgpr3
.LBB77_4:
	s_or_saveexec_b64 s[0:1], s[0:1]
	v_add_u32_e32 v1, 0, v42
	s_xor_b64 exec, exec, s[0:1]
	s_cbranch_execz .LBB77_6
; %bb.5:
	v_div_scale_f64 v[6:7], s[2:3], v[2:3], v[2:3], v[4:5]
	v_rcp_f64_e32 v[8:9], v[6:7]
	v_div_scale_f64 v[10:11], vcc, v[4:5], v[2:3], v[4:5]
	v_fma_f64 v[44:45], -v[6:7], v[8:9], 1.0
	v_fmac_f64_e32 v[8:9], v[8:9], v[44:45]
	v_fma_f64 v[44:45], -v[6:7], v[8:9], 1.0
	v_fmac_f64_e32 v[8:9], v[8:9], v[44:45]
	v_mul_f64 v[44:45], v[10:11], v[8:9]
	v_fma_f64 v[6:7], -v[6:7], v[44:45], v[10:11]
	v_div_fmas_f64 v[6:7], v[6:7], v[8:9], v[44:45]
	v_div_fixup_f64 v[8:9], v[6:7], v[2:3], v[4:5]
	v_fmac_f64_e32 v[2:3], v[4:5], v[8:9]
	v_div_scale_f64 v[4:5], s[2:3], v[2:3], v[2:3], 1.0
	v_rcp_f64_e32 v[6:7], v[4:5]
	s_nop 0
	v_fma_f64 v[10:11], -v[4:5], v[6:7], 1.0
	v_fmac_f64_e32 v[6:7], v[6:7], v[10:11]
	v_fma_f64 v[10:11], -v[4:5], v[6:7], 1.0
	v_fmac_f64_e32 v[6:7], v[6:7], v[10:11]
	v_div_scale_f64 v[10:11], vcc, 1.0, v[2:3], 1.0
	v_mul_f64 v[44:45], v[10:11], v[6:7]
	v_fma_f64 v[4:5], -v[4:5], v[44:45], v[10:11]
	s_nop 1
	v_div_fmas_f64 v[4:5], v[4:5], v[6:7], v[44:45]
	v_div_fixup_f64 v[6:7], v[4:5], v[2:3], 1.0
	v_xor_b32_e32 v11, 0x80000000, v7
	v_mov_b32_e32 v10, v6
	v_mul_f64 v[8:9], v[8:9], -v[6:7]
.LBB77_6:
	s_or_b64 exec, exec, s[0:1]
	scratch_store_dwordx4 v1, v[6:9], off
	s_nop 1
	v_xor_b32_e32 v9, 0x80000000, v9
	s_branch .LBB77_8
.LBB77_7:
	v_mov_b64_e32 v[8:9], 0
	v_mov_b64_e32 v[10:11], -1.0
.LBB77_8:
	v_add_u32_e32 v51, 16, v12
	v_add_u32_e32 v50, 32, v12
	;; [unrolled: 1-line block ×13, first 2 shown]
	v_mov_b32_e32 v12, v8
	v_mov_b32_e32 v13, v9
	s_cmpk_eq_i32 s4, 0x79
	v_add_u32_e32 v9, 0xe0, v42
	v_add_u32_e32 v8, 0, v42
	ds_write_b128 v42, v[10:13]
	s_cbranch_scc1 .LBB77_108
; %bb.9:
	scratch_load_dwordx4 v[2:5], v1, off
	v_cmp_eq_u32_e64 s[0:1], 13, v0
	s_waitcnt vmcnt(0)
	ds_write_b128 v9, v[2:5]
	s_waitcnt lgkmcnt(0)
	; wave barrier
	s_waitcnt lgkmcnt(0)
	s_and_saveexec_b64 s[2:3], s[0:1]
	s_cbranch_execz .LBB77_13
; %bb.10:
	ds_read_b128 v[2:5], v9
	s_andn2_b64 vcc, exec, s[6:7]
	s_cbranch_vccnz .LBB77_12
; %bb.11:
	scratch_load_dwordx4 v[10:13], v8, off
	s_waitcnt vmcnt(0) lgkmcnt(0)
	v_mul_f64 v[6:7], v[4:5], v[12:13]
	v_mul_f64 v[12:13], v[2:3], v[12:13]
	v_fmac_f64_e32 v[12:13], v[4:5], v[10:11]
	v_fma_f64 v[2:3], v[2:3], v[10:11], -v[6:7]
	v_mov_b64_e32 v[4:5], v[12:13]
.LBB77_12:
	v_mov_b32_e32 v6, 0
	ds_read_b128 v[10:13], v6 offset:192
	s_waitcnt lgkmcnt(0)
	v_mul_f64 v[6:7], v[4:5], v[12:13]
	v_mul_f64 v[58:59], v[2:3], v[12:13]
	v_fma_f64 v[56:57], v[2:3], v[10:11], -v[6:7]
	v_fmac_f64_e32 v[58:59], v[4:5], v[10:11]
	scratch_store_dwordx4 off, v[56:59], off offset:192
.LBB77_13:
	s_or_b64 exec, exec, s[2:3]
	scratch_load_dwordx4 v[2:5], v45, off
	v_cmp_lt_u32_e64 s[2:3], 11, v0
	s_waitcnt vmcnt(0)
	ds_write_b128 v9, v[2:5]
	s_waitcnt lgkmcnt(0)
	; wave barrier
	s_waitcnt lgkmcnt(0)
	s_and_saveexec_b64 s[4:5], s[2:3]
	s_cbranch_execz .LBB77_19
; %bb.14:
	ds_read_b128 v[2:5], v9
	s_andn2_b64 vcc, exec, s[6:7]
	s_cbranch_vccnz .LBB77_16
; %bb.15:
	scratch_load_dwordx4 v[10:13], v8, off
	s_waitcnt vmcnt(0) lgkmcnt(0)
	v_mul_f64 v[6:7], v[4:5], v[12:13]
	v_mul_f64 v[12:13], v[2:3], v[12:13]
	v_fmac_f64_e32 v[12:13], v[4:5], v[10:11]
	v_fma_f64 v[2:3], v[2:3], v[10:11], -v[6:7]
	v_mov_b64_e32 v[4:5], v[12:13]
.LBB77_16:
	s_and_saveexec_b64 s[8:9], s[0:1]
	s_cbranch_execz .LBB77_18
; %bb.17:
	scratch_load_dwordx4 v[10:13], off, off offset:192
	v_mov_b32_e32 v6, 0
	ds_read_b128 v[56:59], v6 offset:416
	s_waitcnt vmcnt(0) lgkmcnt(0)
	v_mul_f64 v[6:7], v[56:57], v[12:13]
	v_mul_f64 v[12:13], v[58:59], v[12:13]
	v_fmac_f64_e32 v[6:7], v[58:59], v[10:11]
	v_fma_f64 v[10:11], v[56:57], v[10:11], -v[12:13]
	v_add_f64 v[4:5], v[4:5], v[6:7]
	v_add_f64 v[2:3], v[2:3], v[10:11]
.LBB77_18:
	s_or_b64 exec, exec, s[8:9]
	v_mov_b32_e32 v6, 0
	ds_read_b128 v[10:13], v6 offset:176
	s_waitcnt lgkmcnt(0)
	v_mul_f64 v[6:7], v[4:5], v[12:13]
	v_mul_f64 v[58:59], v[2:3], v[12:13]
	v_fma_f64 v[56:57], v[2:3], v[10:11], -v[6:7]
	v_fmac_f64_e32 v[58:59], v[4:5], v[10:11]
	scratch_store_dwordx4 off, v[56:59], off offset:176
.LBB77_19:
	s_or_b64 exec, exec, s[4:5]
	scratch_load_dwordx4 v[2:5], v44, off
	v_cmp_lt_u32_e64 s[0:1], 10, v0
	s_waitcnt vmcnt(0)
	ds_write_b128 v9, v[2:5]
	s_waitcnt lgkmcnt(0)
	; wave barrier
	s_waitcnt lgkmcnt(0)
	s_and_saveexec_b64 s[4:5], s[0:1]
	s_cbranch_execz .LBB77_27
; %bb.20:
	ds_read_b128 v[2:5], v9
	s_andn2_b64 vcc, exec, s[6:7]
	s_cbranch_vccnz .LBB77_22
; %bb.21:
	scratch_load_dwordx4 v[10:13], v8, off
	s_waitcnt vmcnt(0) lgkmcnt(0)
	v_mul_f64 v[6:7], v[4:5], v[12:13]
	v_mul_f64 v[12:13], v[2:3], v[12:13]
	v_fmac_f64_e32 v[12:13], v[4:5], v[10:11]
	v_fma_f64 v[2:3], v[2:3], v[10:11], -v[6:7]
	v_mov_b64_e32 v[4:5], v[12:13]
.LBB77_22:
	s_and_saveexec_b64 s[8:9], s[2:3]
	s_cbranch_execz .LBB77_26
; %bb.23:
	v_mov_b32_e32 v7, 0
	v_add_u32_e32 v6, -11, v0
	v_add_u32_e32 v7, 0xb8, v7
	s_movk_i32 s10, 0x190
	s_mov_b64 s[2:3], 0
.LBB77_24:                              ; =>This Inner Loop Header: Depth=1
	v_add_u32_e32 v10, -8, v7
	scratch_load_dwordx4 v[10:13], v10, off
	v_mov_b32_e32 v55, s10
	ds_read_b128 v[56:59], v55
	v_add_u32_e32 v6, -1, v6
	s_add_i32 s10, s10, 16
	v_cmp_eq_u32_e32 vcc, 0, v6
	v_add_u32_e32 v7, 16, v7
	s_or_b64 s[2:3], vcc, s[2:3]
	s_waitcnt vmcnt(0) lgkmcnt(0)
	v_mul_f64 v[60:61], v[58:59], v[12:13]
	v_mul_f64 v[12:13], v[56:57], v[12:13]
	v_fma_f64 v[56:57], v[56:57], v[10:11], -v[60:61]
	v_fmac_f64_e32 v[12:13], v[58:59], v[10:11]
	v_add_f64 v[2:3], v[2:3], v[56:57]
	v_add_f64 v[4:5], v[4:5], v[12:13]
	s_andn2_b64 exec, exec, s[2:3]
	s_cbranch_execnz .LBB77_24
; %bb.25:
	s_or_b64 exec, exec, s[2:3]
.LBB77_26:
	s_or_b64 exec, exec, s[8:9]
	v_mov_b32_e32 v6, 0
	ds_read_b128 v[10:13], v6 offset:160
	s_waitcnt lgkmcnt(0)
	v_mul_f64 v[6:7], v[4:5], v[12:13]
	v_mul_f64 v[58:59], v[2:3], v[12:13]
	v_fma_f64 v[56:57], v[2:3], v[10:11], -v[6:7]
	v_fmac_f64_e32 v[58:59], v[4:5], v[10:11]
	scratch_store_dwordx4 off, v[56:59], off offset:160
.LBB77_27:
	s_or_b64 exec, exec, s[4:5]
	scratch_load_dwordx4 v[2:5], v46, off
	v_cmp_lt_u32_e64 s[2:3], 9, v0
	s_waitcnt vmcnt(0)
	ds_write_b128 v9, v[2:5]
	s_waitcnt lgkmcnt(0)
	; wave barrier
	s_waitcnt lgkmcnt(0)
	s_and_saveexec_b64 s[4:5], s[2:3]
	s_cbranch_execz .LBB77_35
; %bb.28:
	ds_read_b128 v[2:5], v9
	s_andn2_b64 vcc, exec, s[6:7]
	s_cbranch_vccnz .LBB77_30
; %bb.29:
	scratch_load_dwordx4 v[10:13], v8, off
	s_waitcnt vmcnt(0) lgkmcnt(0)
	v_mul_f64 v[6:7], v[4:5], v[12:13]
	v_mul_f64 v[12:13], v[2:3], v[12:13]
	v_fmac_f64_e32 v[12:13], v[4:5], v[10:11]
	v_fma_f64 v[2:3], v[2:3], v[10:11], -v[6:7]
	v_mov_b64_e32 v[4:5], v[12:13]
.LBB77_30:
	s_and_saveexec_b64 s[8:9], s[0:1]
	s_cbranch_execz .LBB77_34
; %bb.31:
	v_mov_b32_e32 v7, 0
	v_add_u32_e32 v6, -10, v0
	v_add_u32_e32 v7, 0xa8, v7
	s_movk_i32 s10, 0x180
	s_mov_b64 s[0:1], 0
.LBB77_32:                              ; =>This Inner Loop Header: Depth=1
	v_add_u32_e32 v10, -8, v7
	scratch_load_dwordx4 v[10:13], v10, off
	v_mov_b32_e32 v55, s10
	ds_read_b128 v[56:59], v55
	v_add_u32_e32 v6, -1, v6
	s_add_i32 s10, s10, 16
	v_cmp_eq_u32_e32 vcc, 0, v6
	v_add_u32_e32 v7, 16, v7
	s_or_b64 s[0:1], vcc, s[0:1]
	s_waitcnt vmcnt(0) lgkmcnt(0)
	v_mul_f64 v[60:61], v[58:59], v[12:13]
	v_mul_f64 v[12:13], v[56:57], v[12:13]
	v_fma_f64 v[56:57], v[56:57], v[10:11], -v[60:61]
	v_fmac_f64_e32 v[12:13], v[58:59], v[10:11]
	v_add_f64 v[2:3], v[2:3], v[56:57]
	v_add_f64 v[4:5], v[4:5], v[12:13]
	s_andn2_b64 exec, exec, s[0:1]
	s_cbranch_execnz .LBB77_32
; %bb.33:
	s_or_b64 exec, exec, s[0:1]
.LBB77_34:
	s_or_b64 exec, exec, s[8:9]
	v_mov_b32_e32 v6, 0
	ds_read_b128 v[10:13], v6 offset:144
	s_waitcnt lgkmcnt(0)
	v_mul_f64 v[6:7], v[4:5], v[12:13]
	v_mul_f64 v[58:59], v[2:3], v[12:13]
	v_fma_f64 v[56:57], v[2:3], v[10:11], -v[6:7]
	v_fmac_f64_e32 v[58:59], v[4:5], v[10:11]
	scratch_store_dwordx4 off, v[56:59], off offset:144
.LBB77_35:
	;; [unrolled: 63-line block ×10, first 2 shown]
	s_or_b64 exec, exec, s[2:3]
	scratch_load_dwordx4 v[2:5], off, off
	v_cmp_ne_u32_e32 vcc, 0, v0
	s_mov_b64 s[2:3], 0
	s_mov_b64 s[4:5], 0
                                        ; implicit-def: $vgpr6_vgpr7
                                        ; implicit-def: $vgpr10
	s_waitcnt vmcnt(0)
	ds_write_b128 v9, v[2:5]
	s_waitcnt lgkmcnt(0)
	; wave barrier
	s_waitcnt lgkmcnt(0)
	s_and_saveexec_b64 s[8:9], vcc
	s_cbranch_execz .LBB77_107
; %bb.100:
	ds_read_b128 v[2:5], v9
	s_andn2_b64 vcc, exec, s[6:7]
	s_cbranch_vccnz .LBB77_102
; %bb.101:
	scratch_load_dwordx4 v[10:13], v8, off
	s_waitcnt vmcnt(0) lgkmcnt(0)
	v_mul_f64 v[6:7], v[4:5], v[12:13]
	v_mul_f64 v[12:13], v[2:3], v[12:13]
	v_fmac_f64_e32 v[12:13], v[4:5], v[10:11]
	v_fma_f64 v[2:3], v[2:3], v[10:11], -v[6:7]
	v_mov_b64_e32 v[4:5], v[12:13]
.LBB77_102:
	s_and_saveexec_b64 s[4:5], s[0:1]
	s_cbranch_execz .LBB77_106
; %bb.103:
	v_mov_b32_e32 v7, 0
	v_add_u32_e32 v6, -1, v0
	v_add_u32_e32 v7, 24, v7
	s_movk_i32 s10, 0xf0
	s_mov_b64 s[0:1], 0
.LBB77_104:                             ; =>This Inner Loop Header: Depth=1
	v_add_u32_e32 v10, -8, v7
	scratch_load_dwordx4 v[10:13], v10, off
	v_mov_b32_e32 v55, s10
	ds_read_b128 v[56:59], v55
	v_add_u32_e32 v6, -1, v6
	s_add_i32 s10, s10, 16
	v_cmp_eq_u32_e32 vcc, 0, v6
	v_add_u32_e32 v7, 16, v7
	s_or_b64 s[0:1], vcc, s[0:1]
	s_waitcnt vmcnt(0) lgkmcnt(0)
	v_mul_f64 v[60:61], v[58:59], v[12:13]
	v_mul_f64 v[12:13], v[56:57], v[12:13]
	v_fma_f64 v[56:57], v[56:57], v[10:11], -v[60:61]
	v_fmac_f64_e32 v[12:13], v[58:59], v[10:11]
	v_add_f64 v[2:3], v[2:3], v[56:57]
	v_add_f64 v[4:5], v[4:5], v[12:13]
	s_andn2_b64 exec, exec, s[0:1]
	s_cbranch_execnz .LBB77_104
; %bb.105:
	s_or_b64 exec, exec, s[0:1]
.LBB77_106:
	s_or_b64 exec, exec, s[4:5]
	v_mov_b32_e32 v6, 0
	ds_read_b128 v[56:59], v6
	v_mov_b32_e32 v6, 0
	v_or_b32_e32 v10, 8, v6
	s_mov_b64 s[4:5], exec
	s_waitcnt lgkmcnt(0)
	v_mul_f64 v[12:13], v[4:5], v[58:59]
	v_mul_f64 v[6:7], v[2:3], v[58:59]
	v_fma_f64 v[2:3], v[2:3], v[56:57], -v[12:13]
	v_fmac_f64_e32 v[6:7], v[4:5], v[56:57]
	scratch_store_dwordx2 off, v[2:3], off
.LBB77_107:
	s_or_b64 exec, exec, s[8:9]
	s_and_b64 vcc, exec, s[2:3]
	s_cbranch_vccnz .LBB77_109
	s_branch .LBB77_208
.LBB77_108:
	s_mov_b64 s[4:5], 0
                                        ; implicit-def: $vgpr6_vgpr7
                                        ; implicit-def: $vgpr10
	s_cbranch_execz .LBB77_208
.LBB77_109:
	scratch_load_dwordx4 v[2:5], v51, off
	v_cndmask_b32_e64 v6, 0, 1, s[6:7]
	v_cmp_eq_u32_e64 s[2:3], 0, v0
	v_cmp_ne_u32_e64 s[0:1], 1, v6
	s_waitcnt vmcnt(0)
	ds_write_b128 v9, v[2:5]
	s_waitcnt lgkmcnt(0)
	; wave barrier
	s_waitcnt lgkmcnt(0)
	s_and_saveexec_b64 s[6:7], s[2:3]
	s_cbranch_execz .LBB77_113
; %bb.110:
	ds_read_b128 v[2:5], v9
	s_and_b64 vcc, exec, s[0:1]
	s_cbranch_vccnz .LBB77_112
; %bb.111:
	scratch_load_dwordx4 v[10:13], v8, off
	s_waitcnt vmcnt(0) lgkmcnt(0)
	v_mul_f64 v[6:7], v[4:5], v[12:13]
	v_mul_f64 v[12:13], v[2:3], v[12:13]
	v_fmac_f64_e32 v[12:13], v[4:5], v[10:11]
	v_fma_f64 v[2:3], v[2:3], v[10:11], -v[6:7]
	v_mov_b64_e32 v[4:5], v[12:13]
.LBB77_112:
	v_mov_b32_e32 v6, 0
	ds_read_b128 v[10:13], v6 offset:16
	s_waitcnt lgkmcnt(0)
	v_mul_f64 v[6:7], v[4:5], v[12:13]
	v_mul_f64 v[58:59], v[2:3], v[12:13]
	v_fma_f64 v[56:57], v[2:3], v[10:11], -v[6:7]
	v_fmac_f64_e32 v[58:59], v[4:5], v[10:11]
	scratch_store_dwordx4 off, v[56:59], off offset:16
.LBB77_113:
	s_or_b64 exec, exec, s[6:7]
	scratch_load_dwordx4 v[2:5], v50, off
	v_cmp_gt_u32_e32 vcc, 2, v0
	s_waitcnt vmcnt(0)
	ds_write_b128 v9, v[2:5]
	s_waitcnt lgkmcnt(0)
	; wave barrier
	s_waitcnt lgkmcnt(0)
	s_and_saveexec_b64 s[6:7], vcc
	s_cbranch_execz .LBB77_119
; %bb.114:
	ds_read_b128 v[2:5], v9
	s_and_b64 vcc, exec, s[0:1]
	s_cbranch_vccnz .LBB77_116
; %bb.115:
	scratch_load_dwordx4 v[10:13], v8, off
	s_waitcnt vmcnt(0) lgkmcnt(0)
	v_mul_f64 v[6:7], v[4:5], v[12:13]
	v_mul_f64 v[12:13], v[2:3], v[12:13]
	v_fmac_f64_e32 v[12:13], v[4:5], v[10:11]
	v_fma_f64 v[2:3], v[2:3], v[10:11], -v[6:7]
	v_mov_b64_e32 v[4:5], v[12:13]
.LBB77_116:
	s_and_saveexec_b64 s[8:9], s[2:3]
	s_cbranch_execz .LBB77_118
; %bb.117:
	scratch_load_dwordx4 v[10:13], v8, off offset:16
	ds_read_b128 v[56:59], v9 offset:16
	s_waitcnt vmcnt(0) lgkmcnt(0)
	v_mul_f64 v[6:7], v[58:59], v[12:13]
	v_mul_f64 v[12:13], v[56:57], v[12:13]
	v_fma_f64 v[6:7], v[56:57], v[10:11], -v[6:7]
	v_fmac_f64_e32 v[12:13], v[58:59], v[10:11]
	v_add_f64 v[2:3], v[2:3], v[6:7]
	v_add_f64 v[4:5], v[4:5], v[12:13]
.LBB77_118:
	s_or_b64 exec, exec, s[8:9]
	v_mov_b32_e32 v6, 0
	ds_read_b128 v[10:13], v6 offset:32
	s_waitcnt lgkmcnt(0)
	v_mul_f64 v[6:7], v[4:5], v[12:13]
	v_mul_f64 v[58:59], v[2:3], v[12:13]
	v_fma_f64 v[56:57], v[2:3], v[10:11], -v[6:7]
	v_fmac_f64_e32 v[58:59], v[4:5], v[10:11]
	scratch_store_dwordx4 off, v[56:59], off offset:32
.LBB77_119:
	s_or_b64 exec, exec, s[6:7]
	scratch_load_dwordx4 v[2:5], v52, off
	v_cmp_gt_u32_e32 vcc, 3, v0
	s_waitcnt vmcnt(0)
	ds_write_b128 v9, v[2:5]
	s_waitcnt lgkmcnt(0)
	; wave barrier
	s_waitcnt lgkmcnt(0)
	s_and_saveexec_b64 s[6:7], vcc
	s_cbranch_execz .LBB77_127
; %bb.120:
	ds_read_b128 v[2:5], v9
	s_and_b64 vcc, exec, s[0:1]
	s_cbranch_vccnz .LBB77_122
; %bb.121:
	scratch_load_dwordx4 v[10:13], v8, off
	s_waitcnt vmcnt(0) lgkmcnt(0)
	v_mul_f64 v[6:7], v[4:5], v[12:13]
	v_mul_f64 v[12:13], v[2:3], v[12:13]
	v_fmac_f64_e32 v[12:13], v[4:5], v[10:11]
	v_fma_f64 v[2:3], v[2:3], v[10:11], -v[6:7]
	v_mov_b64_e32 v[4:5], v[12:13]
.LBB77_122:
	v_cmp_ne_u32_e32 vcc, 2, v0
	s_and_saveexec_b64 s[8:9], vcc
	s_cbranch_execz .LBB77_126
; %bb.123:
	scratch_load_dwordx4 v[10:13], v8, off offset:16
	ds_read_b128 v[56:59], v9 offset:16
	s_waitcnt vmcnt(0) lgkmcnt(0)
	v_mul_f64 v[6:7], v[58:59], v[12:13]
	v_mul_f64 v[12:13], v[56:57], v[12:13]
	v_fma_f64 v[6:7], v[56:57], v[10:11], -v[6:7]
	v_fmac_f64_e32 v[12:13], v[58:59], v[10:11]
	v_add_f64 v[2:3], v[2:3], v[6:7]
	v_add_f64 v[4:5], v[4:5], v[12:13]
	s_and_saveexec_b64 s[10:11], s[2:3]
	s_cbranch_execz .LBB77_125
; %bb.124:
	scratch_load_dwordx4 v[10:13], off, off offset:32
	v_mov_b32_e32 v6, 0
	ds_read_b128 v[56:59], v6 offset:256
	s_waitcnt vmcnt(0) lgkmcnt(0)
	v_mul_f64 v[6:7], v[56:57], v[12:13]
	v_mul_f64 v[12:13], v[58:59], v[12:13]
	v_fmac_f64_e32 v[6:7], v[58:59], v[10:11]
	v_fma_f64 v[10:11], v[56:57], v[10:11], -v[12:13]
	v_add_f64 v[4:5], v[4:5], v[6:7]
	v_add_f64 v[2:3], v[2:3], v[10:11]
.LBB77_125:
	s_or_b64 exec, exec, s[10:11]
.LBB77_126:
	s_or_b64 exec, exec, s[8:9]
	v_mov_b32_e32 v6, 0
	ds_read_b128 v[10:13], v6 offset:48
	s_waitcnt lgkmcnt(0)
	v_mul_f64 v[6:7], v[4:5], v[12:13]
	v_mul_f64 v[58:59], v[2:3], v[12:13]
	v_fma_f64 v[56:57], v[2:3], v[10:11], -v[6:7]
	v_fmac_f64_e32 v[58:59], v[4:5], v[10:11]
	scratch_store_dwordx4 off, v[56:59], off offset:48
.LBB77_127:
	s_or_b64 exec, exec, s[6:7]
	scratch_load_dwordx4 v[2:5], v54, off
	v_cmp_gt_u32_e32 vcc, 4, v0
	s_waitcnt vmcnt(0)
	ds_write_b128 v9, v[2:5]
	s_waitcnt lgkmcnt(0)
	; wave barrier
	s_waitcnt lgkmcnt(0)
	s_and_saveexec_b64 s[2:3], vcc
	s_cbranch_execz .LBB77_135
; %bb.128:
	ds_read_b128 v[2:5], v9
	s_and_b64 vcc, exec, s[0:1]
	s_cbranch_vccnz .LBB77_130
; %bb.129:
	scratch_load_dwordx4 v[10:13], v8, off
	s_waitcnt vmcnt(0) lgkmcnt(0)
	v_mul_f64 v[6:7], v[4:5], v[12:13]
	v_mul_f64 v[12:13], v[2:3], v[12:13]
	v_fmac_f64_e32 v[12:13], v[4:5], v[10:11]
	v_fma_f64 v[2:3], v[2:3], v[10:11], -v[6:7]
	v_mov_b64_e32 v[4:5], v[12:13]
.LBB77_130:
	v_cmp_ne_u32_e32 vcc, 3, v0
	s_and_saveexec_b64 s[6:7], vcc
	s_cbranch_execz .LBB77_134
; %bb.131:
	v_mov_b32_e32 v7, 0
	v_add_u32_e32 v6, 0xf0, v42
	v_add3_u32 v7, v42, v7, 24
	s_mov_b64 s[8:9], 0
	v_mov_b32_e32 v10, v0
.LBB77_132:                             ; =>This Inner Loop Header: Depth=1
	v_add_u32_e32 v11, -8, v7
	scratch_load_dwordx4 v[56:59], v11, off
	ds_read_b128 v[60:63], v6
	v_add_u32_e32 v10, 1, v10
	v_cmp_lt_u32_e32 vcc, 2, v10
	v_add_u32_e32 v6, 16, v6
	v_add_u32_e32 v7, 16, v7
	s_or_b64 s[8:9], vcc, s[8:9]
	s_waitcnt vmcnt(0) lgkmcnt(0)
	v_mul_f64 v[12:13], v[62:63], v[58:59]
	v_mul_f64 v[58:59], v[60:61], v[58:59]
	v_fma_f64 v[12:13], v[60:61], v[56:57], -v[12:13]
	v_fmac_f64_e32 v[58:59], v[62:63], v[56:57]
	v_add_f64 v[2:3], v[2:3], v[12:13]
	v_add_f64 v[4:5], v[4:5], v[58:59]
	s_andn2_b64 exec, exec, s[8:9]
	s_cbranch_execnz .LBB77_132
; %bb.133:
	s_or_b64 exec, exec, s[8:9]
.LBB77_134:
	s_or_b64 exec, exec, s[6:7]
	v_mov_b32_e32 v6, 0
	ds_read_b128 v[10:13], v6 offset:64
	s_waitcnt lgkmcnt(0)
	v_mul_f64 v[6:7], v[4:5], v[12:13]
	v_mul_f64 v[58:59], v[2:3], v[12:13]
	v_fma_f64 v[56:57], v[2:3], v[10:11], -v[6:7]
	v_fmac_f64_e32 v[58:59], v[4:5], v[10:11]
	scratch_store_dwordx4 off, v[56:59], off offset:64
.LBB77_135:
	s_or_b64 exec, exec, s[2:3]
	scratch_load_dwordx4 v[2:5], v53, off
	v_cmp_gt_u32_e32 vcc, 5, v0
	s_waitcnt vmcnt(0)
	ds_write_b128 v9, v[2:5]
	s_waitcnt lgkmcnt(0)
	; wave barrier
	s_waitcnt lgkmcnt(0)
	s_and_saveexec_b64 s[2:3], vcc
	s_cbranch_execz .LBB77_143
; %bb.136:
	ds_read_b128 v[2:5], v9
	s_and_b64 vcc, exec, s[0:1]
	s_cbranch_vccnz .LBB77_138
; %bb.137:
	scratch_load_dwordx4 v[10:13], v8, off
	s_waitcnt vmcnt(0) lgkmcnt(0)
	v_mul_f64 v[6:7], v[4:5], v[12:13]
	v_mul_f64 v[12:13], v[2:3], v[12:13]
	v_fmac_f64_e32 v[12:13], v[4:5], v[10:11]
	v_fma_f64 v[2:3], v[2:3], v[10:11], -v[6:7]
	v_mov_b64_e32 v[4:5], v[12:13]
.LBB77_138:
	v_cmp_ne_u32_e32 vcc, 4, v0
	s_and_saveexec_b64 s[6:7], vcc
	s_cbranch_execz .LBB77_142
; %bb.139:
	v_mov_b32_e32 v7, 0
	v_add_u32_e32 v6, 0xf0, v42
	v_add3_u32 v7, v42, v7, 24
	s_mov_b64 s[8:9], 0
	v_mov_b32_e32 v10, v0
.LBB77_140:                             ; =>This Inner Loop Header: Depth=1
	v_add_u32_e32 v11, -8, v7
	scratch_load_dwordx4 v[56:59], v11, off
	ds_read_b128 v[60:63], v6
	v_add_u32_e32 v10, 1, v10
	v_cmp_lt_u32_e32 vcc, 3, v10
	v_add_u32_e32 v6, 16, v6
	v_add_u32_e32 v7, 16, v7
	s_or_b64 s[8:9], vcc, s[8:9]
	s_waitcnt vmcnt(0) lgkmcnt(0)
	v_mul_f64 v[12:13], v[62:63], v[58:59]
	v_mul_f64 v[58:59], v[60:61], v[58:59]
	v_fma_f64 v[12:13], v[60:61], v[56:57], -v[12:13]
	v_fmac_f64_e32 v[58:59], v[62:63], v[56:57]
	v_add_f64 v[2:3], v[2:3], v[12:13]
	v_add_f64 v[4:5], v[4:5], v[58:59]
	s_andn2_b64 exec, exec, s[8:9]
	s_cbranch_execnz .LBB77_140
; %bb.141:
	s_or_b64 exec, exec, s[8:9]
.LBB77_142:
	s_or_b64 exec, exec, s[6:7]
	v_mov_b32_e32 v6, 0
	ds_read_b128 v[10:13], v6 offset:80
	s_waitcnt lgkmcnt(0)
	v_mul_f64 v[6:7], v[4:5], v[12:13]
	v_mul_f64 v[58:59], v[2:3], v[12:13]
	v_fma_f64 v[56:57], v[2:3], v[10:11], -v[6:7]
	v_fmac_f64_e32 v[58:59], v[4:5], v[10:11]
	scratch_store_dwordx4 off, v[56:59], off offset:80
.LBB77_143:
	;; [unrolled: 63-line block ×8, first 2 shown]
	s_or_b64 exec, exec, s[2:3]
	scratch_load_dwordx4 v[2:5], v1, off
	v_cmp_gt_u32_e64 s[2:3], 12, v0
	s_waitcnt vmcnt(0)
	ds_write_b128 v9, v[2:5]
	s_waitcnt lgkmcnt(0)
	; wave barrier
	s_waitcnt lgkmcnt(0)
	s_and_saveexec_b64 s[6:7], s[2:3]
	s_cbranch_execz .LBB77_199
; %bb.192:
	ds_read_b128 v[2:5], v9
	s_and_b64 vcc, exec, s[0:1]
	s_cbranch_vccnz .LBB77_194
; %bb.193:
	scratch_load_dwordx4 v[10:13], v8, off
	s_waitcnt vmcnt(0) lgkmcnt(0)
	v_mul_f64 v[6:7], v[4:5], v[12:13]
	v_mul_f64 v[12:13], v[2:3], v[12:13]
	v_fmac_f64_e32 v[12:13], v[4:5], v[10:11]
	v_fma_f64 v[2:3], v[2:3], v[10:11], -v[6:7]
	v_mov_b64_e32 v[4:5], v[12:13]
.LBB77_194:
	v_cmp_ne_u32_e32 vcc, 11, v0
	s_and_saveexec_b64 s[8:9], vcc
	s_cbranch_execz .LBB77_198
; %bb.195:
	v_mov_b32_e32 v7, 0
	v_add_u32_e32 v6, 0xf0, v42
	v_add3_u32 v7, v42, v7, 24
	s_mov_b64 s[10:11], 0
	v_mov_b32_e32 v10, v0
.LBB77_196:                             ; =>This Inner Loop Header: Depth=1
	v_add_u32_e32 v11, -8, v7
	scratch_load_dwordx4 v[56:59], v11, off
	ds_read_b128 v[60:63], v6
	v_add_u32_e32 v10, 1, v10
	v_cmp_lt_u32_e32 vcc, 10, v10
	v_add_u32_e32 v6, 16, v6
	v_add_u32_e32 v7, 16, v7
	s_or_b64 s[10:11], vcc, s[10:11]
	s_waitcnt vmcnt(0) lgkmcnt(0)
	v_mul_f64 v[12:13], v[62:63], v[58:59]
	v_mul_f64 v[58:59], v[60:61], v[58:59]
	v_fma_f64 v[12:13], v[60:61], v[56:57], -v[12:13]
	v_fmac_f64_e32 v[58:59], v[62:63], v[56:57]
	v_add_f64 v[2:3], v[2:3], v[12:13]
	v_add_f64 v[4:5], v[4:5], v[58:59]
	s_andn2_b64 exec, exec, s[10:11]
	s_cbranch_execnz .LBB77_196
; %bb.197:
	s_or_b64 exec, exec, s[10:11]
.LBB77_198:
	s_or_b64 exec, exec, s[8:9]
	v_mov_b32_e32 v6, 0
	ds_read_b128 v[10:13], v6 offset:192
	s_waitcnt lgkmcnt(0)
	v_mul_f64 v[6:7], v[4:5], v[12:13]
	v_mul_f64 v[58:59], v[2:3], v[12:13]
	v_fma_f64 v[56:57], v[2:3], v[10:11], -v[6:7]
	v_fmac_f64_e32 v[58:59], v[4:5], v[10:11]
	scratch_store_dwordx4 off, v[56:59], off offset:192
.LBB77_199:
	s_or_b64 exec, exec, s[6:7]
	scratch_load_dwordx4 v[2:5], v43, off
	v_cmp_ne_u32_e32 vcc, 13, v0
                                        ; implicit-def: $vgpr6_vgpr7
                                        ; implicit-def: $vgpr10
	s_waitcnt vmcnt(0)
	ds_write_b128 v9, v[2:5]
	s_waitcnt lgkmcnt(0)
	; wave barrier
	s_waitcnt lgkmcnt(0)
	s_and_saveexec_b64 s[6:7], vcc
	s_cbranch_execz .LBB77_207
; %bb.200:
	ds_read_b128 v[2:5], v9
	s_and_b64 vcc, exec, s[0:1]
	s_cbranch_vccnz .LBB77_202
; %bb.201:
	scratch_load_dwordx4 v[6:9], v8, off
	s_waitcnt vmcnt(0) lgkmcnt(0)
	v_mul_f64 v[10:11], v[4:5], v[8:9]
	v_mul_f64 v[8:9], v[2:3], v[8:9]
	v_fmac_f64_e32 v[8:9], v[4:5], v[6:7]
	v_fma_f64 v[2:3], v[2:3], v[6:7], -v[10:11]
	v_mov_b64_e32 v[4:5], v[8:9]
.LBB77_202:
	s_and_saveexec_b64 s[0:1], s[2:3]
	s_cbranch_execz .LBB77_206
; %bb.203:
	v_mov_b32_e32 v7, 0
	v_add_u32_e32 v6, 0xf0, v42
	v_add3_u32 v7, v42, v7, 24
	s_mov_b64 s[2:3], 0
.LBB77_204:                             ; =>This Inner Loop Header: Depth=1
	v_add_u32_e32 v8, -8, v7
	scratch_load_dwordx4 v[8:11], v8, off
	ds_read_b128 v[56:59], v6
	v_add_u32_e32 v0, 1, v0
	v_cmp_lt_u32_e32 vcc, 11, v0
	v_add_u32_e32 v6, 16, v6
	v_add_u32_e32 v7, 16, v7
	s_or_b64 s[2:3], vcc, s[2:3]
	s_waitcnt vmcnt(0) lgkmcnt(0)
	v_mul_f64 v[12:13], v[58:59], v[10:11]
	v_mul_f64 v[10:11], v[56:57], v[10:11]
	v_fma_f64 v[12:13], v[56:57], v[8:9], -v[12:13]
	v_fmac_f64_e32 v[10:11], v[58:59], v[8:9]
	v_add_f64 v[2:3], v[2:3], v[12:13]
	v_add_f64 v[4:5], v[4:5], v[10:11]
	s_andn2_b64 exec, exec, s[2:3]
	s_cbranch_execnz .LBB77_204
; %bb.205:
	s_or_b64 exec, exec, s[2:3]
.LBB77_206:
	s_or_b64 exec, exec, s[0:1]
	v_mov_b32_e32 v0, 0
	ds_read_b128 v[56:59], v0 offset:208
	v_mov_b32_e32 v0, 0
	v_add_u32_e32 v10, 0xd8, v0
	s_or_b64 s[4:5], s[4:5], exec
	s_waitcnt lgkmcnt(0)
	v_mul_f64 v[8:9], v[4:5], v[58:59]
	v_mul_f64 v[6:7], v[2:3], v[58:59]
	v_fma_f64 v[2:3], v[2:3], v[56:57], -v[8:9]
	v_fmac_f64_e32 v[6:7], v[4:5], v[56:57]
	scratch_store_dwordx2 off, v[2:3], off offset:208
.LBB77_207:
	s_or_b64 exec, exec, s[6:7]
.LBB77_208:
	s_and_saveexec_b64 s[0:1], s[4:5]
	s_cbranch_execz .LBB77_210
; %bb.209:
	scratch_store_dwordx2 v10, v[6:7], off
.LBB77_210:
	s_or_b64 exec, exec, s[0:1]
	scratch_load_dwordx4 v[2:5], off, off
	scratch_load_dwordx4 v[6:9], v51, off
	scratch_load_dwordx4 v[10:13], v50, off
	;; [unrolled: 1-line block ×5, first 2 shown]
	s_waitcnt vmcnt(5)
	global_store_dwordx4 v[20:21], v[2:5], off
	scratch_load_dwordx4 v[2:5], v49, off
	s_nop 0
	scratch_load_dwordx4 v[50:53], v48, off
	s_waitcnt vmcnt(7)
	global_store_dwordx4 v[14:15], v[6:9], off
	scratch_load_dwordx4 v[6:9], v47, off
	s_nop 0
	scratch_load_dwordx4 v[68:71], v46, off
	;; [unrolled: 5-line block ×4, first 2 shown]
	s_waitcnt vmcnt(13)
	global_store_dwordx4 v[22:23], v[60:63], off
	s_waitcnt vmcnt(13)
	global_store_dwordx4 v[24:25], v[64:67], off
	;; [unrolled: 2-line block ×10, first 2 shown]
.LBB77_211:
	s_endpgm
	.section	.rodata,"a",@progbits
	.p2align	6, 0x0
	.amdhsa_kernel _ZN9rocsolver6v33100L18trti2_kernel_smallILi14E19rocblas_complex_numIdEPKPS3_EEv13rocblas_fill_17rocblas_diagonal_T1_iil
		.amdhsa_group_segment_fixed_size 448
		.amdhsa_private_segment_fixed_size 240
		.amdhsa_kernarg_size 32
		.amdhsa_user_sgpr_count 2
		.amdhsa_user_sgpr_dispatch_ptr 0
		.amdhsa_user_sgpr_queue_ptr 0
		.amdhsa_user_sgpr_kernarg_segment_ptr 1
		.amdhsa_user_sgpr_dispatch_id 0
		.amdhsa_user_sgpr_kernarg_preload_length 0
		.amdhsa_user_sgpr_kernarg_preload_offset 0
		.amdhsa_user_sgpr_private_segment_size 0
		.amdhsa_uses_dynamic_stack 0
		.amdhsa_enable_private_segment 1
		.amdhsa_system_sgpr_workgroup_id_x 1
		.amdhsa_system_sgpr_workgroup_id_y 0
		.amdhsa_system_sgpr_workgroup_id_z 0
		.amdhsa_system_sgpr_workgroup_info 0
		.amdhsa_system_vgpr_workitem_id 0
		.amdhsa_next_free_vgpr 72
		.amdhsa_next_free_sgpr 12
		.amdhsa_accum_offset 72
		.amdhsa_reserve_vcc 1
		.amdhsa_float_round_mode_32 0
		.amdhsa_float_round_mode_16_64 0
		.amdhsa_float_denorm_mode_32 3
		.amdhsa_float_denorm_mode_16_64 3
		.amdhsa_dx10_clamp 1
		.amdhsa_ieee_mode 1
		.amdhsa_fp16_overflow 0
		.amdhsa_tg_split 0
		.amdhsa_exception_fp_ieee_invalid_op 0
		.amdhsa_exception_fp_denorm_src 0
		.amdhsa_exception_fp_ieee_div_zero 0
		.amdhsa_exception_fp_ieee_overflow 0
		.amdhsa_exception_fp_ieee_underflow 0
		.amdhsa_exception_fp_ieee_inexact 0
		.amdhsa_exception_int_div_zero 0
	.end_amdhsa_kernel
	.section	.text._ZN9rocsolver6v33100L18trti2_kernel_smallILi14E19rocblas_complex_numIdEPKPS3_EEv13rocblas_fill_17rocblas_diagonal_T1_iil,"axG",@progbits,_ZN9rocsolver6v33100L18trti2_kernel_smallILi14E19rocblas_complex_numIdEPKPS3_EEv13rocblas_fill_17rocblas_diagonal_T1_iil,comdat
.Lfunc_end77:
	.size	_ZN9rocsolver6v33100L18trti2_kernel_smallILi14E19rocblas_complex_numIdEPKPS3_EEv13rocblas_fill_17rocblas_diagonal_T1_iil, .Lfunc_end77-_ZN9rocsolver6v33100L18trti2_kernel_smallILi14E19rocblas_complex_numIdEPKPS3_EEv13rocblas_fill_17rocblas_diagonal_T1_iil
                                        ; -- End function
	.section	.AMDGPU.csdata,"",@progbits
; Kernel info:
; codeLenInByte = 9020
; NumSgprs: 18
; NumVgprs: 72
; NumAgprs: 0
; TotalNumVgprs: 72
; ScratchSize: 240
; MemoryBound: 0
; FloatMode: 240
; IeeeMode: 1
; LDSByteSize: 448 bytes/workgroup (compile time only)
; SGPRBlocks: 2
; VGPRBlocks: 8
; NumSGPRsForWavesPerEU: 18
; NumVGPRsForWavesPerEU: 72
; AccumOffset: 72
; Occupancy: 7
; WaveLimiterHint : 1
; COMPUTE_PGM_RSRC2:SCRATCH_EN: 1
; COMPUTE_PGM_RSRC2:USER_SGPR: 2
; COMPUTE_PGM_RSRC2:TRAP_HANDLER: 0
; COMPUTE_PGM_RSRC2:TGID_X_EN: 1
; COMPUTE_PGM_RSRC2:TGID_Y_EN: 0
; COMPUTE_PGM_RSRC2:TGID_Z_EN: 0
; COMPUTE_PGM_RSRC2:TIDIG_COMP_CNT: 0
; COMPUTE_PGM_RSRC3_GFX90A:ACCUM_OFFSET: 17
; COMPUTE_PGM_RSRC3_GFX90A:TG_SPLIT: 0
	.section	.text._ZN9rocsolver6v33100L18trti2_kernel_smallILi15E19rocblas_complex_numIdEPKPS3_EEv13rocblas_fill_17rocblas_diagonal_T1_iil,"axG",@progbits,_ZN9rocsolver6v33100L18trti2_kernel_smallILi15E19rocblas_complex_numIdEPKPS3_EEv13rocblas_fill_17rocblas_diagonal_T1_iil,comdat
	.globl	_ZN9rocsolver6v33100L18trti2_kernel_smallILi15E19rocblas_complex_numIdEPKPS3_EEv13rocblas_fill_17rocblas_diagonal_T1_iil ; -- Begin function _ZN9rocsolver6v33100L18trti2_kernel_smallILi15E19rocblas_complex_numIdEPKPS3_EEv13rocblas_fill_17rocblas_diagonal_T1_iil
	.p2align	8
	.type	_ZN9rocsolver6v33100L18trti2_kernel_smallILi15E19rocblas_complex_numIdEPKPS3_EEv13rocblas_fill_17rocblas_diagonal_T1_iil,@function
_ZN9rocsolver6v33100L18trti2_kernel_smallILi15E19rocblas_complex_numIdEPKPS3_EEv13rocblas_fill_17rocblas_diagonal_T1_iil: ; @_ZN9rocsolver6v33100L18trti2_kernel_smallILi15E19rocblas_complex_numIdEPKPS3_EEv13rocblas_fill_17rocblas_diagonal_T1_iil
; %bb.0:
	v_cmp_gt_u32_e32 vcc, 15, v0
	s_and_saveexec_b64 s[4:5], vcc
	s_cbranch_execz .LBB78_227
; %bb.1:
	s_load_dwordx2 s[8:9], s[0:1], 0x10
	s_load_dwordx4 s[4:7], s[0:1], 0x0
	s_ashr_i32 s3, s2, 31
	s_lshl_b64 s[0:1], s[2:3], 3
	v_lshlrev_b32_e32 v44, 4, v0
	s_waitcnt lgkmcnt(0)
	s_ashr_i32 s3, s8, 31
	s_add_u32 s0, s6, s0
	s_addc_u32 s1, s7, s1
	s_load_dwordx2 s[0:1], s[0:1], 0x0
	s_mov_b32 s2, s8
	s_lshl_b64 s[2:3], s[2:3], 4
	v_mov_b32_e32 v45, 0
	v_mov_b32_e32 v1, 0
	s_waitcnt lgkmcnt(0)
	s_add_u32 s0, s0, s2
	s_addc_u32 s1, s1, s3
	v_lshl_add_u64 v[16:17], s[0:1], 0, v[44:45]
	s_ashr_i32 s3, s9, 31
	s_mov_b32 s2, s9
	v_lshl_add_u64 v[14:15], s[2:3], 4, v[16:17]
	s_add_i32 s2, s9, s9
	v_add_u32_e32 v20, s2, v0
	v_add_u32_e32 v22, s9, v20
	v_add_u32_e32 v24, s9, v22
	v_add_u32_e32 v26, s9, v24
	v_ashrrev_i32_e32 v21, 31, v20
	v_ashrrev_i32_e32 v23, 31, v22
	v_add_u32_e32 v28, s9, v26
	global_load_dwordx4 v[2:5], v44, s[0:1]
	global_load_dwordx4 v[6:9], v[14:15], off
	v_lshl_add_u64 v[18:19], v[20:21], 4, s[0:1]
	v_lshl_add_u64 v[20:21], v[22:23], 4, s[0:1]
	v_ashrrev_i32_e32 v25, 31, v24
	v_ashrrev_i32_e32 v27, 31, v26
	;; [unrolled: 1-line block ×3, first 2 shown]
	global_load_dwordx4 v[10:13], v[18:19], off
	v_lshl_add_u64 v[22:23], v[24:25], 4, s[0:1]
	global_load_dwordx4 v[40:43], v[20:21], off
	global_load_dwordx4 v[46:49], v[22:23], off
	v_lshl_add_u64 v[24:25], v[26:27], 4, s[0:1]
	v_lshl_add_u64 v[26:27], v[28:29], 4, s[0:1]
	global_load_dwordx4 v[50:53], v[24:25], off
	global_load_dwordx4 v[54:57], v[26:27], off
	v_add_u32_e32 v28, s9, v28
	v_add_u32_e32 v30, s9, v28
	;; [unrolled: 1-line block ×6, first 2 shown]
	v_ashrrev_i32_e32 v29, 31, v28
	v_add_u32_e32 v66, s9, v38
	v_lshl_add_u64 v[28:29], v[28:29], 4, s[0:1]
	v_ashrrev_i32_e32 v31, 31, v30
	v_ashrrev_i32_e32 v33, 31, v32
	v_add_u32_e32 v68, s9, v66
	v_lshl_add_u64 v[30:31], v[30:31], 4, s[0:1]
	global_load_dwordx4 v[58:61], v[28:29], off
	global_load_dwordx4 v[62:65], v[30:31], off
	v_lshl_add_u64 v[32:33], v[32:33], 4, s[0:1]
	v_ashrrev_i32_e32 v35, 31, v34
	v_ashrrev_i32_e32 v37, 31, v36
	;; [unrolled: 1-line block ×4, first 2 shown]
	v_lshl_add_u64 v[34:35], v[34:35], 4, s[0:1]
	v_lshl_add_u64 v[36:37], v[36:37], 4, s[0:1]
	v_ashrrev_i32_e32 v39, 31, v38
	v_lshl_add_u64 v[38:39], v[38:39], 4, s[0:1]
	s_cmpk_lg_i32 s5, 0x84
	s_cselect_b64 s[6:7], -1, 0
	s_cmpk_eq_i32 s5, 0x84
	s_waitcnt vmcnt(8)
	scratch_store_dwordx4 off, v[2:5], off
	s_waitcnt vmcnt(8)
	scratch_store_dwordx4 off, v[6:9], off offset:16
	global_load_dwordx4 v[2:5], v[32:33], off
	s_nop 0
	global_load_dwordx4 v[6:9], v[34:35], off
	s_waitcnt vmcnt(10)
	scratch_store_dwordx4 off, v[10:13], off offset:32
	s_waitcnt vmcnt(10)
	scratch_store_dwordx4 off, v[40:43], off offset:48
	;; [unrolled: 2-line block ×3, first 2 shown]
	v_lshl_add_u64 v[40:41], v[66:67], 4, s[0:1]
	v_lshl_add_u64 v[42:43], v[68:69], 4, s[0:1]
	global_load_dwordx4 v[10:13], v[36:37], off
	global_load_dwordx4 v[46:49], v[38:39], off
	s_waitcnt vmcnt(12)
	scratch_store_dwordx4 off, v[50:53], off offset:80
	global_load_dwordx4 v[50:53], v[40:41], off
	s_waitcnt vmcnt(13)
	scratch_store_dwordx4 off, v[54:57], off offset:96
	;; [unrolled: 3-line block ×3, first 2 shown]
	s_waitcnt vmcnt(14)
	scratch_store_dwordx4 off, v[62:65], off offset:128
	s_waitcnt vmcnt(12)
	scratch_store_dwordx4 off, v[2:5], off offset:144
	;; [unrolled: 2-line block ×7, first 2 shown]
	s_cbranch_scc1 .LBB78_7
; %bb.2:
	scratch_load_dwordx4 v[2:5], v44, off
                                        ; implicit-def: $vgpr10_vgpr11
	s_waitcnt vmcnt(0)
	v_xor_b32_e32 v7, 0x80000000, v3
	v_cmp_gt_f64_e32 vcc, 0, v[2:3]
	v_xor_b32_e32 v8, 0x80000000, v5
	v_mov_b32_e32 v6, v2
	v_cndmask_b32_e32 v7, v3, v7, vcc
	v_cmp_gt_f64_e32 vcc, 0, v[4:5]
	s_nop 1
	v_cndmask_b32_e32 v9, v5, v8, vcc
	v_mov_b32_e32 v8, v4
	v_cmp_ngt_f64_e32 vcc, v[6:7], v[8:9]
                                        ; implicit-def: $vgpr6_vgpr7
	s_and_saveexec_b64 s[0:1], vcc
	s_xor_b64 s[0:1], exec, s[0:1]
	s_cbranch_execz .LBB78_4
; %bb.3:
	v_div_scale_f64 v[6:7], s[2:3], v[4:5], v[4:5], v[2:3]
	v_rcp_f64_e32 v[8:9], v[6:7]
	v_div_scale_f64 v[10:11], vcc, v[2:3], v[4:5], v[2:3]
	v_fma_f64 v[12:13], -v[6:7], v[8:9], 1.0
	v_fmac_f64_e32 v[8:9], v[8:9], v[12:13]
	v_fma_f64 v[12:13], -v[6:7], v[8:9], 1.0
	v_fmac_f64_e32 v[8:9], v[8:9], v[12:13]
	v_mul_f64 v[12:13], v[10:11], v[8:9]
	v_fma_f64 v[6:7], -v[6:7], v[12:13], v[10:11]
	v_div_fmas_f64 v[6:7], v[6:7], v[8:9], v[12:13]
	v_div_fixup_f64 v[6:7], v[6:7], v[4:5], v[2:3]
	v_fmac_f64_e32 v[4:5], v[2:3], v[6:7]
	v_div_scale_f64 v[2:3], s[2:3], v[4:5], v[4:5], 1.0
	v_rcp_f64_e32 v[8:9], v[2:3]
	s_nop 0
	v_fma_f64 v[10:11], -v[2:3], v[8:9], 1.0
	v_fmac_f64_e32 v[8:9], v[8:9], v[10:11]
	v_fma_f64 v[10:11], -v[2:3], v[8:9], 1.0
	v_fmac_f64_e32 v[8:9], v[8:9], v[10:11]
	v_div_scale_f64 v[10:11], vcc, 1.0, v[4:5], 1.0
	v_mul_f64 v[12:13], v[10:11], v[8:9]
	v_fma_f64 v[2:3], -v[2:3], v[12:13], v[10:11]
	s_nop 1
	v_div_fmas_f64 v[2:3], v[2:3], v[8:9], v[12:13]
	v_div_fixup_f64 v[8:9], v[2:3], v[4:5], 1.0
	v_mul_f64 v[6:7], v[6:7], v[8:9]
	v_xor_b32_e32 v9, 0x80000000, v9
	v_xor_b32_e32 v11, 0x80000000, v7
	v_mov_b32_e32 v10, v6
                                        ; implicit-def: $vgpr2_vgpr3
.LBB78_4:
	s_or_saveexec_b64 s[0:1], s[0:1]
	v_add_u32_e32 v12, 0, v44
	s_xor_b64 exec, exec, s[0:1]
	s_cbranch_execz .LBB78_6
; %bb.5:
	v_div_scale_f64 v[6:7], s[2:3], v[2:3], v[2:3], v[4:5]
	v_rcp_f64_e32 v[8:9], v[6:7]
	v_div_scale_f64 v[10:11], vcc, v[4:5], v[2:3], v[4:5]
	v_fma_f64 v[46:47], -v[6:7], v[8:9], 1.0
	v_fmac_f64_e32 v[8:9], v[8:9], v[46:47]
	v_fma_f64 v[46:47], -v[6:7], v[8:9], 1.0
	v_fmac_f64_e32 v[8:9], v[8:9], v[46:47]
	v_mul_f64 v[46:47], v[10:11], v[8:9]
	v_fma_f64 v[6:7], -v[6:7], v[46:47], v[10:11]
	v_div_fmas_f64 v[6:7], v[6:7], v[8:9], v[46:47]
	v_div_fixup_f64 v[8:9], v[6:7], v[2:3], v[4:5]
	v_fmac_f64_e32 v[2:3], v[4:5], v[8:9]
	v_div_scale_f64 v[4:5], s[2:3], v[2:3], v[2:3], 1.0
	v_rcp_f64_e32 v[6:7], v[4:5]
	s_nop 0
	v_fma_f64 v[10:11], -v[4:5], v[6:7], 1.0
	v_fmac_f64_e32 v[6:7], v[6:7], v[10:11]
	v_fma_f64 v[10:11], -v[4:5], v[6:7], 1.0
	v_fmac_f64_e32 v[6:7], v[6:7], v[10:11]
	v_div_scale_f64 v[10:11], vcc, 1.0, v[2:3], 1.0
	v_mul_f64 v[46:47], v[10:11], v[6:7]
	v_fma_f64 v[4:5], -v[4:5], v[46:47], v[10:11]
	s_nop 1
	v_div_fmas_f64 v[4:5], v[4:5], v[6:7], v[46:47]
	v_div_fixup_f64 v[6:7], v[4:5], v[2:3], 1.0
	v_xor_b32_e32 v11, 0x80000000, v7
	v_mov_b32_e32 v10, v6
	v_mul_f64 v[8:9], v[8:9], -v[6:7]
.LBB78_6:
	s_or_b64 exec, exec, s[0:1]
	scratch_store_dwordx4 v12, v[6:9], off
	s_nop 1
	v_xor_b32_e32 v9, 0x80000000, v9
	s_branch .LBB78_8
.LBB78_7:
	v_mov_b64_e32 v[8:9], 0
	v_mov_b64_e32 v[10:11], -1.0
.LBB78_8:
	v_add_u32_e32 v55, 16, v1
	v_add_u32_e32 v52, 32, v1
	;; [unrolled: 1-line block ×14, first 2 shown]
	v_mov_b32_e32 v12, v8
	v_mov_b32_e32 v13, v9
	s_cmpk_eq_i32 s4, 0x79
	v_add_u32_e32 v9, 0xf0, v44
	v_add_u32_e32 v8, 0, v44
	ds_write_b128 v44, v[10:13]
	s_cbranch_scc1 .LBB78_116
; %bb.9:
	scratch_load_dwordx4 v[2:5], v45, off
	v_cmp_eq_u32_e64 s[0:1], 14, v0
	s_waitcnt vmcnt(0)
	ds_write_b128 v9, v[2:5]
	s_waitcnt lgkmcnt(0)
	; wave barrier
	s_waitcnt lgkmcnt(0)
	s_and_saveexec_b64 s[2:3], s[0:1]
	s_cbranch_execz .LBB78_13
; %bb.10:
	ds_read_b128 v[2:5], v9
	s_andn2_b64 vcc, exec, s[6:7]
	s_cbranch_vccnz .LBB78_12
; %bb.11:
	scratch_load_dwordx4 v[10:13], v8, off
	s_waitcnt vmcnt(0) lgkmcnt(0)
	v_mul_f64 v[6:7], v[4:5], v[12:13]
	v_mul_f64 v[12:13], v[2:3], v[12:13]
	v_fmac_f64_e32 v[12:13], v[4:5], v[10:11]
	v_fma_f64 v[2:3], v[2:3], v[10:11], -v[6:7]
	v_mov_b64_e32 v[4:5], v[12:13]
.LBB78_12:
	v_mov_b32_e32 v6, 0
	ds_read_b128 v[10:13], v6 offset:208
	s_waitcnt lgkmcnt(0)
	v_mul_f64 v[6:7], v[4:5], v[12:13]
	v_mul_f64 v[60:61], v[2:3], v[12:13]
	v_fma_f64 v[58:59], v[2:3], v[10:11], -v[6:7]
	v_fmac_f64_e32 v[60:61], v[4:5], v[10:11]
	scratch_store_dwordx4 off, v[58:61], off offset:208
.LBB78_13:
	s_or_b64 exec, exec, s[2:3]
	scratch_load_dwordx4 v[2:5], v47, off
	v_cmp_lt_u32_e64 s[2:3], 12, v0
	s_waitcnt vmcnt(0)
	ds_write_b128 v9, v[2:5]
	s_waitcnt lgkmcnt(0)
	; wave barrier
	s_waitcnt lgkmcnt(0)
	s_and_saveexec_b64 s[4:5], s[2:3]
	s_cbranch_execz .LBB78_19
; %bb.14:
	ds_read_b128 v[2:5], v9
	s_andn2_b64 vcc, exec, s[6:7]
	s_cbranch_vccnz .LBB78_16
; %bb.15:
	scratch_load_dwordx4 v[10:13], v8, off
	s_waitcnt vmcnt(0) lgkmcnt(0)
	v_mul_f64 v[6:7], v[4:5], v[12:13]
	v_mul_f64 v[12:13], v[2:3], v[12:13]
	v_fmac_f64_e32 v[12:13], v[4:5], v[10:11]
	v_fma_f64 v[2:3], v[2:3], v[10:11], -v[6:7]
	v_mov_b64_e32 v[4:5], v[12:13]
.LBB78_16:
	s_and_saveexec_b64 s[8:9], s[0:1]
	s_cbranch_execz .LBB78_18
; %bb.17:
	scratch_load_dwordx4 v[10:13], off, off offset:208
	v_mov_b32_e32 v6, 0
	ds_read_b128 v[58:61], v6 offset:448
	s_waitcnt vmcnt(0) lgkmcnt(0)
	v_mul_f64 v[6:7], v[58:59], v[12:13]
	v_mul_f64 v[12:13], v[60:61], v[12:13]
	v_fmac_f64_e32 v[6:7], v[60:61], v[10:11]
	v_fma_f64 v[10:11], v[58:59], v[10:11], -v[12:13]
	v_add_f64 v[4:5], v[4:5], v[6:7]
	v_add_f64 v[2:3], v[2:3], v[10:11]
.LBB78_18:
	s_or_b64 exec, exec, s[8:9]
	v_mov_b32_e32 v6, 0
	ds_read_b128 v[10:13], v6 offset:192
	s_waitcnt lgkmcnt(0)
	v_mul_f64 v[6:7], v[4:5], v[12:13]
	v_mul_f64 v[60:61], v[2:3], v[12:13]
	v_fma_f64 v[58:59], v[2:3], v[10:11], -v[6:7]
	v_fmac_f64_e32 v[60:61], v[4:5], v[10:11]
	scratch_store_dwordx4 off, v[58:61], off offset:192
.LBB78_19:
	s_or_b64 exec, exec, s[4:5]
	scratch_load_dwordx4 v[2:5], v46, off
	v_cmp_lt_u32_e64 s[0:1], 11, v0
	s_waitcnt vmcnt(0)
	ds_write_b128 v9, v[2:5]
	s_waitcnt lgkmcnt(0)
	; wave barrier
	s_waitcnt lgkmcnt(0)
	s_and_saveexec_b64 s[4:5], s[0:1]
	s_cbranch_execz .LBB78_27
; %bb.20:
	ds_read_b128 v[2:5], v9
	s_andn2_b64 vcc, exec, s[6:7]
	s_cbranch_vccnz .LBB78_22
; %bb.21:
	scratch_load_dwordx4 v[10:13], v8, off
	s_waitcnt vmcnt(0) lgkmcnt(0)
	v_mul_f64 v[6:7], v[4:5], v[12:13]
	v_mul_f64 v[12:13], v[2:3], v[12:13]
	v_fmac_f64_e32 v[12:13], v[4:5], v[10:11]
	v_fma_f64 v[2:3], v[2:3], v[10:11], -v[6:7]
	v_mov_b64_e32 v[4:5], v[12:13]
.LBB78_22:
	s_and_saveexec_b64 s[8:9], s[2:3]
	s_cbranch_execz .LBB78_26
; %bb.23:
	v_mov_b32_e32 v7, 0
	v_add_u32_e32 v6, -12, v0
	v_add_u32_e32 v7, 0xc8, v7
	s_movk_i32 s10, 0x1b0
	s_mov_b64 s[2:3], 0
.LBB78_24:                              ; =>This Inner Loop Header: Depth=1
	v_add_u32_e32 v10, -8, v7
	scratch_load_dwordx4 v[10:13], v10, off
	v_mov_b32_e32 v58, s10
	ds_read_b128 v[58:61], v58
	v_add_u32_e32 v6, -1, v6
	s_add_i32 s10, s10, 16
	v_cmp_eq_u32_e32 vcc, 0, v6
	v_add_u32_e32 v7, 16, v7
	s_or_b64 s[2:3], vcc, s[2:3]
	s_waitcnt vmcnt(0) lgkmcnt(0)
	v_mul_f64 v[62:63], v[60:61], v[12:13]
	v_mul_f64 v[12:13], v[58:59], v[12:13]
	v_fma_f64 v[58:59], v[58:59], v[10:11], -v[62:63]
	v_fmac_f64_e32 v[12:13], v[60:61], v[10:11]
	v_add_f64 v[2:3], v[2:3], v[58:59]
	v_add_f64 v[4:5], v[4:5], v[12:13]
	s_andn2_b64 exec, exec, s[2:3]
	s_cbranch_execnz .LBB78_24
; %bb.25:
	s_or_b64 exec, exec, s[2:3]
.LBB78_26:
	s_or_b64 exec, exec, s[8:9]
	v_mov_b32_e32 v6, 0
	ds_read_b128 v[10:13], v6 offset:176
	s_waitcnt lgkmcnt(0)
	v_mul_f64 v[6:7], v[4:5], v[12:13]
	v_mul_f64 v[60:61], v[2:3], v[12:13]
	v_fma_f64 v[58:59], v[2:3], v[10:11], -v[6:7]
	v_fmac_f64_e32 v[60:61], v[4:5], v[10:11]
	scratch_store_dwordx4 off, v[58:61], off offset:176
.LBB78_27:
	s_or_b64 exec, exec, s[4:5]
	scratch_load_dwordx4 v[2:5], v49, off
	v_cmp_lt_u32_e64 s[2:3], 10, v0
	s_waitcnt vmcnt(0)
	ds_write_b128 v9, v[2:5]
	s_waitcnt lgkmcnt(0)
	; wave barrier
	s_waitcnt lgkmcnt(0)
	s_and_saveexec_b64 s[4:5], s[2:3]
	s_cbranch_execz .LBB78_35
; %bb.28:
	ds_read_b128 v[2:5], v9
	s_andn2_b64 vcc, exec, s[6:7]
	s_cbranch_vccnz .LBB78_30
; %bb.29:
	scratch_load_dwordx4 v[10:13], v8, off
	s_waitcnt vmcnt(0) lgkmcnt(0)
	v_mul_f64 v[6:7], v[4:5], v[12:13]
	v_mul_f64 v[12:13], v[2:3], v[12:13]
	v_fmac_f64_e32 v[12:13], v[4:5], v[10:11]
	v_fma_f64 v[2:3], v[2:3], v[10:11], -v[6:7]
	v_mov_b64_e32 v[4:5], v[12:13]
.LBB78_30:
	s_and_saveexec_b64 s[8:9], s[0:1]
	s_cbranch_execz .LBB78_34
; %bb.31:
	v_mov_b32_e32 v7, 0
	v_add_u32_e32 v6, -11, v0
	v_add_u32_e32 v7, 0xb8, v7
	s_movk_i32 s10, 0x1a0
	s_mov_b64 s[0:1], 0
.LBB78_32:                              ; =>This Inner Loop Header: Depth=1
	v_add_u32_e32 v10, -8, v7
	scratch_load_dwordx4 v[10:13], v10, off
	v_mov_b32_e32 v58, s10
	ds_read_b128 v[58:61], v58
	v_add_u32_e32 v6, -1, v6
	s_add_i32 s10, s10, 16
	v_cmp_eq_u32_e32 vcc, 0, v6
	v_add_u32_e32 v7, 16, v7
	s_or_b64 s[0:1], vcc, s[0:1]
	s_waitcnt vmcnt(0) lgkmcnt(0)
	v_mul_f64 v[62:63], v[60:61], v[12:13]
	v_mul_f64 v[12:13], v[58:59], v[12:13]
	v_fma_f64 v[58:59], v[58:59], v[10:11], -v[62:63]
	v_fmac_f64_e32 v[12:13], v[60:61], v[10:11]
	v_add_f64 v[2:3], v[2:3], v[58:59]
	v_add_f64 v[4:5], v[4:5], v[12:13]
	s_andn2_b64 exec, exec, s[0:1]
	s_cbranch_execnz .LBB78_32
; %bb.33:
	s_or_b64 exec, exec, s[0:1]
.LBB78_34:
	s_or_b64 exec, exec, s[8:9]
	v_mov_b32_e32 v6, 0
	ds_read_b128 v[10:13], v6 offset:160
	s_waitcnt lgkmcnt(0)
	v_mul_f64 v[6:7], v[4:5], v[12:13]
	v_mul_f64 v[60:61], v[2:3], v[12:13]
	v_fma_f64 v[58:59], v[2:3], v[10:11], -v[6:7]
	v_fmac_f64_e32 v[60:61], v[4:5], v[10:11]
	scratch_store_dwordx4 off, v[58:61], off offset:160
.LBB78_35:
	;; [unrolled: 63-line block ×10, first 2 shown]
	s_or_b64 exec, exec, s[4:5]
	scratch_load_dwordx4 v[2:5], v55, off
	v_cmp_lt_u32_e64 s[0:1], 1, v0
	s_waitcnt vmcnt(0)
	ds_write_b128 v9, v[2:5]
	s_waitcnt lgkmcnt(0)
	; wave barrier
	s_waitcnt lgkmcnt(0)
	s_and_saveexec_b64 s[4:5], s[0:1]
	s_cbranch_execz .LBB78_107
; %bb.100:
	ds_read_b128 v[2:5], v9
	s_andn2_b64 vcc, exec, s[6:7]
	s_cbranch_vccnz .LBB78_102
; %bb.101:
	scratch_load_dwordx4 v[10:13], v8, off
	s_waitcnt vmcnt(0) lgkmcnt(0)
	v_mul_f64 v[6:7], v[4:5], v[12:13]
	v_mul_f64 v[12:13], v[2:3], v[12:13]
	v_fmac_f64_e32 v[12:13], v[4:5], v[10:11]
	v_fma_f64 v[2:3], v[2:3], v[10:11], -v[6:7]
	v_mov_b64_e32 v[4:5], v[12:13]
.LBB78_102:
	s_and_saveexec_b64 s[8:9], s[2:3]
	s_cbranch_execz .LBB78_106
; %bb.103:
	v_mov_b32_e32 v7, 0
	v_add_u32_e32 v6, -2, v0
	v_add_u32_e32 v7, 40, v7
	s_movk_i32 s10, 0x110
	s_mov_b64 s[2:3], 0
.LBB78_104:                             ; =>This Inner Loop Header: Depth=1
	v_add_u32_e32 v10, -8, v7
	scratch_load_dwordx4 v[10:13], v10, off
	v_mov_b32_e32 v58, s10
	ds_read_b128 v[58:61], v58
	v_add_u32_e32 v6, -1, v6
	s_add_i32 s10, s10, 16
	v_cmp_eq_u32_e32 vcc, 0, v6
	v_add_u32_e32 v7, 16, v7
	s_or_b64 s[2:3], vcc, s[2:3]
	s_waitcnt vmcnt(0) lgkmcnt(0)
	v_mul_f64 v[62:63], v[60:61], v[12:13]
	v_mul_f64 v[12:13], v[58:59], v[12:13]
	v_fma_f64 v[58:59], v[58:59], v[10:11], -v[62:63]
	v_fmac_f64_e32 v[12:13], v[60:61], v[10:11]
	v_add_f64 v[2:3], v[2:3], v[58:59]
	v_add_f64 v[4:5], v[4:5], v[12:13]
	s_andn2_b64 exec, exec, s[2:3]
	s_cbranch_execnz .LBB78_104
; %bb.105:
	s_or_b64 exec, exec, s[2:3]
.LBB78_106:
	s_or_b64 exec, exec, s[8:9]
	v_mov_b32_e32 v6, 0
	ds_read_b128 v[10:13], v6 offset:16
	s_waitcnt lgkmcnt(0)
	v_mul_f64 v[6:7], v[4:5], v[12:13]
	v_mul_f64 v[60:61], v[2:3], v[12:13]
	v_fma_f64 v[58:59], v[2:3], v[10:11], -v[6:7]
	v_fmac_f64_e32 v[60:61], v[4:5], v[10:11]
	scratch_store_dwordx4 off, v[58:61], off offset:16
.LBB78_107:
	s_or_b64 exec, exec, s[4:5]
	scratch_load_dwordx4 v[2:5], off, off
	v_cmp_ne_u32_e32 vcc, 0, v0
	s_mov_b64 s[2:3], 0
	s_mov_b64 s[4:5], 0
                                        ; implicit-def: $vgpr6_vgpr7
                                        ; implicit-def: $vgpr10
	s_waitcnt vmcnt(0)
	ds_write_b128 v9, v[2:5]
	s_waitcnt lgkmcnt(0)
	; wave barrier
	s_waitcnt lgkmcnt(0)
	s_and_saveexec_b64 s[8:9], vcc
	s_cbranch_execz .LBB78_115
; %bb.108:
	ds_read_b128 v[2:5], v9
	s_andn2_b64 vcc, exec, s[6:7]
	s_cbranch_vccnz .LBB78_110
; %bb.109:
	scratch_load_dwordx4 v[10:13], v8, off
	s_waitcnt vmcnt(0) lgkmcnt(0)
	v_mul_f64 v[6:7], v[4:5], v[12:13]
	v_mul_f64 v[12:13], v[2:3], v[12:13]
	v_fmac_f64_e32 v[12:13], v[4:5], v[10:11]
	v_fma_f64 v[2:3], v[2:3], v[10:11], -v[6:7]
	v_mov_b64_e32 v[4:5], v[12:13]
.LBB78_110:
	s_and_saveexec_b64 s[4:5], s[0:1]
	s_cbranch_execz .LBB78_114
; %bb.111:
	v_mov_b32_e32 v7, 0
	v_add_u32_e32 v6, -1, v0
	v_add_u32_e32 v7, 24, v7
	s_movk_i32 s10, 0x100
	s_mov_b64 s[0:1], 0
.LBB78_112:                             ; =>This Inner Loop Header: Depth=1
	v_add_u32_e32 v10, -8, v7
	scratch_load_dwordx4 v[10:13], v10, off
	v_mov_b32_e32 v58, s10
	ds_read_b128 v[58:61], v58
	v_add_u32_e32 v6, -1, v6
	s_add_i32 s10, s10, 16
	v_cmp_eq_u32_e32 vcc, 0, v6
	v_add_u32_e32 v7, 16, v7
	s_or_b64 s[0:1], vcc, s[0:1]
	s_waitcnt vmcnt(0) lgkmcnt(0)
	v_mul_f64 v[62:63], v[60:61], v[12:13]
	v_mul_f64 v[12:13], v[58:59], v[12:13]
	v_fma_f64 v[58:59], v[58:59], v[10:11], -v[62:63]
	v_fmac_f64_e32 v[12:13], v[60:61], v[10:11]
	v_add_f64 v[2:3], v[2:3], v[58:59]
	v_add_f64 v[4:5], v[4:5], v[12:13]
	s_andn2_b64 exec, exec, s[0:1]
	s_cbranch_execnz .LBB78_112
; %bb.113:
	s_or_b64 exec, exec, s[0:1]
.LBB78_114:
	s_or_b64 exec, exec, s[4:5]
	v_mov_b32_e32 v6, 0
	ds_read_b128 v[58:61], v6
	v_mov_b32_e32 v6, 0
	v_or_b32_e32 v10, 8, v6
	s_mov_b64 s[4:5], exec
	s_waitcnt lgkmcnt(0)
	v_mul_f64 v[12:13], v[4:5], v[60:61]
	v_mul_f64 v[6:7], v[2:3], v[60:61]
	v_fma_f64 v[2:3], v[2:3], v[58:59], -v[12:13]
	v_fmac_f64_e32 v[6:7], v[4:5], v[58:59]
	scratch_store_dwordx2 off, v[2:3], off
.LBB78_115:
	s_or_b64 exec, exec, s[8:9]
	s_and_b64 vcc, exec, s[2:3]
	s_cbranch_vccnz .LBB78_117
	s_branch .LBB78_224
.LBB78_116:
	s_mov_b64 s[4:5], 0
                                        ; implicit-def: $vgpr6_vgpr7
                                        ; implicit-def: $vgpr10
	s_cbranch_execz .LBB78_224
.LBB78_117:
	scratch_load_dwordx4 v[2:5], v55, off
	v_cndmask_b32_e64 v6, 0, 1, s[6:7]
	v_cmp_eq_u32_e64 s[2:3], 0, v0
	v_cmp_ne_u32_e64 s[0:1], 1, v6
	s_waitcnt vmcnt(0)
	ds_write_b128 v9, v[2:5]
	s_waitcnt lgkmcnt(0)
	; wave barrier
	s_waitcnt lgkmcnt(0)
	s_and_saveexec_b64 s[6:7], s[2:3]
	s_cbranch_execz .LBB78_121
; %bb.118:
	ds_read_b128 v[2:5], v9
	s_and_b64 vcc, exec, s[0:1]
	s_cbranch_vccnz .LBB78_120
; %bb.119:
	scratch_load_dwordx4 v[10:13], v8, off
	s_waitcnt vmcnt(0) lgkmcnt(0)
	v_mul_f64 v[6:7], v[4:5], v[12:13]
	v_mul_f64 v[12:13], v[2:3], v[12:13]
	v_fmac_f64_e32 v[12:13], v[4:5], v[10:11]
	v_fma_f64 v[2:3], v[2:3], v[10:11], -v[6:7]
	v_mov_b64_e32 v[4:5], v[12:13]
.LBB78_120:
	v_mov_b32_e32 v6, 0
	ds_read_b128 v[10:13], v6 offset:16
	s_waitcnt lgkmcnt(0)
	v_mul_f64 v[6:7], v[4:5], v[12:13]
	v_mul_f64 v[60:61], v[2:3], v[12:13]
	v_fma_f64 v[58:59], v[2:3], v[10:11], -v[6:7]
	v_fmac_f64_e32 v[60:61], v[4:5], v[10:11]
	scratch_store_dwordx4 off, v[58:61], off offset:16
.LBB78_121:
	s_or_b64 exec, exec, s[6:7]
	scratch_load_dwordx4 v[2:5], v52, off
	v_cmp_gt_u32_e32 vcc, 2, v0
	s_waitcnt vmcnt(0)
	ds_write_b128 v9, v[2:5]
	s_waitcnt lgkmcnt(0)
	; wave barrier
	s_waitcnt lgkmcnt(0)
	s_and_saveexec_b64 s[6:7], vcc
	s_cbranch_execz .LBB78_127
; %bb.122:
	ds_read_b128 v[2:5], v9
	s_and_b64 vcc, exec, s[0:1]
	s_cbranch_vccnz .LBB78_124
; %bb.123:
	scratch_load_dwordx4 v[10:13], v8, off
	s_waitcnt vmcnt(0) lgkmcnt(0)
	v_mul_f64 v[6:7], v[4:5], v[12:13]
	v_mul_f64 v[12:13], v[2:3], v[12:13]
	v_fmac_f64_e32 v[12:13], v[4:5], v[10:11]
	v_fma_f64 v[2:3], v[2:3], v[10:11], -v[6:7]
	v_mov_b64_e32 v[4:5], v[12:13]
.LBB78_124:
	s_and_saveexec_b64 s[8:9], s[2:3]
	s_cbranch_execz .LBB78_126
; %bb.125:
	scratch_load_dwordx4 v[10:13], v8, off offset:16
	ds_read_b128 v[58:61], v9 offset:16
	s_waitcnt vmcnt(0) lgkmcnt(0)
	v_mul_f64 v[6:7], v[60:61], v[12:13]
	v_mul_f64 v[12:13], v[58:59], v[12:13]
	v_fma_f64 v[6:7], v[58:59], v[10:11], -v[6:7]
	v_fmac_f64_e32 v[12:13], v[60:61], v[10:11]
	v_add_f64 v[2:3], v[2:3], v[6:7]
	v_add_f64 v[4:5], v[4:5], v[12:13]
.LBB78_126:
	s_or_b64 exec, exec, s[8:9]
	v_mov_b32_e32 v6, 0
	ds_read_b128 v[10:13], v6 offset:32
	s_waitcnt lgkmcnt(0)
	v_mul_f64 v[6:7], v[4:5], v[12:13]
	v_mul_f64 v[60:61], v[2:3], v[12:13]
	v_fma_f64 v[58:59], v[2:3], v[10:11], -v[6:7]
	v_fmac_f64_e32 v[60:61], v[4:5], v[10:11]
	scratch_store_dwordx4 off, v[58:61], off offset:32
.LBB78_127:
	s_or_b64 exec, exec, s[6:7]
	scratch_load_dwordx4 v[2:5], v56, off
	v_cmp_gt_u32_e32 vcc, 3, v0
	s_waitcnt vmcnt(0)
	ds_write_b128 v9, v[2:5]
	s_waitcnt lgkmcnt(0)
	; wave barrier
	s_waitcnt lgkmcnt(0)
	s_and_saveexec_b64 s[6:7], vcc
	s_cbranch_execz .LBB78_135
; %bb.128:
	ds_read_b128 v[2:5], v9
	s_and_b64 vcc, exec, s[0:1]
	s_cbranch_vccnz .LBB78_130
; %bb.129:
	scratch_load_dwordx4 v[10:13], v8, off
	s_waitcnt vmcnt(0) lgkmcnt(0)
	v_mul_f64 v[6:7], v[4:5], v[12:13]
	v_mul_f64 v[12:13], v[2:3], v[12:13]
	v_fmac_f64_e32 v[12:13], v[4:5], v[10:11]
	v_fma_f64 v[2:3], v[2:3], v[10:11], -v[6:7]
	v_mov_b64_e32 v[4:5], v[12:13]
.LBB78_130:
	v_cmp_ne_u32_e32 vcc, 2, v0
	s_and_saveexec_b64 s[8:9], vcc
	s_cbranch_execz .LBB78_134
; %bb.131:
	scratch_load_dwordx4 v[10:13], v8, off offset:16
	ds_read_b128 v[58:61], v9 offset:16
	s_waitcnt vmcnt(0) lgkmcnt(0)
	v_mul_f64 v[6:7], v[60:61], v[12:13]
	v_mul_f64 v[12:13], v[58:59], v[12:13]
	v_fma_f64 v[6:7], v[58:59], v[10:11], -v[6:7]
	v_fmac_f64_e32 v[12:13], v[60:61], v[10:11]
	v_add_f64 v[2:3], v[2:3], v[6:7]
	v_add_f64 v[4:5], v[4:5], v[12:13]
	s_and_saveexec_b64 s[10:11], s[2:3]
	s_cbranch_execz .LBB78_133
; %bb.132:
	scratch_load_dwordx4 v[10:13], off, off offset:32
	v_mov_b32_e32 v6, 0
	ds_read_b128 v[58:61], v6 offset:272
	s_waitcnt vmcnt(0) lgkmcnt(0)
	v_mul_f64 v[6:7], v[58:59], v[12:13]
	v_mul_f64 v[12:13], v[60:61], v[12:13]
	v_fmac_f64_e32 v[6:7], v[60:61], v[10:11]
	v_fma_f64 v[10:11], v[58:59], v[10:11], -v[12:13]
	v_add_f64 v[4:5], v[4:5], v[6:7]
	v_add_f64 v[2:3], v[2:3], v[10:11]
.LBB78_133:
	s_or_b64 exec, exec, s[10:11]
.LBB78_134:
	s_or_b64 exec, exec, s[8:9]
	v_mov_b32_e32 v6, 0
	ds_read_b128 v[10:13], v6 offset:48
	s_waitcnt lgkmcnt(0)
	v_mul_f64 v[6:7], v[4:5], v[12:13]
	v_mul_f64 v[60:61], v[2:3], v[12:13]
	v_fma_f64 v[58:59], v[2:3], v[10:11], -v[6:7]
	v_fmac_f64_e32 v[60:61], v[4:5], v[10:11]
	scratch_store_dwordx4 off, v[58:61], off offset:48
.LBB78_135:
	s_or_b64 exec, exec, s[6:7]
	scratch_load_dwordx4 v[2:5], v53, off
	v_cmp_gt_u32_e32 vcc, 4, v0
	s_waitcnt vmcnt(0)
	ds_write_b128 v9, v[2:5]
	s_waitcnt lgkmcnt(0)
	; wave barrier
	s_waitcnt lgkmcnt(0)
	s_and_saveexec_b64 s[2:3], vcc
	s_cbranch_execz .LBB78_143
; %bb.136:
	ds_read_b128 v[2:5], v9
	s_and_b64 vcc, exec, s[0:1]
	s_cbranch_vccnz .LBB78_138
; %bb.137:
	scratch_load_dwordx4 v[10:13], v8, off
	s_waitcnt vmcnt(0) lgkmcnt(0)
	v_mul_f64 v[6:7], v[4:5], v[12:13]
	v_mul_f64 v[12:13], v[2:3], v[12:13]
	v_fmac_f64_e32 v[12:13], v[4:5], v[10:11]
	v_fma_f64 v[2:3], v[2:3], v[10:11], -v[6:7]
	v_mov_b64_e32 v[4:5], v[12:13]
.LBB78_138:
	v_cmp_ne_u32_e32 vcc, 3, v0
	s_and_saveexec_b64 s[6:7], vcc
	s_cbranch_execz .LBB78_142
; %bb.139:
	v_mov_b32_e32 v7, 0
	v_add_u32_e32 v6, 0x100, v44
	v_add3_u32 v7, v44, v7, 24
	s_mov_b64 s[8:9], 0
	v_mov_b32_e32 v10, v0
.LBB78_140:                             ; =>This Inner Loop Header: Depth=1
	v_add_u32_e32 v11, -8, v7
	scratch_load_dwordx4 v[58:61], v11, off
	ds_read_b128 v[62:65], v6
	v_add_u32_e32 v10, 1, v10
	v_cmp_lt_u32_e32 vcc, 2, v10
	v_add_u32_e32 v6, 16, v6
	v_add_u32_e32 v7, 16, v7
	s_or_b64 s[8:9], vcc, s[8:9]
	s_waitcnt vmcnt(0) lgkmcnt(0)
	v_mul_f64 v[12:13], v[64:65], v[60:61]
	v_mul_f64 v[60:61], v[62:63], v[60:61]
	v_fma_f64 v[12:13], v[62:63], v[58:59], -v[12:13]
	v_fmac_f64_e32 v[60:61], v[64:65], v[58:59]
	v_add_f64 v[2:3], v[2:3], v[12:13]
	v_add_f64 v[4:5], v[4:5], v[60:61]
	s_andn2_b64 exec, exec, s[8:9]
	s_cbranch_execnz .LBB78_140
; %bb.141:
	s_or_b64 exec, exec, s[8:9]
.LBB78_142:
	s_or_b64 exec, exec, s[6:7]
	v_mov_b32_e32 v6, 0
	ds_read_b128 v[10:13], v6 offset:64
	s_waitcnt lgkmcnt(0)
	v_mul_f64 v[6:7], v[4:5], v[12:13]
	v_mul_f64 v[60:61], v[2:3], v[12:13]
	v_fma_f64 v[58:59], v[2:3], v[10:11], -v[6:7]
	v_fmac_f64_e32 v[60:61], v[4:5], v[10:11]
	scratch_store_dwordx4 off, v[58:61], off offset:64
.LBB78_143:
	s_or_b64 exec, exec, s[2:3]
	scratch_load_dwordx4 v[2:5], v57, off
	v_cmp_gt_u32_e32 vcc, 5, v0
	s_waitcnt vmcnt(0)
	ds_write_b128 v9, v[2:5]
	s_waitcnt lgkmcnt(0)
	; wave barrier
	s_waitcnt lgkmcnt(0)
	s_and_saveexec_b64 s[2:3], vcc
	s_cbranch_execz .LBB78_151
; %bb.144:
	ds_read_b128 v[2:5], v9
	s_and_b64 vcc, exec, s[0:1]
	s_cbranch_vccnz .LBB78_146
; %bb.145:
	scratch_load_dwordx4 v[10:13], v8, off
	s_waitcnt vmcnt(0) lgkmcnt(0)
	v_mul_f64 v[6:7], v[4:5], v[12:13]
	v_mul_f64 v[12:13], v[2:3], v[12:13]
	v_fmac_f64_e32 v[12:13], v[4:5], v[10:11]
	v_fma_f64 v[2:3], v[2:3], v[10:11], -v[6:7]
	v_mov_b64_e32 v[4:5], v[12:13]
.LBB78_146:
	v_cmp_ne_u32_e32 vcc, 4, v0
	s_and_saveexec_b64 s[6:7], vcc
	s_cbranch_execz .LBB78_150
; %bb.147:
	v_mov_b32_e32 v7, 0
	v_add_u32_e32 v6, 0x100, v44
	v_add3_u32 v7, v44, v7, 24
	s_mov_b64 s[8:9], 0
	v_mov_b32_e32 v10, v0
.LBB78_148:                             ; =>This Inner Loop Header: Depth=1
	v_add_u32_e32 v11, -8, v7
	scratch_load_dwordx4 v[58:61], v11, off
	ds_read_b128 v[62:65], v6
	v_add_u32_e32 v10, 1, v10
	v_cmp_lt_u32_e32 vcc, 3, v10
	v_add_u32_e32 v6, 16, v6
	v_add_u32_e32 v7, 16, v7
	s_or_b64 s[8:9], vcc, s[8:9]
	s_waitcnt vmcnt(0) lgkmcnt(0)
	v_mul_f64 v[12:13], v[64:65], v[60:61]
	v_mul_f64 v[60:61], v[62:63], v[60:61]
	v_fma_f64 v[12:13], v[62:63], v[58:59], -v[12:13]
	v_fmac_f64_e32 v[60:61], v[64:65], v[58:59]
	v_add_f64 v[2:3], v[2:3], v[12:13]
	v_add_f64 v[4:5], v[4:5], v[60:61]
	s_andn2_b64 exec, exec, s[8:9]
	s_cbranch_execnz .LBB78_148
; %bb.149:
	s_or_b64 exec, exec, s[8:9]
.LBB78_150:
	s_or_b64 exec, exec, s[6:7]
	v_mov_b32_e32 v6, 0
	ds_read_b128 v[10:13], v6 offset:80
	s_waitcnt lgkmcnt(0)
	v_mul_f64 v[6:7], v[4:5], v[12:13]
	v_mul_f64 v[60:61], v[2:3], v[12:13]
	v_fma_f64 v[58:59], v[2:3], v[10:11], -v[6:7]
	v_fmac_f64_e32 v[60:61], v[4:5], v[10:11]
	scratch_store_dwordx4 off, v[58:61], off offset:80
.LBB78_151:
	s_or_b64 exec, exec, s[2:3]
	scratch_load_dwordx4 v[2:5], v54, off
	v_cmp_gt_u32_e32 vcc, 6, v0
	s_waitcnt vmcnt(0)
	ds_write_b128 v9, v[2:5]
	s_waitcnt lgkmcnt(0)
	; wave barrier
	s_waitcnt lgkmcnt(0)
	s_and_saveexec_b64 s[2:3], vcc
	s_cbranch_execz .LBB78_159
; %bb.152:
	ds_read_b128 v[2:5], v9
	s_and_b64 vcc, exec, s[0:1]
	s_cbranch_vccnz .LBB78_154
; %bb.153:
	scratch_load_dwordx4 v[10:13], v8, off
	s_waitcnt vmcnt(0) lgkmcnt(0)
	v_mul_f64 v[6:7], v[4:5], v[12:13]
	v_mul_f64 v[12:13], v[2:3], v[12:13]
	v_fmac_f64_e32 v[12:13], v[4:5], v[10:11]
	v_fma_f64 v[2:3], v[2:3], v[10:11], -v[6:7]
	v_mov_b64_e32 v[4:5], v[12:13]
.LBB78_154:
	v_cmp_ne_u32_e32 vcc, 5, v0
	s_and_saveexec_b64 s[6:7], vcc
	s_cbranch_execz .LBB78_158
; %bb.155:
	v_mov_b32_e32 v7, 0
	v_add_u32_e32 v6, 0x100, v44
	v_add3_u32 v7, v44, v7, 24
	s_mov_b64 s[8:9], 0
	v_mov_b32_e32 v10, v0
.LBB78_156:                             ; =>This Inner Loop Header: Depth=1
	v_add_u32_e32 v11, -8, v7
	scratch_load_dwordx4 v[58:61], v11, off
	ds_read_b128 v[62:65], v6
	v_add_u32_e32 v10, 1, v10
	v_cmp_lt_u32_e32 vcc, 4, v10
	v_add_u32_e32 v6, 16, v6
	v_add_u32_e32 v7, 16, v7
	s_or_b64 s[8:9], vcc, s[8:9]
	s_waitcnt vmcnt(0) lgkmcnt(0)
	v_mul_f64 v[12:13], v[64:65], v[60:61]
	v_mul_f64 v[60:61], v[62:63], v[60:61]
	v_fma_f64 v[12:13], v[62:63], v[58:59], -v[12:13]
	v_fmac_f64_e32 v[60:61], v[64:65], v[58:59]
	v_add_f64 v[2:3], v[2:3], v[12:13]
	v_add_f64 v[4:5], v[4:5], v[60:61]
	s_andn2_b64 exec, exec, s[8:9]
	s_cbranch_execnz .LBB78_156
; %bb.157:
	s_or_b64 exec, exec, s[8:9]
.LBB78_158:
	s_or_b64 exec, exec, s[6:7]
	v_mov_b32_e32 v6, 0
	ds_read_b128 v[10:13], v6 offset:96
	s_waitcnt lgkmcnt(0)
	v_mul_f64 v[6:7], v[4:5], v[12:13]
	v_mul_f64 v[60:61], v[2:3], v[12:13]
	v_fma_f64 v[58:59], v[2:3], v[10:11], -v[6:7]
	v_fmac_f64_e32 v[60:61], v[4:5], v[10:11]
	scratch_store_dwordx4 off, v[58:61], off offset:96
.LBB78_159:
	s_or_b64 exec, exec, s[2:3]
	scratch_load_dwordx4 v[2:5], v50, off
	v_cmp_gt_u32_e32 vcc, 7, v0
	s_waitcnt vmcnt(0)
	ds_write_b128 v9, v[2:5]
	s_waitcnt lgkmcnt(0)
	; wave barrier
	s_waitcnt lgkmcnt(0)
	s_and_saveexec_b64 s[2:3], vcc
	s_cbranch_execz .LBB78_167
; %bb.160:
	ds_read_b128 v[2:5], v9
	s_and_b64 vcc, exec, s[0:1]
	s_cbranch_vccnz .LBB78_162
; %bb.161:
	scratch_load_dwordx4 v[10:13], v8, off
	s_waitcnt vmcnt(0) lgkmcnt(0)
	v_mul_f64 v[6:7], v[4:5], v[12:13]
	v_mul_f64 v[12:13], v[2:3], v[12:13]
	v_fmac_f64_e32 v[12:13], v[4:5], v[10:11]
	v_fma_f64 v[2:3], v[2:3], v[10:11], -v[6:7]
	v_mov_b64_e32 v[4:5], v[12:13]
.LBB78_162:
	v_cmp_ne_u32_e32 vcc, 6, v0
	s_and_saveexec_b64 s[6:7], vcc
	s_cbranch_execz .LBB78_166
; %bb.163:
	v_mov_b32_e32 v7, 0
	v_add_u32_e32 v6, 0x100, v44
	v_add3_u32 v7, v44, v7, 24
	s_mov_b64 s[8:9], 0
	v_mov_b32_e32 v10, v0
.LBB78_164:                             ; =>This Inner Loop Header: Depth=1
	v_add_u32_e32 v11, -8, v7
	scratch_load_dwordx4 v[58:61], v11, off
	ds_read_b128 v[62:65], v6
	v_add_u32_e32 v10, 1, v10
	v_cmp_lt_u32_e32 vcc, 5, v10
	v_add_u32_e32 v6, 16, v6
	v_add_u32_e32 v7, 16, v7
	s_or_b64 s[8:9], vcc, s[8:9]
	s_waitcnt vmcnt(0) lgkmcnt(0)
	v_mul_f64 v[12:13], v[64:65], v[60:61]
	v_mul_f64 v[60:61], v[62:63], v[60:61]
	v_fma_f64 v[12:13], v[62:63], v[58:59], -v[12:13]
	v_fmac_f64_e32 v[60:61], v[64:65], v[58:59]
	v_add_f64 v[2:3], v[2:3], v[12:13]
	v_add_f64 v[4:5], v[4:5], v[60:61]
	s_andn2_b64 exec, exec, s[8:9]
	s_cbranch_execnz .LBB78_164
; %bb.165:
	s_or_b64 exec, exec, s[8:9]
.LBB78_166:
	s_or_b64 exec, exec, s[6:7]
	v_mov_b32_e32 v6, 0
	ds_read_b128 v[10:13], v6 offset:112
	s_waitcnt lgkmcnt(0)
	v_mul_f64 v[6:7], v[4:5], v[12:13]
	v_mul_f64 v[60:61], v[2:3], v[12:13]
	v_fma_f64 v[58:59], v[2:3], v[10:11], -v[6:7]
	v_fmac_f64_e32 v[60:61], v[4:5], v[10:11]
	scratch_store_dwordx4 off, v[58:61], off offset:112
.LBB78_167:
	s_or_b64 exec, exec, s[2:3]
	scratch_load_dwordx4 v[2:5], v51, off
	v_cmp_gt_u32_e32 vcc, 8, v0
	s_waitcnt vmcnt(0)
	ds_write_b128 v9, v[2:5]
	s_waitcnt lgkmcnt(0)
	; wave barrier
	s_waitcnt lgkmcnt(0)
	s_and_saveexec_b64 s[2:3], vcc
	s_cbranch_execz .LBB78_175
; %bb.168:
	ds_read_b128 v[2:5], v9
	s_and_b64 vcc, exec, s[0:1]
	s_cbranch_vccnz .LBB78_170
; %bb.169:
	scratch_load_dwordx4 v[10:13], v8, off
	s_waitcnt vmcnt(0) lgkmcnt(0)
	v_mul_f64 v[6:7], v[4:5], v[12:13]
	v_mul_f64 v[12:13], v[2:3], v[12:13]
	v_fmac_f64_e32 v[12:13], v[4:5], v[10:11]
	v_fma_f64 v[2:3], v[2:3], v[10:11], -v[6:7]
	v_mov_b64_e32 v[4:5], v[12:13]
.LBB78_170:
	v_cmp_ne_u32_e32 vcc, 7, v0
	s_and_saveexec_b64 s[6:7], vcc
	s_cbranch_execz .LBB78_174
; %bb.171:
	v_mov_b32_e32 v7, 0
	v_add_u32_e32 v6, 0x100, v44
	v_add3_u32 v7, v44, v7, 24
	s_mov_b64 s[8:9], 0
	v_mov_b32_e32 v10, v0
.LBB78_172:                             ; =>This Inner Loop Header: Depth=1
	v_add_u32_e32 v11, -8, v7
	scratch_load_dwordx4 v[58:61], v11, off
	ds_read_b128 v[62:65], v6
	v_add_u32_e32 v10, 1, v10
	v_cmp_lt_u32_e32 vcc, 6, v10
	v_add_u32_e32 v6, 16, v6
	v_add_u32_e32 v7, 16, v7
	s_or_b64 s[8:9], vcc, s[8:9]
	s_waitcnt vmcnt(0) lgkmcnt(0)
	v_mul_f64 v[12:13], v[64:65], v[60:61]
	v_mul_f64 v[60:61], v[62:63], v[60:61]
	v_fma_f64 v[12:13], v[62:63], v[58:59], -v[12:13]
	v_fmac_f64_e32 v[60:61], v[64:65], v[58:59]
	v_add_f64 v[2:3], v[2:3], v[12:13]
	v_add_f64 v[4:5], v[4:5], v[60:61]
	s_andn2_b64 exec, exec, s[8:9]
	s_cbranch_execnz .LBB78_172
; %bb.173:
	s_or_b64 exec, exec, s[8:9]
.LBB78_174:
	s_or_b64 exec, exec, s[6:7]
	v_mov_b32_e32 v6, 0
	ds_read_b128 v[10:13], v6 offset:128
	s_waitcnt lgkmcnt(0)
	v_mul_f64 v[6:7], v[4:5], v[12:13]
	v_mul_f64 v[60:61], v[2:3], v[12:13]
	v_fma_f64 v[58:59], v[2:3], v[10:11], -v[6:7]
	v_fmac_f64_e32 v[60:61], v[4:5], v[10:11]
	scratch_store_dwordx4 off, v[58:61], off offset:128
.LBB78_175:
	s_or_b64 exec, exec, s[2:3]
	scratch_load_dwordx4 v[2:5], v48, off
	v_cmp_gt_u32_e32 vcc, 9, v0
	s_waitcnt vmcnt(0)
	ds_write_b128 v9, v[2:5]
	s_waitcnt lgkmcnt(0)
	; wave barrier
	s_waitcnt lgkmcnt(0)
	s_and_saveexec_b64 s[2:3], vcc
	s_cbranch_execz .LBB78_183
; %bb.176:
	ds_read_b128 v[2:5], v9
	s_and_b64 vcc, exec, s[0:1]
	s_cbranch_vccnz .LBB78_178
; %bb.177:
	scratch_load_dwordx4 v[10:13], v8, off
	s_waitcnt vmcnt(0) lgkmcnt(0)
	v_mul_f64 v[6:7], v[4:5], v[12:13]
	v_mul_f64 v[12:13], v[2:3], v[12:13]
	v_fmac_f64_e32 v[12:13], v[4:5], v[10:11]
	v_fma_f64 v[2:3], v[2:3], v[10:11], -v[6:7]
	v_mov_b64_e32 v[4:5], v[12:13]
.LBB78_178:
	v_cmp_ne_u32_e32 vcc, 8, v0
	s_and_saveexec_b64 s[6:7], vcc
	s_cbranch_execz .LBB78_182
; %bb.179:
	v_mov_b32_e32 v7, 0
	v_add_u32_e32 v6, 0x100, v44
	v_add3_u32 v7, v44, v7, 24
	s_mov_b64 s[8:9], 0
	v_mov_b32_e32 v10, v0
.LBB78_180:                             ; =>This Inner Loop Header: Depth=1
	v_add_u32_e32 v11, -8, v7
	scratch_load_dwordx4 v[58:61], v11, off
	ds_read_b128 v[62:65], v6
	v_add_u32_e32 v10, 1, v10
	v_cmp_lt_u32_e32 vcc, 7, v10
	v_add_u32_e32 v6, 16, v6
	v_add_u32_e32 v7, 16, v7
	s_or_b64 s[8:9], vcc, s[8:9]
	s_waitcnt vmcnt(0) lgkmcnt(0)
	v_mul_f64 v[12:13], v[64:65], v[60:61]
	v_mul_f64 v[60:61], v[62:63], v[60:61]
	v_fma_f64 v[12:13], v[62:63], v[58:59], -v[12:13]
	v_fmac_f64_e32 v[60:61], v[64:65], v[58:59]
	v_add_f64 v[2:3], v[2:3], v[12:13]
	v_add_f64 v[4:5], v[4:5], v[60:61]
	s_andn2_b64 exec, exec, s[8:9]
	s_cbranch_execnz .LBB78_180
; %bb.181:
	s_or_b64 exec, exec, s[8:9]
.LBB78_182:
	s_or_b64 exec, exec, s[6:7]
	v_mov_b32_e32 v6, 0
	ds_read_b128 v[10:13], v6 offset:144
	s_waitcnt lgkmcnt(0)
	v_mul_f64 v[6:7], v[4:5], v[12:13]
	v_mul_f64 v[60:61], v[2:3], v[12:13]
	v_fma_f64 v[58:59], v[2:3], v[10:11], -v[6:7]
	v_fmac_f64_e32 v[60:61], v[4:5], v[10:11]
	scratch_store_dwordx4 off, v[58:61], off offset:144
.LBB78_183:
	s_or_b64 exec, exec, s[2:3]
	scratch_load_dwordx4 v[2:5], v49, off
	v_cmp_gt_u32_e32 vcc, 10, v0
	s_waitcnt vmcnt(0)
	ds_write_b128 v9, v[2:5]
	s_waitcnt lgkmcnt(0)
	; wave barrier
	s_waitcnt lgkmcnt(0)
	s_and_saveexec_b64 s[2:3], vcc
	s_cbranch_execz .LBB78_191
; %bb.184:
	ds_read_b128 v[2:5], v9
	s_and_b64 vcc, exec, s[0:1]
	s_cbranch_vccnz .LBB78_186
; %bb.185:
	scratch_load_dwordx4 v[10:13], v8, off
	s_waitcnt vmcnt(0) lgkmcnt(0)
	v_mul_f64 v[6:7], v[4:5], v[12:13]
	v_mul_f64 v[12:13], v[2:3], v[12:13]
	v_fmac_f64_e32 v[12:13], v[4:5], v[10:11]
	v_fma_f64 v[2:3], v[2:3], v[10:11], -v[6:7]
	v_mov_b64_e32 v[4:5], v[12:13]
.LBB78_186:
	v_cmp_ne_u32_e32 vcc, 9, v0
	s_and_saveexec_b64 s[6:7], vcc
	s_cbranch_execz .LBB78_190
; %bb.187:
	v_mov_b32_e32 v7, 0
	v_add_u32_e32 v6, 0x100, v44
	v_add3_u32 v7, v44, v7, 24
	s_mov_b64 s[8:9], 0
	v_mov_b32_e32 v10, v0
.LBB78_188:                             ; =>This Inner Loop Header: Depth=1
	v_add_u32_e32 v11, -8, v7
	scratch_load_dwordx4 v[58:61], v11, off
	ds_read_b128 v[62:65], v6
	v_add_u32_e32 v10, 1, v10
	v_cmp_lt_u32_e32 vcc, 8, v10
	v_add_u32_e32 v6, 16, v6
	v_add_u32_e32 v7, 16, v7
	s_or_b64 s[8:9], vcc, s[8:9]
	s_waitcnt vmcnt(0) lgkmcnt(0)
	v_mul_f64 v[12:13], v[64:65], v[60:61]
	v_mul_f64 v[60:61], v[62:63], v[60:61]
	v_fma_f64 v[12:13], v[62:63], v[58:59], -v[12:13]
	v_fmac_f64_e32 v[60:61], v[64:65], v[58:59]
	v_add_f64 v[2:3], v[2:3], v[12:13]
	v_add_f64 v[4:5], v[4:5], v[60:61]
	s_andn2_b64 exec, exec, s[8:9]
	s_cbranch_execnz .LBB78_188
; %bb.189:
	s_or_b64 exec, exec, s[8:9]
.LBB78_190:
	s_or_b64 exec, exec, s[6:7]
	v_mov_b32_e32 v6, 0
	ds_read_b128 v[10:13], v6 offset:160
	s_waitcnt lgkmcnt(0)
	v_mul_f64 v[6:7], v[4:5], v[12:13]
	v_mul_f64 v[60:61], v[2:3], v[12:13]
	v_fma_f64 v[58:59], v[2:3], v[10:11], -v[6:7]
	v_fmac_f64_e32 v[60:61], v[4:5], v[10:11]
	scratch_store_dwordx4 off, v[58:61], off offset:160
.LBB78_191:
	s_or_b64 exec, exec, s[2:3]
	scratch_load_dwordx4 v[2:5], v46, off
	v_cmp_gt_u32_e32 vcc, 11, v0
	s_waitcnt vmcnt(0)
	ds_write_b128 v9, v[2:5]
	s_waitcnt lgkmcnt(0)
	; wave barrier
	s_waitcnt lgkmcnt(0)
	s_and_saveexec_b64 s[2:3], vcc
	s_cbranch_execz .LBB78_199
; %bb.192:
	ds_read_b128 v[2:5], v9
	s_and_b64 vcc, exec, s[0:1]
	s_cbranch_vccnz .LBB78_194
; %bb.193:
	scratch_load_dwordx4 v[10:13], v8, off
	s_waitcnt vmcnt(0) lgkmcnt(0)
	v_mul_f64 v[6:7], v[4:5], v[12:13]
	v_mul_f64 v[12:13], v[2:3], v[12:13]
	v_fmac_f64_e32 v[12:13], v[4:5], v[10:11]
	v_fma_f64 v[2:3], v[2:3], v[10:11], -v[6:7]
	v_mov_b64_e32 v[4:5], v[12:13]
.LBB78_194:
	v_cmp_ne_u32_e32 vcc, 10, v0
	s_and_saveexec_b64 s[6:7], vcc
	s_cbranch_execz .LBB78_198
; %bb.195:
	v_mov_b32_e32 v7, 0
	v_add_u32_e32 v6, 0x100, v44
	v_add3_u32 v7, v44, v7, 24
	s_mov_b64 s[8:9], 0
	v_mov_b32_e32 v10, v0
.LBB78_196:                             ; =>This Inner Loop Header: Depth=1
	v_add_u32_e32 v11, -8, v7
	scratch_load_dwordx4 v[58:61], v11, off
	ds_read_b128 v[62:65], v6
	v_add_u32_e32 v10, 1, v10
	v_cmp_lt_u32_e32 vcc, 9, v10
	v_add_u32_e32 v6, 16, v6
	v_add_u32_e32 v7, 16, v7
	s_or_b64 s[8:9], vcc, s[8:9]
	s_waitcnt vmcnt(0) lgkmcnt(0)
	v_mul_f64 v[12:13], v[64:65], v[60:61]
	v_mul_f64 v[60:61], v[62:63], v[60:61]
	v_fma_f64 v[12:13], v[62:63], v[58:59], -v[12:13]
	v_fmac_f64_e32 v[60:61], v[64:65], v[58:59]
	v_add_f64 v[2:3], v[2:3], v[12:13]
	v_add_f64 v[4:5], v[4:5], v[60:61]
	s_andn2_b64 exec, exec, s[8:9]
	s_cbranch_execnz .LBB78_196
; %bb.197:
	s_or_b64 exec, exec, s[8:9]
.LBB78_198:
	s_or_b64 exec, exec, s[6:7]
	v_mov_b32_e32 v6, 0
	ds_read_b128 v[10:13], v6 offset:176
	s_waitcnt lgkmcnt(0)
	v_mul_f64 v[6:7], v[4:5], v[12:13]
	v_mul_f64 v[60:61], v[2:3], v[12:13]
	v_fma_f64 v[58:59], v[2:3], v[10:11], -v[6:7]
	v_fmac_f64_e32 v[60:61], v[4:5], v[10:11]
	scratch_store_dwordx4 off, v[58:61], off offset:176
.LBB78_199:
	s_or_b64 exec, exec, s[2:3]
	scratch_load_dwordx4 v[2:5], v47, off
	v_cmp_gt_u32_e32 vcc, 12, v0
	s_waitcnt vmcnt(0)
	ds_write_b128 v9, v[2:5]
	s_waitcnt lgkmcnt(0)
	; wave barrier
	s_waitcnt lgkmcnt(0)
	s_and_saveexec_b64 s[2:3], vcc
	s_cbranch_execz .LBB78_207
; %bb.200:
	ds_read_b128 v[2:5], v9
	s_and_b64 vcc, exec, s[0:1]
	s_cbranch_vccnz .LBB78_202
; %bb.201:
	scratch_load_dwordx4 v[10:13], v8, off
	s_waitcnt vmcnt(0) lgkmcnt(0)
	v_mul_f64 v[6:7], v[4:5], v[12:13]
	v_mul_f64 v[12:13], v[2:3], v[12:13]
	v_fmac_f64_e32 v[12:13], v[4:5], v[10:11]
	v_fma_f64 v[2:3], v[2:3], v[10:11], -v[6:7]
	v_mov_b64_e32 v[4:5], v[12:13]
.LBB78_202:
	v_cmp_ne_u32_e32 vcc, 11, v0
	s_and_saveexec_b64 s[6:7], vcc
	s_cbranch_execz .LBB78_206
; %bb.203:
	v_mov_b32_e32 v7, 0
	v_add_u32_e32 v6, 0x100, v44
	v_add3_u32 v7, v44, v7, 24
	s_mov_b64 s[8:9], 0
	v_mov_b32_e32 v10, v0
.LBB78_204:                             ; =>This Inner Loop Header: Depth=1
	v_add_u32_e32 v11, -8, v7
	scratch_load_dwordx4 v[58:61], v11, off
	ds_read_b128 v[62:65], v6
	v_add_u32_e32 v10, 1, v10
	v_cmp_lt_u32_e32 vcc, 10, v10
	v_add_u32_e32 v6, 16, v6
	v_add_u32_e32 v7, 16, v7
	s_or_b64 s[8:9], vcc, s[8:9]
	s_waitcnt vmcnt(0) lgkmcnt(0)
	v_mul_f64 v[12:13], v[64:65], v[60:61]
	v_mul_f64 v[60:61], v[62:63], v[60:61]
	v_fma_f64 v[12:13], v[62:63], v[58:59], -v[12:13]
	v_fmac_f64_e32 v[60:61], v[64:65], v[58:59]
	v_add_f64 v[2:3], v[2:3], v[12:13]
	v_add_f64 v[4:5], v[4:5], v[60:61]
	s_andn2_b64 exec, exec, s[8:9]
	s_cbranch_execnz .LBB78_204
; %bb.205:
	s_or_b64 exec, exec, s[8:9]
.LBB78_206:
	s_or_b64 exec, exec, s[6:7]
	v_mov_b32_e32 v6, 0
	ds_read_b128 v[10:13], v6 offset:192
	s_waitcnt lgkmcnt(0)
	v_mul_f64 v[6:7], v[4:5], v[12:13]
	v_mul_f64 v[60:61], v[2:3], v[12:13]
	v_fma_f64 v[58:59], v[2:3], v[10:11], -v[6:7]
	v_fmac_f64_e32 v[60:61], v[4:5], v[10:11]
	scratch_store_dwordx4 off, v[58:61], off offset:192
.LBB78_207:
	s_or_b64 exec, exec, s[2:3]
	scratch_load_dwordx4 v[2:5], v45, off
	v_cmp_gt_u32_e64 s[2:3], 13, v0
	s_waitcnt vmcnt(0)
	ds_write_b128 v9, v[2:5]
	s_waitcnt lgkmcnt(0)
	; wave barrier
	s_waitcnt lgkmcnt(0)
	s_and_saveexec_b64 s[6:7], s[2:3]
	s_cbranch_execz .LBB78_215
; %bb.208:
	ds_read_b128 v[2:5], v9
	s_and_b64 vcc, exec, s[0:1]
	s_cbranch_vccnz .LBB78_210
; %bb.209:
	scratch_load_dwordx4 v[10:13], v8, off
	s_waitcnt vmcnt(0) lgkmcnt(0)
	v_mul_f64 v[6:7], v[4:5], v[12:13]
	v_mul_f64 v[12:13], v[2:3], v[12:13]
	v_fmac_f64_e32 v[12:13], v[4:5], v[10:11]
	v_fma_f64 v[2:3], v[2:3], v[10:11], -v[6:7]
	v_mov_b64_e32 v[4:5], v[12:13]
.LBB78_210:
	v_cmp_ne_u32_e32 vcc, 12, v0
	s_and_saveexec_b64 s[8:9], vcc
	s_cbranch_execz .LBB78_214
; %bb.211:
	v_mov_b32_e32 v7, 0
	v_add_u32_e32 v6, 0x100, v44
	v_add3_u32 v7, v44, v7, 24
	s_mov_b64 s[10:11], 0
	v_mov_b32_e32 v10, v0
.LBB78_212:                             ; =>This Inner Loop Header: Depth=1
	v_add_u32_e32 v11, -8, v7
	scratch_load_dwordx4 v[58:61], v11, off
	ds_read_b128 v[62:65], v6
	v_add_u32_e32 v10, 1, v10
	v_cmp_lt_u32_e32 vcc, 11, v10
	v_add_u32_e32 v6, 16, v6
	v_add_u32_e32 v7, 16, v7
	s_or_b64 s[10:11], vcc, s[10:11]
	s_waitcnt vmcnt(0) lgkmcnt(0)
	v_mul_f64 v[12:13], v[64:65], v[60:61]
	v_mul_f64 v[60:61], v[62:63], v[60:61]
	v_fma_f64 v[12:13], v[62:63], v[58:59], -v[12:13]
	v_fmac_f64_e32 v[60:61], v[64:65], v[58:59]
	v_add_f64 v[2:3], v[2:3], v[12:13]
	v_add_f64 v[4:5], v[4:5], v[60:61]
	s_andn2_b64 exec, exec, s[10:11]
	s_cbranch_execnz .LBB78_212
; %bb.213:
	s_or_b64 exec, exec, s[10:11]
.LBB78_214:
	s_or_b64 exec, exec, s[8:9]
	v_mov_b32_e32 v6, 0
	ds_read_b128 v[10:13], v6 offset:208
	s_waitcnt lgkmcnt(0)
	v_mul_f64 v[6:7], v[4:5], v[12:13]
	v_mul_f64 v[60:61], v[2:3], v[12:13]
	v_fma_f64 v[58:59], v[2:3], v[10:11], -v[6:7]
	v_fmac_f64_e32 v[60:61], v[4:5], v[10:11]
	scratch_store_dwordx4 off, v[58:61], off offset:208
.LBB78_215:
	s_or_b64 exec, exec, s[6:7]
	scratch_load_dwordx4 v[2:5], v1, off
	v_cmp_ne_u32_e32 vcc, 14, v0
                                        ; implicit-def: $vgpr6_vgpr7
                                        ; implicit-def: $vgpr10
	s_waitcnt vmcnt(0)
	ds_write_b128 v9, v[2:5]
	s_waitcnt lgkmcnt(0)
	; wave barrier
	s_waitcnt lgkmcnt(0)
	s_and_saveexec_b64 s[6:7], vcc
	s_cbranch_execz .LBB78_223
; %bb.216:
	ds_read_b128 v[2:5], v9
	s_and_b64 vcc, exec, s[0:1]
	s_cbranch_vccnz .LBB78_218
; %bb.217:
	scratch_load_dwordx4 v[6:9], v8, off
	s_waitcnt vmcnt(0) lgkmcnt(0)
	v_mul_f64 v[10:11], v[4:5], v[8:9]
	v_mul_f64 v[8:9], v[2:3], v[8:9]
	v_fmac_f64_e32 v[8:9], v[4:5], v[6:7]
	v_fma_f64 v[2:3], v[2:3], v[6:7], -v[10:11]
	v_mov_b64_e32 v[4:5], v[8:9]
.LBB78_218:
	s_and_saveexec_b64 s[0:1], s[2:3]
	s_cbranch_execz .LBB78_222
; %bb.219:
	v_mov_b32_e32 v7, 0
	v_add_u32_e32 v6, 0x100, v44
	v_add3_u32 v7, v44, v7, 24
	s_mov_b64 s[2:3], 0
.LBB78_220:                             ; =>This Inner Loop Header: Depth=1
	v_add_u32_e32 v8, -8, v7
	scratch_load_dwordx4 v[8:11], v8, off
	ds_read_b128 v[58:61], v6
	v_add_u32_e32 v0, 1, v0
	v_cmp_lt_u32_e32 vcc, 12, v0
	v_add_u32_e32 v6, 16, v6
	v_add_u32_e32 v7, 16, v7
	s_or_b64 s[2:3], vcc, s[2:3]
	s_waitcnt vmcnt(0) lgkmcnt(0)
	v_mul_f64 v[12:13], v[60:61], v[10:11]
	v_mul_f64 v[10:11], v[58:59], v[10:11]
	v_fma_f64 v[12:13], v[58:59], v[8:9], -v[12:13]
	v_fmac_f64_e32 v[10:11], v[60:61], v[8:9]
	v_add_f64 v[2:3], v[2:3], v[12:13]
	v_add_f64 v[4:5], v[4:5], v[10:11]
	s_andn2_b64 exec, exec, s[2:3]
	s_cbranch_execnz .LBB78_220
; %bb.221:
	s_or_b64 exec, exec, s[2:3]
.LBB78_222:
	s_or_b64 exec, exec, s[0:1]
	v_mov_b32_e32 v0, 0
	ds_read_b128 v[58:61], v0 offset:224
	v_mov_b32_e32 v0, 0
	v_add_u32_e32 v10, 0xe8, v0
	s_or_b64 s[4:5], s[4:5], exec
	s_waitcnt lgkmcnt(0)
	v_mul_f64 v[8:9], v[4:5], v[60:61]
	v_mul_f64 v[6:7], v[2:3], v[60:61]
	v_fma_f64 v[2:3], v[2:3], v[58:59], -v[8:9]
	v_fmac_f64_e32 v[6:7], v[4:5], v[58:59]
	scratch_store_dwordx2 off, v[2:3], off offset:224
.LBB78_223:
	s_or_b64 exec, exec, s[6:7]
.LBB78_224:
	s_and_saveexec_b64 s[0:1], s[4:5]
	s_cbranch_execz .LBB78_226
; %bb.225:
	scratch_store_dwordx2 v10, v[6:7], off
.LBB78_226:
	s_or_b64 exec, exec, s[0:1]
	scratch_load_dwordx4 v[2:5], off, off
	scratch_load_dwordx4 v[6:9], v55, off
	scratch_load_dwordx4 v[10:13], v52, off
	;; [unrolled: 1-line block ×6, first 2 shown]
	s_waitcnt vmcnt(6)
	global_store_dwordx4 v[16:17], v[2:5], off
	scratch_load_dwordx4 v[2:5], v50, off
	s_nop 0
	scratch_load_dwordx4 v[52:55], v51, off
	s_waitcnt vmcnt(8)
	global_store_dwordx4 v[14:15], v[6:9], off
	scratch_load_dwordx4 v[6:9], v48, off
	s_nop 0
	scratch_load_dwordx4 v[14:17], v49, off
	;; [unrolled: 5-line block ×4, first 2 shown]
	s_waitcnt vmcnt(14)
	global_store_dwordx4 v[22:23], v[62:65], off
	s_waitcnt vmcnt(14)
	global_store_dwordx4 v[24:25], v[66:69], off
	;; [unrolled: 2-line block ×11, first 2 shown]
.LBB78_227:
	s_endpgm
	.section	.rodata,"a",@progbits
	.p2align	6, 0x0
	.amdhsa_kernel _ZN9rocsolver6v33100L18trti2_kernel_smallILi15E19rocblas_complex_numIdEPKPS3_EEv13rocblas_fill_17rocblas_diagonal_T1_iil
		.amdhsa_group_segment_fixed_size 480
		.amdhsa_private_segment_fixed_size 256
		.amdhsa_kernarg_size 32
		.amdhsa_user_sgpr_count 2
		.amdhsa_user_sgpr_dispatch_ptr 0
		.amdhsa_user_sgpr_queue_ptr 0
		.amdhsa_user_sgpr_kernarg_segment_ptr 1
		.amdhsa_user_sgpr_dispatch_id 0
		.amdhsa_user_sgpr_kernarg_preload_length 0
		.amdhsa_user_sgpr_kernarg_preload_offset 0
		.amdhsa_user_sgpr_private_segment_size 0
		.amdhsa_uses_dynamic_stack 0
		.amdhsa_enable_private_segment 1
		.amdhsa_system_sgpr_workgroup_id_x 1
		.amdhsa_system_sgpr_workgroup_id_y 0
		.amdhsa_system_sgpr_workgroup_id_z 0
		.amdhsa_system_sgpr_workgroup_info 0
		.amdhsa_system_vgpr_workitem_id 0
		.amdhsa_next_free_vgpr 74
		.amdhsa_next_free_sgpr 12
		.amdhsa_accum_offset 76
		.amdhsa_reserve_vcc 1
		.amdhsa_float_round_mode_32 0
		.amdhsa_float_round_mode_16_64 0
		.amdhsa_float_denorm_mode_32 3
		.amdhsa_float_denorm_mode_16_64 3
		.amdhsa_dx10_clamp 1
		.amdhsa_ieee_mode 1
		.amdhsa_fp16_overflow 0
		.amdhsa_tg_split 0
		.amdhsa_exception_fp_ieee_invalid_op 0
		.amdhsa_exception_fp_denorm_src 0
		.amdhsa_exception_fp_ieee_div_zero 0
		.amdhsa_exception_fp_ieee_overflow 0
		.amdhsa_exception_fp_ieee_underflow 0
		.amdhsa_exception_fp_ieee_inexact 0
		.amdhsa_exception_int_div_zero 0
	.end_amdhsa_kernel
	.section	.text._ZN9rocsolver6v33100L18trti2_kernel_smallILi15E19rocblas_complex_numIdEPKPS3_EEv13rocblas_fill_17rocblas_diagonal_T1_iil,"axG",@progbits,_ZN9rocsolver6v33100L18trti2_kernel_smallILi15E19rocblas_complex_numIdEPKPS3_EEv13rocblas_fill_17rocblas_diagonal_T1_iil,comdat
.Lfunc_end78:
	.size	_ZN9rocsolver6v33100L18trti2_kernel_smallILi15E19rocblas_complex_numIdEPKPS3_EEv13rocblas_fill_17rocblas_diagonal_T1_iil, .Lfunc_end78-_ZN9rocsolver6v33100L18trti2_kernel_smallILi15E19rocblas_complex_numIdEPKPS3_EEv13rocblas_fill_17rocblas_diagonal_T1_iil
                                        ; -- End function
	.section	.AMDGPU.csdata,"",@progbits
; Kernel info:
; codeLenInByte = 9680
; NumSgprs: 18
; NumVgprs: 74
; NumAgprs: 0
; TotalNumVgprs: 74
; ScratchSize: 256
; MemoryBound: 0
; FloatMode: 240
; IeeeMode: 1
; LDSByteSize: 480 bytes/workgroup (compile time only)
; SGPRBlocks: 2
; VGPRBlocks: 9
; NumSGPRsForWavesPerEU: 18
; NumVGPRsForWavesPerEU: 74
; AccumOffset: 76
; Occupancy: 6
; WaveLimiterHint : 1
; COMPUTE_PGM_RSRC2:SCRATCH_EN: 1
; COMPUTE_PGM_RSRC2:USER_SGPR: 2
; COMPUTE_PGM_RSRC2:TRAP_HANDLER: 0
; COMPUTE_PGM_RSRC2:TGID_X_EN: 1
; COMPUTE_PGM_RSRC2:TGID_Y_EN: 0
; COMPUTE_PGM_RSRC2:TGID_Z_EN: 0
; COMPUTE_PGM_RSRC2:TIDIG_COMP_CNT: 0
; COMPUTE_PGM_RSRC3_GFX90A:ACCUM_OFFSET: 18
; COMPUTE_PGM_RSRC3_GFX90A:TG_SPLIT: 0
	.section	.text._ZN9rocsolver6v33100L18trti2_kernel_smallILi16E19rocblas_complex_numIdEPKPS3_EEv13rocblas_fill_17rocblas_diagonal_T1_iil,"axG",@progbits,_ZN9rocsolver6v33100L18trti2_kernel_smallILi16E19rocblas_complex_numIdEPKPS3_EEv13rocblas_fill_17rocblas_diagonal_T1_iil,comdat
	.globl	_ZN9rocsolver6v33100L18trti2_kernel_smallILi16E19rocblas_complex_numIdEPKPS3_EEv13rocblas_fill_17rocblas_diagonal_T1_iil ; -- Begin function _ZN9rocsolver6v33100L18trti2_kernel_smallILi16E19rocblas_complex_numIdEPKPS3_EEv13rocblas_fill_17rocblas_diagonal_T1_iil
	.p2align	8
	.type	_ZN9rocsolver6v33100L18trti2_kernel_smallILi16E19rocblas_complex_numIdEPKPS3_EEv13rocblas_fill_17rocblas_diagonal_T1_iil,@function
_ZN9rocsolver6v33100L18trti2_kernel_smallILi16E19rocblas_complex_numIdEPKPS3_EEv13rocblas_fill_17rocblas_diagonal_T1_iil: ; @_ZN9rocsolver6v33100L18trti2_kernel_smallILi16E19rocblas_complex_numIdEPKPS3_EEv13rocblas_fill_17rocblas_diagonal_T1_iil
; %bb.0:
	v_cmp_gt_u32_e32 vcc, 16, v0
	s_and_saveexec_b64 s[4:5], vcc
	s_cbranch_execz .LBB79_243
; %bb.1:
	s_load_dwordx2 s[8:9], s[0:1], 0x10
	s_load_dwordx4 s[4:7], s[0:1], 0x0
	s_ashr_i32 s3, s2, 31
	s_lshl_b64 s[0:1], s[2:3], 3
	v_lshlrev_b32_e32 v46, 4, v0
	s_waitcnt lgkmcnt(0)
	s_ashr_i32 s3, s8, 31
	s_add_u32 s0, s6, s0
	s_addc_u32 s1, s7, s1
	s_load_dwordx2 s[0:1], s[0:1], 0x0
	s_mov_b32 s2, s8
	s_lshl_b64 s[2:3], s[2:3], 4
	v_mov_b32_e32 v47, 0
	v_mov_b32_e32 v1, 0
	s_waitcnt lgkmcnt(0)
	s_add_u32 s0, s0, s2
	s_addc_u32 s1, s1, s3
	global_load_dwordx4 v[2:5], v46, s[0:1]
	s_add_i32 s6, s9, s9
	v_add_u32_e32 v6, s6, v0
	v_add_u32_e32 v20, s9, v6
	;; [unrolled: 1-line block ×11, first 2 shown]
	s_mov_b32 s2, s9
	s_ashr_i32 s3, s9, 31
	v_lshl_add_u64 v[18:19], s[0:1], 0, v[46:47]
	v_add_u32_e32 v68, s9, v66
	v_lshl_add_u64 v[14:15], s[2:3], 4, v[18:19]
	v_ashrrev_i32_e32 v7, 31, v6
	v_ashrrev_i32_e32 v21, 31, v20
	v_add_u32_e32 v70, s9, v68
	v_lshl_add_u64 v[16:17], v[6:7], 4, s[0:1]
	global_load_dwordx4 v[6:9], v[14:15], off
	global_load_dwordx4 v[10:13], v[16:17], off
	v_lshl_add_u64 v[20:21], v[20:21], 4, s[0:1]
	v_ashrrev_i32_e32 v23, 31, v22
	v_ashrrev_i32_e32 v25, 31, v24
	v_add_u32_e32 v30, s9, v70
	v_lshl_add_u64 v[22:23], v[22:23], 4, s[0:1]
	global_load_dwordx4 v[38:41], v[20:21], off
	global_load_dwordx4 v[42:45], v[22:23], off
	v_lshl_add_u64 v[24:25], v[24:25], 4, s[0:1]
	v_ashrrev_i32_e32 v27, 31, v26
	v_ashrrev_i32_e32 v29, 31, v28
	;; [unrolled: 1-line block ×3, first 2 shown]
	v_lshl_add_u64 v[26:27], v[26:27], 4, s[0:1]
	global_load_dwordx4 v[48:51], v[24:25], off
	global_load_dwordx4 v[52:55], v[26:27], off
	v_lshl_add_u64 v[28:29], v[28:29], 4, s[0:1]
	v_lshl_add_u64 v[30:31], v[30:31], 4, s[0:1]
	global_load_dwordx4 v[56:59], v[30:31], off
	v_ashrrev_i32_e32 v33, 31, v32
	v_lshl_add_u64 v[32:33], v[32:33], 4, s[0:1]
	v_ashrrev_i32_e32 v35, 31, v34
	v_lshl_add_u64 v[34:35], v[34:35], 4, s[0:1]
	v_ashrrev_i32_e32 v37, 31, v36
	v_ashrrev_i32_e32 v65, 31, v64
	v_lshl_add_u64 v[36:37], v[36:37], 4, s[0:1]
	v_ashrrev_i32_e32 v67, 31, v66
	v_ashrrev_i32_e32 v69, 31, v68
	;; [unrolled: 1-line block ×3, first 2 shown]
	s_cmpk_lg_i32 s5, 0x84
	s_cselect_b64 s[6:7], -1, 0
	s_cmpk_eq_i32 s5, 0x84
	s_waitcnt vmcnt(7)
	scratch_store_dwordx4 off, v[2:5], off
	global_load_dwordx4 v[2:5], v[28:29], off
	s_waitcnt vmcnt(8)
	scratch_store_dwordx4 off, v[6:9], off offset:16
	global_load_dwordx4 v[6:9], v[32:33], off
	s_waitcnt vmcnt(9)
	scratch_store_dwordx4 off, v[10:13], off offset:32
	s_waitcnt vmcnt(9)
	scratch_store_dwordx4 off, v[38:41], off offset:48
	global_load_dwordx4 v[10:13], v[34:35], off
	global_load_dwordx4 v[60:63], v[36:37], off
	v_lshl_add_u64 v[38:39], v[64:65], 4, s[0:1]
	s_waitcnt vmcnt(11)
	scratch_store_dwordx4 off, v[42:45], off offset:64
	s_waitcnt vmcnt(11)
	scratch_store_dwordx4 off, v[48:51], off offset:80
	v_lshl_add_u64 v[40:41], v[66:67], 4, s[0:1]
	global_load_dwordx4 v[48:51], v[38:39], off
	global_load_dwordx4 v[64:67], v[40:41], off
	v_lshl_add_u64 v[42:43], v[68:69], 4, s[0:1]
	v_lshl_add_u64 v[44:45], v[70:71], 4, s[0:1]
	s_waitcnt vmcnt(13)
	scratch_store_dwordx4 off, v[52:55], off offset:96
	s_waitcnt vmcnt(11)
	scratch_store_dwordx4 off, v[2:5], off offset:112
	global_load_dwordx4 v[2:5], v[42:43], off
	s_nop 0
	global_load_dwordx4 v[52:55], v[44:45], off
	s_waitcnt vmcnt(12)
	scratch_store_dwordx4 off, v[6:9], off offset:128
	s_waitcnt vmcnt(10)
	scratch_store_dwordx4 off, v[10:13], off offset:144
	;; [unrolled: 2-line block ×7, first 2 shown]
	scratch_store_dwordx4 off, v[56:59], off offset:240
	s_cbranch_scc1 .LBB79_7
; %bb.2:
	scratch_load_dwordx4 v[2:5], v46, off
                                        ; implicit-def: $vgpr10_vgpr11
	s_waitcnt vmcnt(0)
	v_xor_b32_e32 v7, 0x80000000, v3
	v_cmp_gt_f64_e32 vcc, 0, v[2:3]
	v_xor_b32_e32 v8, 0x80000000, v5
	v_mov_b32_e32 v6, v2
	v_cndmask_b32_e32 v7, v3, v7, vcc
	v_cmp_gt_f64_e32 vcc, 0, v[4:5]
	s_nop 1
	v_cndmask_b32_e32 v9, v5, v8, vcc
	v_mov_b32_e32 v8, v4
	v_cmp_ngt_f64_e32 vcc, v[6:7], v[8:9]
                                        ; implicit-def: $vgpr6_vgpr7
	s_and_saveexec_b64 s[0:1], vcc
	s_xor_b64 s[0:1], exec, s[0:1]
	s_cbranch_execz .LBB79_4
; %bb.3:
	v_div_scale_f64 v[6:7], s[2:3], v[4:5], v[4:5], v[2:3]
	v_rcp_f64_e32 v[8:9], v[6:7]
	v_div_scale_f64 v[10:11], vcc, v[2:3], v[4:5], v[2:3]
	v_fma_f64 v[12:13], -v[6:7], v[8:9], 1.0
	v_fmac_f64_e32 v[8:9], v[8:9], v[12:13]
	v_fma_f64 v[12:13], -v[6:7], v[8:9], 1.0
	v_fmac_f64_e32 v[8:9], v[8:9], v[12:13]
	v_mul_f64 v[12:13], v[10:11], v[8:9]
	v_fma_f64 v[6:7], -v[6:7], v[12:13], v[10:11]
	v_div_fmas_f64 v[6:7], v[6:7], v[8:9], v[12:13]
	v_div_fixup_f64 v[6:7], v[6:7], v[4:5], v[2:3]
	v_fmac_f64_e32 v[4:5], v[2:3], v[6:7]
	v_div_scale_f64 v[2:3], s[2:3], v[4:5], v[4:5], 1.0
	v_rcp_f64_e32 v[8:9], v[2:3]
	s_nop 0
	v_fma_f64 v[10:11], -v[2:3], v[8:9], 1.0
	v_fmac_f64_e32 v[8:9], v[8:9], v[10:11]
	v_fma_f64 v[10:11], -v[2:3], v[8:9], 1.0
	v_fmac_f64_e32 v[8:9], v[8:9], v[10:11]
	v_div_scale_f64 v[10:11], vcc, 1.0, v[4:5], 1.0
	v_mul_f64 v[12:13], v[10:11], v[8:9]
	v_fma_f64 v[2:3], -v[2:3], v[12:13], v[10:11]
	s_nop 1
	v_div_fmas_f64 v[2:3], v[2:3], v[8:9], v[12:13]
	v_div_fixup_f64 v[8:9], v[2:3], v[4:5], 1.0
	v_mul_f64 v[6:7], v[6:7], v[8:9]
	v_xor_b32_e32 v9, 0x80000000, v9
	v_xor_b32_e32 v11, 0x80000000, v7
	v_mov_b32_e32 v10, v6
                                        ; implicit-def: $vgpr2_vgpr3
.LBB79_4:
	s_or_saveexec_b64 s[0:1], s[0:1]
	v_add_u32_e32 v12, 0, v46
	s_xor_b64 exec, exec, s[0:1]
	s_cbranch_execz .LBB79_6
; %bb.5:
	v_div_scale_f64 v[6:7], s[2:3], v[2:3], v[2:3], v[4:5]
	v_rcp_f64_e32 v[8:9], v[6:7]
	v_div_scale_f64 v[10:11], vcc, v[4:5], v[2:3], v[4:5]
	v_fma_f64 v[48:49], -v[6:7], v[8:9], 1.0
	v_fmac_f64_e32 v[8:9], v[8:9], v[48:49]
	v_fma_f64 v[48:49], -v[6:7], v[8:9], 1.0
	v_fmac_f64_e32 v[8:9], v[8:9], v[48:49]
	v_mul_f64 v[48:49], v[10:11], v[8:9]
	v_fma_f64 v[6:7], -v[6:7], v[48:49], v[10:11]
	v_div_fmas_f64 v[6:7], v[6:7], v[8:9], v[48:49]
	v_div_fixup_f64 v[8:9], v[6:7], v[2:3], v[4:5]
	v_fmac_f64_e32 v[2:3], v[4:5], v[8:9]
	v_div_scale_f64 v[4:5], s[2:3], v[2:3], v[2:3], 1.0
	v_rcp_f64_e32 v[6:7], v[4:5]
	s_nop 0
	v_fma_f64 v[10:11], -v[4:5], v[6:7], 1.0
	v_fmac_f64_e32 v[6:7], v[6:7], v[10:11]
	v_fma_f64 v[10:11], -v[4:5], v[6:7], 1.0
	v_fmac_f64_e32 v[6:7], v[6:7], v[10:11]
	v_div_scale_f64 v[10:11], vcc, 1.0, v[2:3], 1.0
	v_mul_f64 v[48:49], v[10:11], v[6:7]
	v_fma_f64 v[4:5], -v[4:5], v[48:49], v[10:11]
	s_nop 1
	v_div_fmas_f64 v[4:5], v[4:5], v[6:7], v[48:49]
	v_div_fixup_f64 v[6:7], v[4:5], v[2:3], 1.0
	v_xor_b32_e32 v11, 0x80000000, v7
	v_mov_b32_e32 v10, v6
	v_mul_f64 v[8:9], v[8:9], -v[6:7]
.LBB79_6:
	s_or_b64 exec, exec, s[0:1]
	scratch_store_dwordx4 v12, v[6:9], off
	s_nop 1
	v_xor_b32_e32 v9, 0x80000000, v9
	s_branch .LBB79_8
.LBB79_7:
	v_mov_b64_e32 v[8:9], 0
	v_mov_b64_e32 v[10:11], -1.0
.LBB79_8:
	v_add_u32_e32 v56, 16, v1
	v_add_u32_e32 v58, 32, v1
	;; [unrolled: 1-line block ×15, first 2 shown]
	v_mov_b32_e32 v12, v8
	v_mov_b32_e32 v13, v9
	s_cmpk_eq_i32 s4, 0x79
	v_add_u32_e32 v9, 0x100, v46
	v_add_u32_e32 v8, 0, v46
	ds_write_b128 v46, v[10:13]
	s_cbranch_scc1 .LBB79_124
; %bb.9:
	scratch_load_dwordx4 v[2:5], v47, off
	v_cmp_eq_u32_e64 s[0:1], 15, v0
	s_waitcnt vmcnt(0)
	ds_write_b128 v9, v[2:5]
	s_waitcnt lgkmcnt(0)
	; wave barrier
	s_waitcnt lgkmcnt(0)
	s_and_saveexec_b64 s[2:3], s[0:1]
	s_cbranch_execz .LBB79_13
; %bb.10:
	ds_read_b128 v[2:5], v9
	s_andn2_b64 vcc, exec, s[6:7]
	s_cbranch_vccnz .LBB79_12
; %bb.11:
	scratch_load_dwordx4 v[10:13], v8, off
	s_waitcnt vmcnt(0) lgkmcnt(0)
	v_mul_f64 v[6:7], v[4:5], v[12:13]
	v_mul_f64 v[12:13], v[2:3], v[12:13]
	v_fmac_f64_e32 v[12:13], v[4:5], v[10:11]
	v_fma_f64 v[2:3], v[2:3], v[10:11], -v[6:7]
	v_mov_b64_e32 v[4:5], v[12:13]
.LBB79_12:
	v_mov_b32_e32 v6, 0
	ds_read_b128 v[10:13], v6 offset:224
	s_waitcnt lgkmcnt(0)
	v_mul_f64 v[6:7], v[4:5], v[12:13]
	v_mul_f64 v[64:65], v[2:3], v[12:13]
	v_fma_f64 v[62:63], v[2:3], v[10:11], -v[6:7]
	v_fmac_f64_e32 v[64:65], v[4:5], v[10:11]
	scratch_store_dwordx4 off, v[62:65], off offset:224
.LBB79_13:
	s_or_b64 exec, exec, s[2:3]
	scratch_load_dwordx4 v[2:5], v48, off
	v_cmp_lt_u32_e64 s[2:3], 13, v0
	s_waitcnt vmcnt(0)
	ds_write_b128 v9, v[2:5]
	s_waitcnt lgkmcnt(0)
	; wave barrier
	s_waitcnt lgkmcnt(0)
	s_and_saveexec_b64 s[4:5], s[2:3]
	s_cbranch_execz .LBB79_19
; %bb.14:
	ds_read_b128 v[2:5], v9
	s_andn2_b64 vcc, exec, s[6:7]
	s_cbranch_vccnz .LBB79_16
; %bb.15:
	scratch_load_dwordx4 v[10:13], v8, off
	s_waitcnt vmcnt(0) lgkmcnt(0)
	v_mul_f64 v[6:7], v[4:5], v[12:13]
	v_mul_f64 v[12:13], v[2:3], v[12:13]
	v_fmac_f64_e32 v[12:13], v[4:5], v[10:11]
	v_fma_f64 v[2:3], v[2:3], v[10:11], -v[6:7]
	v_mov_b64_e32 v[4:5], v[12:13]
.LBB79_16:
	s_and_saveexec_b64 s[8:9], s[0:1]
	s_cbranch_execz .LBB79_18
; %bb.17:
	scratch_load_dwordx4 v[10:13], off, off offset:224
	v_mov_b32_e32 v6, 0
	ds_read_b128 v[62:65], v6 offset:480
	s_waitcnt vmcnt(0) lgkmcnt(0)
	v_mul_f64 v[6:7], v[62:63], v[12:13]
	v_mul_f64 v[12:13], v[64:65], v[12:13]
	v_fmac_f64_e32 v[6:7], v[64:65], v[10:11]
	v_fma_f64 v[10:11], v[62:63], v[10:11], -v[12:13]
	v_add_f64 v[4:5], v[4:5], v[6:7]
	v_add_f64 v[2:3], v[2:3], v[10:11]
.LBB79_18:
	s_or_b64 exec, exec, s[8:9]
	v_mov_b32_e32 v6, 0
	ds_read_b128 v[10:13], v6 offset:208
	s_waitcnt lgkmcnt(0)
	v_mul_f64 v[6:7], v[4:5], v[12:13]
	v_mul_f64 v[64:65], v[2:3], v[12:13]
	v_fma_f64 v[62:63], v[2:3], v[10:11], -v[6:7]
	v_fmac_f64_e32 v[64:65], v[4:5], v[10:11]
	scratch_store_dwordx4 off, v[62:65], off offset:208
.LBB79_19:
	s_or_b64 exec, exec, s[4:5]
	scratch_load_dwordx4 v[2:5], v49, off
	v_cmp_lt_u32_e64 s[0:1], 12, v0
	s_waitcnt vmcnt(0)
	ds_write_b128 v9, v[2:5]
	s_waitcnt lgkmcnt(0)
	; wave barrier
	s_waitcnt lgkmcnt(0)
	s_and_saveexec_b64 s[4:5], s[0:1]
	s_cbranch_execz .LBB79_27
; %bb.20:
	ds_read_b128 v[2:5], v9
	s_andn2_b64 vcc, exec, s[6:7]
	s_cbranch_vccnz .LBB79_22
; %bb.21:
	scratch_load_dwordx4 v[10:13], v8, off
	s_waitcnt vmcnt(0) lgkmcnt(0)
	v_mul_f64 v[6:7], v[4:5], v[12:13]
	v_mul_f64 v[12:13], v[2:3], v[12:13]
	v_fmac_f64_e32 v[12:13], v[4:5], v[10:11]
	v_fma_f64 v[2:3], v[2:3], v[10:11], -v[6:7]
	v_mov_b64_e32 v[4:5], v[12:13]
.LBB79_22:
	s_and_saveexec_b64 s[8:9], s[2:3]
	s_cbranch_execz .LBB79_26
; %bb.23:
	v_mov_b32_e32 v7, 0
	v_add_u32_e32 v6, -13, v0
	v_add_u32_e32 v7, 0xd8, v7
	s_movk_i32 s10, 0x1d0
	s_mov_b64 s[2:3], 0
.LBB79_24:                              ; =>This Inner Loop Header: Depth=1
	v_add_u32_e32 v10, -8, v7
	scratch_load_dwordx4 v[10:13], v10, off
	v_mov_b32_e32 v61, s10
	ds_read_b128 v[62:65], v61
	v_add_u32_e32 v6, -1, v6
	s_add_i32 s10, s10, 16
	v_cmp_eq_u32_e32 vcc, 0, v6
	v_add_u32_e32 v7, 16, v7
	s_or_b64 s[2:3], vcc, s[2:3]
	s_waitcnt vmcnt(0) lgkmcnt(0)
	v_mul_f64 v[66:67], v[64:65], v[12:13]
	v_mul_f64 v[12:13], v[62:63], v[12:13]
	v_fma_f64 v[62:63], v[62:63], v[10:11], -v[66:67]
	v_fmac_f64_e32 v[12:13], v[64:65], v[10:11]
	v_add_f64 v[2:3], v[2:3], v[62:63]
	v_add_f64 v[4:5], v[4:5], v[12:13]
	s_andn2_b64 exec, exec, s[2:3]
	s_cbranch_execnz .LBB79_24
; %bb.25:
	s_or_b64 exec, exec, s[2:3]
.LBB79_26:
	s_or_b64 exec, exec, s[8:9]
	v_mov_b32_e32 v6, 0
	ds_read_b128 v[10:13], v6 offset:192
	s_waitcnt lgkmcnt(0)
	v_mul_f64 v[6:7], v[4:5], v[12:13]
	v_mul_f64 v[64:65], v[2:3], v[12:13]
	v_fma_f64 v[62:63], v[2:3], v[10:11], -v[6:7]
	v_fmac_f64_e32 v[64:65], v[4:5], v[10:11]
	scratch_store_dwordx4 off, v[62:65], off offset:192
.LBB79_27:
	s_or_b64 exec, exec, s[4:5]
	scratch_load_dwordx4 v[2:5], v50, off
	v_cmp_lt_u32_e64 s[2:3], 11, v0
	s_waitcnt vmcnt(0)
	ds_write_b128 v9, v[2:5]
	s_waitcnt lgkmcnt(0)
	; wave barrier
	s_waitcnt lgkmcnt(0)
	s_and_saveexec_b64 s[4:5], s[2:3]
	s_cbranch_execz .LBB79_35
; %bb.28:
	ds_read_b128 v[2:5], v9
	s_andn2_b64 vcc, exec, s[6:7]
	s_cbranch_vccnz .LBB79_30
; %bb.29:
	scratch_load_dwordx4 v[10:13], v8, off
	s_waitcnt vmcnt(0) lgkmcnt(0)
	v_mul_f64 v[6:7], v[4:5], v[12:13]
	v_mul_f64 v[12:13], v[2:3], v[12:13]
	v_fmac_f64_e32 v[12:13], v[4:5], v[10:11]
	v_fma_f64 v[2:3], v[2:3], v[10:11], -v[6:7]
	v_mov_b64_e32 v[4:5], v[12:13]
.LBB79_30:
	s_and_saveexec_b64 s[8:9], s[0:1]
	s_cbranch_execz .LBB79_34
; %bb.31:
	v_mov_b32_e32 v7, 0
	v_add_u32_e32 v6, -12, v0
	v_add_u32_e32 v7, 0xc8, v7
	s_movk_i32 s10, 0x1c0
	s_mov_b64 s[0:1], 0
.LBB79_32:                              ; =>This Inner Loop Header: Depth=1
	v_add_u32_e32 v10, -8, v7
	scratch_load_dwordx4 v[10:13], v10, off
	v_mov_b32_e32 v61, s10
	ds_read_b128 v[62:65], v61
	v_add_u32_e32 v6, -1, v6
	s_add_i32 s10, s10, 16
	v_cmp_eq_u32_e32 vcc, 0, v6
	v_add_u32_e32 v7, 16, v7
	s_or_b64 s[0:1], vcc, s[0:1]
	s_waitcnt vmcnt(0) lgkmcnt(0)
	v_mul_f64 v[66:67], v[64:65], v[12:13]
	v_mul_f64 v[12:13], v[62:63], v[12:13]
	v_fma_f64 v[62:63], v[62:63], v[10:11], -v[66:67]
	v_fmac_f64_e32 v[12:13], v[64:65], v[10:11]
	v_add_f64 v[2:3], v[2:3], v[62:63]
	v_add_f64 v[4:5], v[4:5], v[12:13]
	s_andn2_b64 exec, exec, s[0:1]
	s_cbranch_execnz .LBB79_32
; %bb.33:
	s_or_b64 exec, exec, s[0:1]
.LBB79_34:
	s_or_b64 exec, exec, s[8:9]
	v_mov_b32_e32 v6, 0
	ds_read_b128 v[10:13], v6 offset:176
	s_waitcnt lgkmcnt(0)
	v_mul_f64 v[6:7], v[4:5], v[12:13]
	v_mul_f64 v[64:65], v[2:3], v[12:13]
	v_fma_f64 v[62:63], v[2:3], v[10:11], -v[6:7]
	v_fmac_f64_e32 v[64:65], v[4:5], v[10:11]
	scratch_store_dwordx4 off, v[62:65], off offset:176
.LBB79_35:
	;; [unrolled: 63-line block ×10, first 2 shown]
	s_or_b64 exec, exec, s[4:5]
	scratch_load_dwordx4 v[2:5], v58, off
	v_cmp_lt_u32_e64 s[4:5], 2, v0
	s_waitcnt vmcnt(0)
	ds_write_b128 v9, v[2:5]
	s_waitcnt lgkmcnt(0)
	; wave barrier
	s_waitcnt lgkmcnt(0)
	s_and_saveexec_b64 s[0:1], s[4:5]
	s_cbranch_execz .LBB79_107
; %bb.100:
	ds_read_b128 v[2:5], v9
	s_andn2_b64 vcc, exec, s[6:7]
	s_cbranch_vccnz .LBB79_102
; %bb.101:
	scratch_load_dwordx4 v[10:13], v8, off
	s_waitcnt vmcnt(0) lgkmcnt(0)
	v_mul_f64 v[6:7], v[4:5], v[12:13]
	v_mul_f64 v[12:13], v[2:3], v[12:13]
	v_fmac_f64_e32 v[12:13], v[4:5], v[10:11]
	v_fma_f64 v[2:3], v[2:3], v[10:11], -v[6:7]
	v_mov_b64_e32 v[4:5], v[12:13]
.LBB79_102:
	s_and_saveexec_b64 s[8:9], s[2:3]
	s_cbranch_execz .LBB79_106
; %bb.103:
	v_mov_b32_e32 v7, 0
	v_add_u32_e32 v6, -3, v0
	v_add_u32_e32 v7, 56, v7
	s_movk_i32 s10, 0x130
	s_mov_b64 s[2:3], 0
.LBB79_104:                             ; =>This Inner Loop Header: Depth=1
	v_add_u32_e32 v10, -8, v7
	scratch_load_dwordx4 v[10:13], v10, off
	v_mov_b32_e32 v61, s10
	ds_read_b128 v[62:65], v61
	v_add_u32_e32 v6, -1, v6
	s_add_i32 s10, s10, 16
	v_cmp_eq_u32_e32 vcc, 0, v6
	v_add_u32_e32 v7, 16, v7
	s_or_b64 s[2:3], vcc, s[2:3]
	s_waitcnt vmcnt(0) lgkmcnt(0)
	v_mul_f64 v[66:67], v[64:65], v[12:13]
	v_mul_f64 v[12:13], v[62:63], v[12:13]
	v_fma_f64 v[62:63], v[62:63], v[10:11], -v[66:67]
	v_fmac_f64_e32 v[12:13], v[64:65], v[10:11]
	v_add_f64 v[2:3], v[2:3], v[62:63]
	v_add_f64 v[4:5], v[4:5], v[12:13]
	s_andn2_b64 exec, exec, s[2:3]
	s_cbranch_execnz .LBB79_104
; %bb.105:
	s_or_b64 exec, exec, s[2:3]
.LBB79_106:
	s_or_b64 exec, exec, s[8:9]
	v_mov_b32_e32 v6, 0
	ds_read_b128 v[10:13], v6 offset:32
	s_waitcnt lgkmcnt(0)
	v_mul_f64 v[6:7], v[4:5], v[12:13]
	v_mul_f64 v[64:65], v[2:3], v[12:13]
	v_fma_f64 v[62:63], v[2:3], v[10:11], -v[6:7]
	v_fmac_f64_e32 v[64:65], v[4:5], v[10:11]
	scratch_store_dwordx4 off, v[62:65], off offset:32
.LBB79_107:
	s_or_b64 exec, exec, s[0:1]
	scratch_load_dwordx4 v[2:5], v56, off
	v_cmp_lt_u32_e64 s[0:1], 1, v0
	s_waitcnt vmcnt(0)
	ds_write_b128 v9, v[2:5]
	s_waitcnt lgkmcnt(0)
	; wave barrier
	s_waitcnt lgkmcnt(0)
	s_and_saveexec_b64 s[2:3], s[0:1]
	s_cbranch_execz .LBB79_115
; %bb.108:
	ds_read_b128 v[2:5], v9
	s_andn2_b64 vcc, exec, s[6:7]
	s_cbranch_vccnz .LBB79_110
; %bb.109:
	scratch_load_dwordx4 v[10:13], v8, off
	s_waitcnt vmcnt(0) lgkmcnt(0)
	v_mul_f64 v[6:7], v[4:5], v[12:13]
	v_mul_f64 v[12:13], v[2:3], v[12:13]
	v_fmac_f64_e32 v[12:13], v[4:5], v[10:11]
	v_fma_f64 v[2:3], v[2:3], v[10:11], -v[6:7]
	v_mov_b64_e32 v[4:5], v[12:13]
.LBB79_110:
	s_and_saveexec_b64 s[8:9], s[4:5]
	s_cbranch_execz .LBB79_114
; %bb.111:
	v_mov_b32_e32 v7, 0
	v_add_u32_e32 v6, -2, v0
	v_add_u32_e32 v7, 40, v7
	s_movk_i32 s10, 0x120
	s_mov_b64 s[4:5], 0
.LBB79_112:                             ; =>This Inner Loop Header: Depth=1
	v_add_u32_e32 v10, -8, v7
	scratch_load_dwordx4 v[10:13], v10, off
	v_mov_b32_e32 v61, s10
	ds_read_b128 v[62:65], v61
	v_add_u32_e32 v6, -1, v6
	s_add_i32 s10, s10, 16
	v_cmp_eq_u32_e32 vcc, 0, v6
	v_add_u32_e32 v7, 16, v7
	s_or_b64 s[4:5], vcc, s[4:5]
	s_waitcnt vmcnt(0) lgkmcnt(0)
	v_mul_f64 v[66:67], v[64:65], v[12:13]
	v_mul_f64 v[12:13], v[62:63], v[12:13]
	v_fma_f64 v[62:63], v[62:63], v[10:11], -v[66:67]
	v_fmac_f64_e32 v[12:13], v[64:65], v[10:11]
	v_add_f64 v[2:3], v[2:3], v[62:63]
	v_add_f64 v[4:5], v[4:5], v[12:13]
	s_andn2_b64 exec, exec, s[4:5]
	s_cbranch_execnz .LBB79_112
; %bb.113:
	s_or_b64 exec, exec, s[4:5]
.LBB79_114:
	s_or_b64 exec, exec, s[8:9]
	v_mov_b32_e32 v6, 0
	ds_read_b128 v[10:13], v6 offset:16
	s_waitcnt lgkmcnt(0)
	v_mul_f64 v[6:7], v[4:5], v[12:13]
	v_mul_f64 v[64:65], v[2:3], v[12:13]
	v_fma_f64 v[62:63], v[2:3], v[10:11], -v[6:7]
	v_fmac_f64_e32 v[64:65], v[4:5], v[10:11]
	scratch_store_dwordx4 off, v[62:65], off offset:16
.LBB79_115:
	s_or_b64 exec, exec, s[2:3]
	scratch_load_dwordx4 v[2:5], off, off
	v_cmp_ne_u32_e32 vcc, 0, v0
	s_mov_b64 s[2:3], 0
	s_mov_b64 s[4:5], 0
                                        ; implicit-def: $vgpr6_vgpr7
                                        ; implicit-def: $vgpr10
	s_waitcnt vmcnt(0)
	ds_write_b128 v9, v[2:5]
	s_waitcnt lgkmcnt(0)
	; wave barrier
	s_waitcnt lgkmcnt(0)
	s_and_saveexec_b64 s[8:9], vcc
	s_cbranch_execz .LBB79_123
; %bb.116:
	ds_read_b128 v[2:5], v9
	s_andn2_b64 vcc, exec, s[6:7]
	s_cbranch_vccnz .LBB79_118
; %bb.117:
	scratch_load_dwordx4 v[10:13], v8, off
	s_waitcnt vmcnt(0) lgkmcnt(0)
	v_mul_f64 v[6:7], v[4:5], v[12:13]
	v_mul_f64 v[12:13], v[2:3], v[12:13]
	v_fmac_f64_e32 v[12:13], v[4:5], v[10:11]
	v_fma_f64 v[2:3], v[2:3], v[10:11], -v[6:7]
	v_mov_b64_e32 v[4:5], v[12:13]
.LBB79_118:
	s_and_saveexec_b64 s[4:5], s[0:1]
	s_cbranch_execz .LBB79_122
; %bb.119:
	v_mov_b32_e32 v7, 0
	v_add_u32_e32 v6, -1, v0
	v_add_u32_e32 v7, 24, v7
	s_movk_i32 s10, 0x110
	s_mov_b64 s[0:1], 0
.LBB79_120:                             ; =>This Inner Loop Header: Depth=1
	v_add_u32_e32 v10, -8, v7
	scratch_load_dwordx4 v[10:13], v10, off
	v_mov_b32_e32 v61, s10
	ds_read_b128 v[62:65], v61
	v_add_u32_e32 v6, -1, v6
	s_add_i32 s10, s10, 16
	v_cmp_eq_u32_e32 vcc, 0, v6
	v_add_u32_e32 v7, 16, v7
	s_or_b64 s[0:1], vcc, s[0:1]
	s_waitcnt vmcnt(0) lgkmcnt(0)
	v_mul_f64 v[66:67], v[64:65], v[12:13]
	v_mul_f64 v[12:13], v[62:63], v[12:13]
	v_fma_f64 v[62:63], v[62:63], v[10:11], -v[66:67]
	v_fmac_f64_e32 v[12:13], v[64:65], v[10:11]
	v_add_f64 v[2:3], v[2:3], v[62:63]
	v_add_f64 v[4:5], v[4:5], v[12:13]
	s_andn2_b64 exec, exec, s[0:1]
	s_cbranch_execnz .LBB79_120
; %bb.121:
	s_or_b64 exec, exec, s[0:1]
.LBB79_122:
	s_or_b64 exec, exec, s[4:5]
	v_mov_b32_e32 v6, 0
	ds_read_b128 v[62:65], v6
	v_mov_b32_e32 v6, 0
	v_or_b32_e32 v10, 8, v6
	s_mov_b64 s[4:5], exec
	s_waitcnt lgkmcnt(0)
	v_mul_f64 v[12:13], v[4:5], v[64:65]
	v_mul_f64 v[6:7], v[2:3], v[64:65]
	v_fma_f64 v[2:3], v[2:3], v[62:63], -v[12:13]
	v_fmac_f64_e32 v[6:7], v[4:5], v[62:63]
	scratch_store_dwordx2 off, v[2:3], off
.LBB79_123:
	s_or_b64 exec, exec, s[8:9]
	s_and_b64 vcc, exec, s[2:3]
	s_cbranch_vccnz .LBB79_125
	s_branch .LBB79_240
.LBB79_124:
	s_mov_b64 s[4:5], 0
                                        ; implicit-def: $vgpr6_vgpr7
                                        ; implicit-def: $vgpr10
	s_cbranch_execz .LBB79_240
.LBB79_125:
	scratch_load_dwordx4 v[2:5], v56, off
	v_cndmask_b32_e64 v6, 0, 1, s[6:7]
	v_cmp_eq_u32_e64 s[2:3], 0, v0
	v_cmp_ne_u32_e64 s[0:1], 1, v6
	s_waitcnt vmcnt(0)
	ds_write_b128 v9, v[2:5]
	s_waitcnt lgkmcnt(0)
	; wave barrier
	s_waitcnt lgkmcnt(0)
	s_and_saveexec_b64 s[6:7], s[2:3]
	s_cbranch_execz .LBB79_129
; %bb.126:
	ds_read_b128 v[2:5], v9
	s_and_b64 vcc, exec, s[0:1]
	s_cbranch_vccnz .LBB79_128
; %bb.127:
	scratch_load_dwordx4 v[10:13], v8, off
	s_waitcnt vmcnt(0) lgkmcnt(0)
	v_mul_f64 v[6:7], v[4:5], v[12:13]
	v_mul_f64 v[12:13], v[2:3], v[12:13]
	v_fmac_f64_e32 v[12:13], v[4:5], v[10:11]
	v_fma_f64 v[2:3], v[2:3], v[10:11], -v[6:7]
	v_mov_b64_e32 v[4:5], v[12:13]
.LBB79_128:
	v_mov_b32_e32 v6, 0
	ds_read_b128 v[10:13], v6 offset:16
	s_waitcnt lgkmcnt(0)
	v_mul_f64 v[6:7], v[4:5], v[12:13]
	v_mul_f64 v[64:65], v[2:3], v[12:13]
	v_fma_f64 v[62:63], v[2:3], v[10:11], -v[6:7]
	v_fmac_f64_e32 v[64:65], v[4:5], v[10:11]
	scratch_store_dwordx4 off, v[62:65], off offset:16
.LBB79_129:
	s_or_b64 exec, exec, s[6:7]
	scratch_load_dwordx4 v[2:5], v58, off
	v_cmp_gt_u32_e32 vcc, 2, v0
	s_waitcnt vmcnt(0)
	ds_write_b128 v9, v[2:5]
	s_waitcnt lgkmcnt(0)
	; wave barrier
	s_waitcnt lgkmcnt(0)
	s_and_saveexec_b64 s[6:7], vcc
	s_cbranch_execz .LBB79_135
; %bb.130:
	ds_read_b128 v[2:5], v9
	s_and_b64 vcc, exec, s[0:1]
	s_cbranch_vccnz .LBB79_132
; %bb.131:
	scratch_load_dwordx4 v[10:13], v8, off
	s_waitcnt vmcnt(0) lgkmcnt(0)
	v_mul_f64 v[6:7], v[4:5], v[12:13]
	v_mul_f64 v[12:13], v[2:3], v[12:13]
	v_fmac_f64_e32 v[12:13], v[4:5], v[10:11]
	v_fma_f64 v[2:3], v[2:3], v[10:11], -v[6:7]
	v_mov_b64_e32 v[4:5], v[12:13]
.LBB79_132:
	s_and_saveexec_b64 s[8:9], s[2:3]
	s_cbranch_execz .LBB79_134
; %bb.133:
	scratch_load_dwordx4 v[10:13], v8, off offset:16
	ds_read_b128 v[62:65], v9 offset:16
	s_waitcnt vmcnt(0) lgkmcnt(0)
	v_mul_f64 v[6:7], v[64:65], v[12:13]
	v_mul_f64 v[12:13], v[62:63], v[12:13]
	v_fma_f64 v[6:7], v[62:63], v[10:11], -v[6:7]
	v_fmac_f64_e32 v[12:13], v[64:65], v[10:11]
	v_add_f64 v[2:3], v[2:3], v[6:7]
	v_add_f64 v[4:5], v[4:5], v[12:13]
.LBB79_134:
	s_or_b64 exec, exec, s[8:9]
	v_mov_b32_e32 v6, 0
	ds_read_b128 v[10:13], v6 offset:32
	s_waitcnt lgkmcnt(0)
	v_mul_f64 v[6:7], v[4:5], v[12:13]
	v_mul_f64 v[64:65], v[2:3], v[12:13]
	v_fma_f64 v[62:63], v[2:3], v[10:11], -v[6:7]
	v_fmac_f64_e32 v[64:65], v[4:5], v[10:11]
	scratch_store_dwordx4 off, v[62:65], off offset:32
.LBB79_135:
	s_or_b64 exec, exec, s[6:7]
	scratch_load_dwordx4 v[2:5], v57, off
	v_cmp_gt_u32_e32 vcc, 3, v0
	s_waitcnt vmcnt(0)
	ds_write_b128 v9, v[2:5]
	s_waitcnt lgkmcnt(0)
	; wave barrier
	s_waitcnt lgkmcnt(0)
	s_and_saveexec_b64 s[6:7], vcc
	s_cbranch_execz .LBB79_143
; %bb.136:
	ds_read_b128 v[2:5], v9
	s_and_b64 vcc, exec, s[0:1]
	s_cbranch_vccnz .LBB79_138
; %bb.137:
	scratch_load_dwordx4 v[10:13], v8, off
	s_waitcnt vmcnt(0) lgkmcnt(0)
	v_mul_f64 v[6:7], v[4:5], v[12:13]
	v_mul_f64 v[12:13], v[2:3], v[12:13]
	v_fmac_f64_e32 v[12:13], v[4:5], v[10:11]
	v_fma_f64 v[2:3], v[2:3], v[10:11], -v[6:7]
	v_mov_b64_e32 v[4:5], v[12:13]
.LBB79_138:
	v_cmp_ne_u32_e32 vcc, 2, v0
	s_and_saveexec_b64 s[8:9], vcc
	s_cbranch_execz .LBB79_142
; %bb.139:
	scratch_load_dwordx4 v[10:13], v8, off offset:16
	ds_read_b128 v[62:65], v9 offset:16
	s_waitcnt vmcnt(0) lgkmcnt(0)
	v_mul_f64 v[6:7], v[64:65], v[12:13]
	v_mul_f64 v[12:13], v[62:63], v[12:13]
	v_fma_f64 v[6:7], v[62:63], v[10:11], -v[6:7]
	v_fmac_f64_e32 v[12:13], v[64:65], v[10:11]
	v_add_f64 v[2:3], v[2:3], v[6:7]
	v_add_f64 v[4:5], v[4:5], v[12:13]
	s_and_saveexec_b64 s[10:11], s[2:3]
	s_cbranch_execz .LBB79_141
; %bb.140:
	scratch_load_dwordx4 v[10:13], off, off offset:32
	v_mov_b32_e32 v6, 0
	ds_read_b128 v[62:65], v6 offset:288
	s_waitcnt vmcnt(0) lgkmcnt(0)
	v_mul_f64 v[6:7], v[62:63], v[12:13]
	v_mul_f64 v[12:13], v[64:65], v[12:13]
	v_fmac_f64_e32 v[6:7], v[64:65], v[10:11]
	v_fma_f64 v[10:11], v[62:63], v[10:11], -v[12:13]
	v_add_f64 v[4:5], v[4:5], v[6:7]
	v_add_f64 v[2:3], v[2:3], v[10:11]
.LBB79_141:
	s_or_b64 exec, exec, s[10:11]
.LBB79_142:
	s_or_b64 exec, exec, s[8:9]
	v_mov_b32_e32 v6, 0
	ds_read_b128 v[10:13], v6 offset:48
	s_waitcnt lgkmcnt(0)
	v_mul_f64 v[6:7], v[4:5], v[12:13]
	v_mul_f64 v[64:65], v[2:3], v[12:13]
	v_fma_f64 v[62:63], v[2:3], v[10:11], -v[6:7]
	v_fmac_f64_e32 v[64:65], v[4:5], v[10:11]
	scratch_store_dwordx4 off, v[62:65], off offset:48
.LBB79_143:
	s_or_b64 exec, exec, s[6:7]
	scratch_load_dwordx4 v[2:5], v59, off
	v_cmp_gt_u32_e32 vcc, 4, v0
	s_waitcnt vmcnt(0)
	ds_write_b128 v9, v[2:5]
	s_waitcnt lgkmcnt(0)
	; wave barrier
	s_waitcnt lgkmcnt(0)
	s_and_saveexec_b64 s[2:3], vcc
	s_cbranch_execz .LBB79_151
; %bb.144:
	ds_read_b128 v[2:5], v9
	s_and_b64 vcc, exec, s[0:1]
	s_cbranch_vccnz .LBB79_146
; %bb.145:
	scratch_load_dwordx4 v[10:13], v8, off
	s_waitcnt vmcnt(0) lgkmcnt(0)
	v_mul_f64 v[6:7], v[4:5], v[12:13]
	v_mul_f64 v[12:13], v[2:3], v[12:13]
	v_fmac_f64_e32 v[12:13], v[4:5], v[10:11]
	v_fma_f64 v[2:3], v[2:3], v[10:11], -v[6:7]
	v_mov_b64_e32 v[4:5], v[12:13]
.LBB79_146:
	v_cmp_ne_u32_e32 vcc, 3, v0
	s_and_saveexec_b64 s[6:7], vcc
	s_cbranch_execz .LBB79_150
; %bb.147:
	v_mov_b32_e32 v7, 0
	v_add_u32_e32 v6, 0x110, v46
	v_add3_u32 v7, v46, v7, 24
	s_mov_b64 s[8:9], 0
	v_mov_b32_e32 v10, v0
.LBB79_148:                             ; =>This Inner Loop Header: Depth=1
	v_add_u32_e32 v11, -8, v7
	scratch_load_dwordx4 v[62:65], v11, off
	ds_read_b128 v[66:69], v6
	v_add_u32_e32 v10, 1, v10
	v_cmp_lt_u32_e32 vcc, 2, v10
	v_add_u32_e32 v6, 16, v6
	v_add_u32_e32 v7, 16, v7
	s_or_b64 s[8:9], vcc, s[8:9]
	s_waitcnt vmcnt(0) lgkmcnt(0)
	v_mul_f64 v[12:13], v[68:69], v[64:65]
	v_mul_f64 v[64:65], v[66:67], v[64:65]
	v_fma_f64 v[12:13], v[66:67], v[62:63], -v[12:13]
	v_fmac_f64_e32 v[64:65], v[68:69], v[62:63]
	v_add_f64 v[2:3], v[2:3], v[12:13]
	v_add_f64 v[4:5], v[4:5], v[64:65]
	s_andn2_b64 exec, exec, s[8:9]
	s_cbranch_execnz .LBB79_148
; %bb.149:
	s_or_b64 exec, exec, s[8:9]
.LBB79_150:
	s_or_b64 exec, exec, s[6:7]
	v_mov_b32_e32 v6, 0
	ds_read_b128 v[10:13], v6 offset:64
	s_waitcnt lgkmcnt(0)
	v_mul_f64 v[6:7], v[4:5], v[12:13]
	v_mul_f64 v[64:65], v[2:3], v[12:13]
	v_fma_f64 v[62:63], v[2:3], v[10:11], -v[6:7]
	v_fmac_f64_e32 v[64:65], v[4:5], v[10:11]
	scratch_store_dwordx4 off, v[62:65], off offset:64
.LBB79_151:
	s_or_b64 exec, exec, s[2:3]
	scratch_load_dwordx4 v[2:5], v60, off
	v_cmp_gt_u32_e32 vcc, 5, v0
	s_waitcnt vmcnt(0)
	ds_write_b128 v9, v[2:5]
	s_waitcnt lgkmcnt(0)
	; wave barrier
	s_waitcnt lgkmcnt(0)
	s_and_saveexec_b64 s[2:3], vcc
	s_cbranch_execz .LBB79_159
; %bb.152:
	ds_read_b128 v[2:5], v9
	s_and_b64 vcc, exec, s[0:1]
	s_cbranch_vccnz .LBB79_154
; %bb.153:
	scratch_load_dwordx4 v[10:13], v8, off
	s_waitcnt vmcnt(0) lgkmcnt(0)
	v_mul_f64 v[6:7], v[4:5], v[12:13]
	v_mul_f64 v[12:13], v[2:3], v[12:13]
	v_fmac_f64_e32 v[12:13], v[4:5], v[10:11]
	v_fma_f64 v[2:3], v[2:3], v[10:11], -v[6:7]
	v_mov_b64_e32 v[4:5], v[12:13]
.LBB79_154:
	v_cmp_ne_u32_e32 vcc, 4, v0
	s_and_saveexec_b64 s[6:7], vcc
	s_cbranch_execz .LBB79_158
; %bb.155:
	v_mov_b32_e32 v7, 0
	v_add_u32_e32 v6, 0x110, v46
	v_add3_u32 v7, v46, v7, 24
	s_mov_b64 s[8:9], 0
	v_mov_b32_e32 v10, v0
.LBB79_156:                             ; =>This Inner Loop Header: Depth=1
	v_add_u32_e32 v11, -8, v7
	scratch_load_dwordx4 v[62:65], v11, off
	ds_read_b128 v[66:69], v6
	v_add_u32_e32 v10, 1, v10
	v_cmp_lt_u32_e32 vcc, 3, v10
	v_add_u32_e32 v6, 16, v6
	v_add_u32_e32 v7, 16, v7
	s_or_b64 s[8:9], vcc, s[8:9]
	s_waitcnt vmcnt(0) lgkmcnt(0)
	v_mul_f64 v[12:13], v[68:69], v[64:65]
	v_mul_f64 v[64:65], v[66:67], v[64:65]
	v_fma_f64 v[12:13], v[66:67], v[62:63], -v[12:13]
	v_fmac_f64_e32 v[64:65], v[68:69], v[62:63]
	v_add_f64 v[2:3], v[2:3], v[12:13]
	v_add_f64 v[4:5], v[4:5], v[64:65]
	s_andn2_b64 exec, exec, s[8:9]
	s_cbranch_execnz .LBB79_156
; %bb.157:
	s_or_b64 exec, exec, s[8:9]
.LBB79_158:
	s_or_b64 exec, exec, s[6:7]
	v_mov_b32_e32 v6, 0
	ds_read_b128 v[10:13], v6 offset:80
	s_waitcnt lgkmcnt(0)
	v_mul_f64 v[6:7], v[4:5], v[12:13]
	v_mul_f64 v[64:65], v[2:3], v[12:13]
	v_fma_f64 v[62:63], v[2:3], v[10:11], -v[6:7]
	v_fmac_f64_e32 v[64:65], v[4:5], v[10:11]
	scratch_store_dwordx4 off, v[62:65], off offset:80
.LBB79_159:
	;; [unrolled: 63-line block ×10, first 2 shown]
	s_or_b64 exec, exec, s[2:3]
	scratch_load_dwordx4 v[2:5], v47, off
	v_cmp_gt_u32_e64 s[2:3], 14, v0
	s_waitcnt vmcnt(0)
	ds_write_b128 v9, v[2:5]
	s_waitcnt lgkmcnt(0)
	; wave barrier
	s_waitcnt lgkmcnt(0)
	s_and_saveexec_b64 s[6:7], s[2:3]
	s_cbranch_execz .LBB79_231
; %bb.224:
	ds_read_b128 v[2:5], v9
	s_and_b64 vcc, exec, s[0:1]
	s_cbranch_vccnz .LBB79_226
; %bb.225:
	scratch_load_dwordx4 v[10:13], v8, off
	s_waitcnt vmcnt(0) lgkmcnt(0)
	v_mul_f64 v[6:7], v[4:5], v[12:13]
	v_mul_f64 v[12:13], v[2:3], v[12:13]
	v_fmac_f64_e32 v[12:13], v[4:5], v[10:11]
	v_fma_f64 v[2:3], v[2:3], v[10:11], -v[6:7]
	v_mov_b64_e32 v[4:5], v[12:13]
.LBB79_226:
	v_cmp_ne_u32_e32 vcc, 13, v0
	s_and_saveexec_b64 s[8:9], vcc
	s_cbranch_execz .LBB79_230
; %bb.227:
	v_mov_b32_e32 v7, 0
	v_add_u32_e32 v6, 0x110, v46
	v_add3_u32 v7, v46, v7, 24
	s_mov_b64 s[10:11], 0
	v_mov_b32_e32 v10, v0
.LBB79_228:                             ; =>This Inner Loop Header: Depth=1
	v_add_u32_e32 v11, -8, v7
	scratch_load_dwordx4 v[62:65], v11, off
	ds_read_b128 v[66:69], v6
	v_add_u32_e32 v10, 1, v10
	v_cmp_lt_u32_e32 vcc, 12, v10
	v_add_u32_e32 v6, 16, v6
	v_add_u32_e32 v7, 16, v7
	s_or_b64 s[10:11], vcc, s[10:11]
	s_waitcnt vmcnt(0) lgkmcnt(0)
	v_mul_f64 v[12:13], v[68:69], v[64:65]
	v_mul_f64 v[64:65], v[66:67], v[64:65]
	v_fma_f64 v[12:13], v[66:67], v[62:63], -v[12:13]
	v_fmac_f64_e32 v[64:65], v[68:69], v[62:63]
	v_add_f64 v[2:3], v[2:3], v[12:13]
	v_add_f64 v[4:5], v[4:5], v[64:65]
	s_andn2_b64 exec, exec, s[10:11]
	s_cbranch_execnz .LBB79_228
; %bb.229:
	s_or_b64 exec, exec, s[10:11]
.LBB79_230:
	s_or_b64 exec, exec, s[8:9]
	v_mov_b32_e32 v6, 0
	ds_read_b128 v[10:13], v6 offset:224
	s_waitcnt lgkmcnt(0)
	v_mul_f64 v[6:7], v[4:5], v[12:13]
	v_mul_f64 v[64:65], v[2:3], v[12:13]
	v_fma_f64 v[62:63], v[2:3], v[10:11], -v[6:7]
	v_fmac_f64_e32 v[64:65], v[4:5], v[10:11]
	scratch_store_dwordx4 off, v[62:65], off offset:224
.LBB79_231:
	s_or_b64 exec, exec, s[6:7]
	scratch_load_dwordx4 v[2:5], v1, off
	v_cmp_ne_u32_e32 vcc, 15, v0
                                        ; implicit-def: $vgpr6_vgpr7
                                        ; implicit-def: $vgpr10
	s_waitcnt vmcnt(0)
	ds_write_b128 v9, v[2:5]
	s_waitcnt lgkmcnt(0)
	; wave barrier
	s_waitcnt lgkmcnt(0)
	s_and_saveexec_b64 s[6:7], vcc
	s_cbranch_execz .LBB79_239
; %bb.232:
	ds_read_b128 v[2:5], v9
	s_and_b64 vcc, exec, s[0:1]
	s_cbranch_vccnz .LBB79_234
; %bb.233:
	scratch_load_dwordx4 v[6:9], v8, off
	s_waitcnt vmcnt(0) lgkmcnt(0)
	v_mul_f64 v[10:11], v[4:5], v[8:9]
	v_mul_f64 v[8:9], v[2:3], v[8:9]
	v_fmac_f64_e32 v[8:9], v[4:5], v[6:7]
	v_fma_f64 v[2:3], v[2:3], v[6:7], -v[10:11]
	v_mov_b64_e32 v[4:5], v[8:9]
.LBB79_234:
	s_and_saveexec_b64 s[0:1], s[2:3]
	s_cbranch_execz .LBB79_238
; %bb.235:
	v_mov_b32_e32 v7, 0
	v_add_u32_e32 v6, 0x110, v46
	v_add3_u32 v7, v46, v7, 24
	s_mov_b64 s[2:3], 0
.LBB79_236:                             ; =>This Inner Loop Header: Depth=1
	v_add_u32_e32 v8, -8, v7
	scratch_load_dwordx4 v[8:11], v8, off
	ds_read_b128 v[62:65], v6
	v_add_u32_e32 v0, 1, v0
	v_cmp_lt_u32_e32 vcc, 13, v0
	v_add_u32_e32 v6, 16, v6
	v_add_u32_e32 v7, 16, v7
	s_or_b64 s[2:3], vcc, s[2:3]
	s_waitcnt vmcnt(0) lgkmcnt(0)
	v_mul_f64 v[12:13], v[64:65], v[10:11]
	v_mul_f64 v[10:11], v[62:63], v[10:11]
	v_fma_f64 v[12:13], v[62:63], v[8:9], -v[12:13]
	v_fmac_f64_e32 v[10:11], v[64:65], v[8:9]
	v_add_f64 v[2:3], v[2:3], v[12:13]
	v_add_f64 v[4:5], v[4:5], v[10:11]
	s_andn2_b64 exec, exec, s[2:3]
	s_cbranch_execnz .LBB79_236
; %bb.237:
	s_or_b64 exec, exec, s[2:3]
.LBB79_238:
	s_or_b64 exec, exec, s[0:1]
	v_mov_b32_e32 v0, 0
	ds_read_b128 v[62:65], v0 offset:240
	v_mov_b32_e32 v0, 0
	v_add_u32_e32 v10, 0xf8, v0
	s_or_b64 s[4:5], s[4:5], exec
	s_waitcnt lgkmcnt(0)
	v_mul_f64 v[8:9], v[4:5], v[64:65]
	v_mul_f64 v[6:7], v[2:3], v[64:65]
	v_fma_f64 v[2:3], v[2:3], v[62:63], -v[8:9]
	v_fmac_f64_e32 v[6:7], v[4:5], v[62:63]
	scratch_store_dwordx2 off, v[2:3], off offset:240
.LBB79_239:
	s_or_b64 exec, exec, s[6:7]
.LBB79_240:
	s_and_saveexec_b64 s[0:1], s[4:5]
	s_cbranch_execz .LBB79_242
; %bb.241:
	scratch_store_dwordx2 v10, v[6:7], off
.LBB79_242:
	s_or_b64 exec, exec, s[0:1]
	scratch_load_dwordx4 v[2:5], off, off
	scratch_load_dwordx4 v[6:9], v56, off
	scratch_load_dwordx4 v[10:13], v58, off
	;; [unrolled: 1-line block ×5, first 2 shown]
	s_waitcnt vmcnt(5)
	global_store_dwordx4 v[18:19], v[2:5], off
	scratch_load_dwordx4 v[2:5], v54, off
	s_nop 0
	scratch_load_dwordx4 v[56:59], v55, off
	s_waitcnt vmcnt(7)
	global_store_dwordx4 v[14:15], v[6:9], off
	scratch_load_dwordx4 v[6:9], v52, off
	s_nop 0
	scratch_load_dwordx4 v[74:77], v53, off
	s_waitcnt vmcnt(9)
	global_store_dwordx4 v[16:17], v[10:13], off
	scratch_load_dwordx4 v[10:13], v51, off
	s_nop 0
	scratch_load_dwordx4 v[14:17], v50, off
	s_waitcnt vmcnt(11)
	global_store_dwordx4 v[20:21], v[62:65], off
	scratch_load_dwordx4 v[18:21], v49, off
	s_nop 0
	scratch_load_dwordx4 v[50:53], v48, off
	s_waitcnt vmcnt(13)
	global_store_dwordx4 v[22:23], v[66:69], off
	scratch_load_dwordx4 v[60:63], v47, off
	s_nop 0
	scratch_load_dwordx4 v[64:67], v1, off
	s_waitcnt vmcnt(15)
	global_store_dwordx4 v[24:25], v[70:73], off
	s_waitcnt vmcnt(14)
	global_store_dwordx4 v[26:27], v[2:5], off
	;; [unrolled: 2-line block ×11, first 2 shown]
.LBB79_243:
	s_endpgm
	.section	.rodata,"a",@progbits
	.p2align	6, 0x0
	.amdhsa_kernel _ZN9rocsolver6v33100L18trti2_kernel_smallILi16E19rocblas_complex_numIdEPKPS3_EEv13rocblas_fill_17rocblas_diagonal_T1_iil
		.amdhsa_group_segment_fixed_size 512
		.amdhsa_private_segment_fixed_size 272
		.amdhsa_kernarg_size 32
		.amdhsa_user_sgpr_count 2
		.amdhsa_user_sgpr_dispatch_ptr 0
		.amdhsa_user_sgpr_queue_ptr 0
		.amdhsa_user_sgpr_kernarg_segment_ptr 1
		.amdhsa_user_sgpr_dispatch_id 0
		.amdhsa_user_sgpr_kernarg_preload_length 0
		.amdhsa_user_sgpr_kernarg_preload_offset 0
		.amdhsa_user_sgpr_private_segment_size 0
		.amdhsa_uses_dynamic_stack 0
		.amdhsa_enable_private_segment 1
		.amdhsa_system_sgpr_workgroup_id_x 1
		.amdhsa_system_sgpr_workgroup_id_y 0
		.amdhsa_system_sgpr_workgroup_id_z 0
		.amdhsa_system_sgpr_workgroup_info 0
		.amdhsa_system_vgpr_workitem_id 0
		.amdhsa_next_free_vgpr 78
		.amdhsa_next_free_sgpr 12
		.amdhsa_accum_offset 80
		.amdhsa_reserve_vcc 1
		.amdhsa_float_round_mode_32 0
		.amdhsa_float_round_mode_16_64 0
		.amdhsa_float_denorm_mode_32 3
		.amdhsa_float_denorm_mode_16_64 3
		.amdhsa_dx10_clamp 1
		.amdhsa_ieee_mode 1
		.amdhsa_fp16_overflow 0
		.amdhsa_tg_split 0
		.amdhsa_exception_fp_ieee_invalid_op 0
		.amdhsa_exception_fp_denorm_src 0
		.amdhsa_exception_fp_ieee_div_zero 0
		.amdhsa_exception_fp_ieee_overflow 0
		.amdhsa_exception_fp_ieee_underflow 0
		.amdhsa_exception_fp_ieee_inexact 0
		.amdhsa_exception_int_div_zero 0
	.end_amdhsa_kernel
	.section	.text._ZN9rocsolver6v33100L18trti2_kernel_smallILi16E19rocblas_complex_numIdEPKPS3_EEv13rocblas_fill_17rocblas_diagonal_T1_iil,"axG",@progbits,_ZN9rocsolver6v33100L18trti2_kernel_smallILi16E19rocblas_complex_numIdEPKPS3_EEv13rocblas_fill_17rocblas_diagonal_T1_iil,comdat
.Lfunc_end79:
	.size	_ZN9rocsolver6v33100L18trti2_kernel_smallILi16E19rocblas_complex_numIdEPKPS3_EEv13rocblas_fill_17rocblas_diagonal_T1_iil, .Lfunc_end79-_ZN9rocsolver6v33100L18trti2_kernel_smallILi16E19rocblas_complex_numIdEPKPS3_EEv13rocblas_fill_17rocblas_diagonal_T1_iil
                                        ; -- End function
	.section	.AMDGPU.csdata,"",@progbits
; Kernel info:
; codeLenInByte = 10344
; NumSgprs: 18
; NumVgprs: 78
; NumAgprs: 0
; TotalNumVgprs: 78
; ScratchSize: 272
; MemoryBound: 0
; FloatMode: 240
; IeeeMode: 1
; LDSByteSize: 512 bytes/workgroup (compile time only)
; SGPRBlocks: 2
; VGPRBlocks: 9
; NumSGPRsForWavesPerEU: 18
; NumVGPRsForWavesPerEU: 78
; AccumOffset: 80
; Occupancy: 6
; WaveLimiterHint : 1
; COMPUTE_PGM_RSRC2:SCRATCH_EN: 1
; COMPUTE_PGM_RSRC2:USER_SGPR: 2
; COMPUTE_PGM_RSRC2:TRAP_HANDLER: 0
; COMPUTE_PGM_RSRC2:TGID_X_EN: 1
; COMPUTE_PGM_RSRC2:TGID_Y_EN: 0
; COMPUTE_PGM_RSRC2:TGID_Z_EN: 0
; COMPUTE_PGM_RSRC2:TIDIG_COMP_CNT: 0
; COMPUTE_PGM_RSRC3_GFX90A:ACCUM_OFFSET: 19
; COMPUTE_PGM_RSRC3_GFX90A:TG_SPLIT: 0
	.section	.text._ZN9rocsolver6v33100L18trti2_kernel_smallILi17E19rocblas_complex_numIdEPKPS3_EEv13rocblas_fill_17rocblas_diagonal_T1_iil,"axG",@progbits,_ZN9rocsolver6v33100L18trti2_kernel_smallILi17E19rocblas_complex_numIdEPKPS3_EEv13rocblas_fill_17rocblas_diagonal_T1_iil,comdat
	.globl	_ZN9rocsolver6v33100L18trti2_kernel_smallILi17E19rocblas_complex_numIdEPKPS3_EEv13rocblas_fill_17rocblas_diagonal_T1_iil ; -- Begin function _ZN9rocsolver6v33100L18trti2_kernel_smallILi17E19rocblas_complex_numIdEPKPS3_EEv13rocblas_fill_17rocblas_diagonal_T1_iil
	.p2align	8
	.type	_ZN9rocsolver6v33100L18trti2_kernel_smallILi17E19rocblas_complex_numIdEPKPS3_EEv13rocblas_fill_17rocblas_diagonal_T1_iil,@function
_ZN9rocsolver6v33100L18trti2_kernel_smallILi17E19rocblas_complex_numIdEPKPS3_EEv13rocblas_fill_17rocblas_diagonal_T1_iil: ; @_ZN9rocsolver6v33100L18trti2_kernel_smallILi17E19rocblas_complex_numIdEPKPS3_EEv13rocblas_fill_17rocblas_diagonal_T1_iil
; %bb.0:
	v_cmp_gt_u32_e32 vcc, 17, v0
	s_and_saveexec_b64 s[4:5], vcc
	s_cbranch_execz .LBB80_259
; %bb.1:
	s_load_dwordx2 s[8:9], s[0:1], 0x10
	s_load_dwordx4 s[4:7], s[0:1], 0x0
	s_ashr_i32 s3, s2, 31
	s_lshl_b64 s[0:1], s[2:3], 3
	v_lshlrev_b32_e32 v48, 4, v0
	s_waitcnt lgkmcnt(0)
	s_ashr_i32 s3, s8, 31
	s_add_u32 s0, s6, s0
	s_addc_u32 s1, s7, s1
	s_load_dwordx2 s[0:1], s[0:1], 0x0
	s_mov_b32 s2, s8
	s_lshl_b64 s[2:3], s[2:3], 4
	v_mov_b32_e32 v49, 0
	s_waitcnt lgkmcnt(0)
	s_add_u32 s0, s0, s2
	s_addc_u32 s1, s1, s3
	v_lshl_add_u64 v[16:17], s[0:1], 0, v[48:49]
	s_ashr_i32 s3, s9, 31
	s_mov_b32 s2, s9
	v_lshl_add_u64 v[14:15], s[2:3], 4, v[16:17]
	s_add_i32 s2, s9, s9
	v_add_u32_e32 v20, s2, v0
	v_add_u32_e32 v22, s9, v20
	;; [unrolled: 1-line block ×4, first 2 shown]
	v_ashrrev_i32_e32 v21, 31, v20
	v_ashrrev_i32_e32 v23, 31, v22
	;; [unrolled: 1-line block ×4, first 2 shown]
	global_load_dwordx4 v[2:5], v48, s[0:1]
	v_lshl_add_u64 v[18:19], v[20:21], 4, s[0:1]
	global_load_dwordx4 v[6:9], v[14:15], off
	global_load_dwordx4 v[10:13], v[18:19], off
	v_lshl_add_u64 v[20:21], v[22:23], 4, s[0:1]
	v_lshl_add_u64 v[22:23], v[24:25], 4, s[0:1]
	;; [unrolled: 1-line block ×3, first 2 shown]
	v_add_u32_e32 v26, s9, v26
	v_add_u32_e32 v30, s9, v26
	v_ashrrev_i32_e32 v27, 31, v26
	v_ashrrev_i32_e32 v31, 31, v30
	global_load_dwordx4 v[44:47], v[20:21], off
	global_load_dwordx4 v[50:53], v[22:23], off
	v_lshl_add_u64 v[26:27], v[26:27], 4, s[0:1]
	v_lshl_add_u64 v[28:29], v[30:31], 4, s[0:1]
	global_load_dwordx4 v[54:57], v[24:25], off
	global_load_dwordx4 v[58:61], v[26:27], off
	;; [unrolled: 1-line block ×3, first 2 shown]
	v_add_u32_e32 v30, s9, v30
	v_add_u32_e32 v32, s9, v30
	;; [unrolled: 1-line block ×5, first 2 shown]
	v_ashrrev_i32_e32 v31, 31, v30
	v_ashrrev_i32_e32 v33, 31, v32
	v_add_u32_e32 v40, s9, v38
	v_lshl_add_u64 v[30:31], v[30:31], 4, s[0:1]
	global_load_dwordx4 v[66:69], v[30:31], off
	v_lshl_add_u64 v[32:33], v[32:33], 4, s[0:1]
	v_ashrrev_i32_e32 v35, 31, v34
	v_add_u32_e32 v42, s9, v40
	v_lshl_add_u64 v[34:35], v[34:35], 4, s[0:1]
	global_load_dwordx4 v[70:73], v[32:33], off
	global_load_dwordx4 v[74:77], v[34:35], off
	v_ashrrev_i32_e32 v37, 31, v36
	v_lshl_add_u64 v[36:37], v[36:37], 4, s[0:1]
	v_ashrrev_i32_e32 v39, 31, v38
	v_ashrrev_i32_e32 v41, 31, v40
	v_lshl_add_u64 v[38:39], v[38:39], 4, s[0:1]
	v_lshl_add_u64 v[40:41], v[40:41], 4, s[0:1]
	v_ashrrev_i32_e32 v43, 31, v42
	s_cmpk_lg_i32 s5, 0x84
	s_cselect_b64 s[6:7], -1, 0
	s_cmpk_eq_i32 s5, 0x84
	s_waitcnt vmcnt(10)
	scratch_store_dwordx4 off, v[2:5], off
	s_waitcnt vmcnt(10)
	scratch_store_dwordx4 off, v[6:9], off offset:16
	s_waitcnt vmcnt(10)
	scratch_store_dwordx4 off, v[10:13], off offset:32
	global_load_dwordx4 v[2:5], v[36:37], off
	global_load_dwordx4 v[6:9], v[38:39], off
	v_add_u32_e32 v10, s9, v42
	v_add_u32_e32 v12, s9, v10
	v_ashrrev_i32_e32 v11, 31, v10
	v_ashrrev_i32_e32 v13, 31, v12
	v_lshl_add_u64 v[42:43], v[42:43], 4, s[0:1]
	s_waitcnt vmcnt(12)
	scratch_store_dwordx4 off, v[44:47], off offset:48
	s_waitcnt vmcnt(12)
	scratch_store_dwordx4 off, v[50:53], off offset:64
	;; [unrolled: 2-line block ×3, first 2 shown]
	v_lshl_add_u64 v[44:45], v[10:11], 4, s[0:1]
	v_lshl_add_u64 v[46:47], v[12:13], 4, s[0:1]
	global_load_dwordx4 v[50:53], v[40:41], off
	global_load_dwordx4 v[54:57], v[42:43], off
	v_mov_b32_e32 v12, 0
	s_waitcnt vmcnt(14)
	scratch_store_dwordx4 off, v[58:61], off offset:96
	global_load_dwordx4 v[58:61], v[44:45], off
	s_waitcnt vmcnt(15)
	scratch_store_dwordx4 off, v[62:65], off offset:112
	global_load_dwordx4 v[62:65], v[46:47], off
	s_waitcnt vmcnt(16)
	scratch_store_dwordx4 off, v[66:69], off offset:128
	s_waitcnt vmcnt(16)
	scratch_store_dwordx4 off, v[70:73], off offset:144
	;; [unrolled: 2-line block ×9, first 2 shown]
	s_cbranch_scc1 .LBB80_7
; %bb.2:
	scratch_load_dwordx4 v[2:5], v48, off
                                        ; implicit-def: $vgpr10_vgpr11
	s_waitcnt vmcnt(0)
	v_xor_b32_e32 v1, 0x80000000, v3
	v_cmp_gt_f64_e32 vcc, 0, v[2:3]
	v_xor_b32_e32 v8, 0x80000000, v5
	v_mov_b32_e32 v6, v2
	v_cndmask_b32_e32 v7, v3, v1, vcc
	v_cmp_gt_f64_e32 vcc, 0, v[4:5]
	s_nop 1
	v_cndmask_b32_e32 v9, v5, v8, vcc
	v_mov_b32_e32 v8, v4
	v_cmp_ngt_f64_e32 vcc, v[6:7], v[8:9]
                                        ; implicit-def: $vgpr6_vgpr7
	s_and_saveexec_b64 s[0:1], vcc
	s_xor_b64 s[0:1], exec, s[0:1]
	s_cbranch_execz .LBB80_4
; %bb.3:
	v_div_scale_f64 v[6:7], s[2:3], v[4:5], v[4:5], v[2:3]
	v_rcp_f64_e32 v[8:9], v[6:7]
	v_div_scale_f64 v[10:11], vcc, v[2:3], v[4:5], v[2:3]
	v_fma_f64 v[50:51], -v[6:7], v[8:9], 1.0
	v_fmac_f64_e32 v[8:9], v[8:9], v[50:51]
	v_fma_f64 v[50:51], -v[6:7], v[8:9], 1.0
	v_fmac_f64_e32 v[8:9], v[8:9], v[50:51]
	v_mul_f64 v[50:51], v[10:11], v[8:9]
	v_fma_f64 v[6:7], -v[6:7], v[50:51], v[10:11]
	v_div_fmas_f64 v[6:7], v[6:7], v[8:9], v[50:51]
	v_div_fixup_f64 v[6:7], v[6:7], v[4:5], v[2:3]
	v_fmac_f64_e32 v[4:5], v[2:3], v[6:7]
	v_div_scale_f64 v[2:3], s[2:3], v[4:5], v[4:5], 1.0
	v_rcp_f64_e32 v[8:9], v[2:3]
	s_nop 0
	v_fma_f64 v[10:11], -v[2:3], v[8:9], 1.0
	v_fmac_f64_e32 v[8:9], v[8:9], v[10:11]
	v_fma_f64 v[10:11], -v[2:3], v[8:9], 1.0
	v_fmac_f64_e32 v[8:9], v[8:9], v[10:11]
	v_div_scale_f64 v[10:11], vcc, 1.0, v[4:5], 1.0
	v_mul_f64 v[50:51], v[10:11], v[8:9]
	v_fma_f64 v[2:3], -v[2:3], v[50:51], v[10:11]
	s_nop 1
	v_div_fmas_f64 v[2:3], v[2:3], v[8:9], v[50:51]
	v_div_fixup_f64 v[8:9], v[2:3], v[4:5], 1.0
	v_mul_f64 v[6:7], v[6:7], v[8:9]
	v_xor_b32_e32 v9, 0x80000000, v9
	v_xor_b32_e32 v11, 0x80000000, v7
	v_mov_b32_e32 v10, v6
                                        ; implicit-def: $vgpr2_vgpr3
.LBB80_4:
	s_or_saveexec_b64 s[0:1], s[0:1]
	v_add_u32_e32 v1, 0, v48
	s_xor_b64 exec, exec, s[0:1]
	s_cbranch_execz .LBB80_6
; %bb.5:
	v_div_scale_f64 v[6:7], s[2:3], v[2:3], v[2:3], v[4:5]
	v_rcp_f64_e32 v[8:9], v[6:7]
	v_div_scale_f64 v[10:11], vcc, v[4:5], v[2:3], v[4:5]
	v_fma_f64 v[50:51], -v[6:7], v[8:9], 1.0
	v_fmac_f64_e32 v[8:9], v[8:9], v[50:51]
	v_fma_f64 v[50:51], -v[6:7], v[8:9], 1.0
	v_fmac_f64_e32 v[8:9], v[8:9], v[50:51]
	v_mul_f64 v[50:51], v[10:11], v[8:9]
	v_fma_f64 v[6:7], -v[6:7], v[50:51], v[10:11]
	v_div_fmas_f64 v[6:7], v[6:7], v[8:9], v[50:51]
	v_div_fixup_f64 v[8:9], v[6:7], v[2:3], v[4:5]
	v_fmac_f64_e32 v[2:3], v[4:5], v[8:9]
	v_div_scale_f64 v[4:5], s[2:3], v[2:3], v[2:3], 1.0
	v_rcp_f64_e32 v[6:7], v[4:5]
	s_nop 0
	v_fma_f64 v[10:11], -v[4:5], v[6:7], 1.0
	v_fmac_f64_e32 v[6:7], v[6:7], v[10:11]
	v_fma_f64 v[10:11], -v[4:5], v[6:7], 1.0
	v_fmac_f64_e32 v[6:7], v[6:7], v[10:11]
	v_div_scale_f64 v[10:11], vcc, 1.0, v[2:3], 1.0
	v_mul_f64 v[50:51], v[10:11], v[6:7]
	v_fma_f64 v[4:5], -v[4:5], v[50:51], v[10:11]
	s_nop 1
	v_div_fmas_f64 v[4:5], v[4:5], v[6:7], v[50:51]
	v_div_fixup_f64 v[6:7], v[4:5], v[2:3], 1.0
	v_xor_b32_e32 v11, 0x80000000, v7
	v_mov_b32_e32 v10, v6
	v_mul_f64 v[8:9], v[8:9], -v[6:7]
.LBB80_6:
	s_or_b64 exec, exec, s[0:1]
	scratch_store_dwordx4 v1, v[6:9], off
	s_nop 1
	v_xor_b32_e32 v9, 0x80000000, v9
	s_branch .LBB80_8
.LBB80_7:
	v_mov_b64_e32 v[8:9], 0
	v_mov_b64_e32 v[10:11], -1.0
.LBB80_8:
	v_add_u32_e32 v58, 16, v12
	v_add_u32_e32 v61, 32, v12
	;; [unrolled: 1-line block ×16, first 2 shown]
	v_mov_b32_e32 v12, v8
	v_mov_b32_e32 v13, v9
	s_cmpk_eq_i32 s4, 0x79
	v_add_u32_e32 v9, 0x110, v48
	v_add_u32_e32 v8, 0, v48
	ds_write_b128 v48, v[10:13]
	s_cbranch_scc1 .LBB80_132
; %bb.9:
	scratch_load_dwordx4 v[2:5], v1, off
	v_cmp_eq_u32_e64 s[0:1], 16, v0
	s_waitcnt vmcnt(0)
	ds_write_b128 v9, v[2:5]
	s_waitcnt lgkmcnt(0)
	; wave barrier
	s_waitcnt lgkmcnt(0)
	s_and_saveexec_b64 s[2:3], s[0:1]
	s_cbranch_execz .LBB80_13
; %bb.10:
	ds_read_b128 v[2:5], v9
	s_andn2_b64 vcc, exec, s[6:7]
	s_cbranch_vccnz .LBB80_12
; %bb.11:
	scratch_load_dwordx4 v[10:13], v8, off
	s_waitcnt vmcnt(0) lgkmcnt(0)
	v_mul_f64 v[6:7], v[4:5], v[12:13]
	v_mul_f64 v[12:13], v[2:3], v[12:13]
	v_fmac_f64_e32 v[12:13], v[4:5], v[10:11]
	v_fma_f64 v[2:3], v[2:3], v[10:11], -v[6:7]
	v_mov_b64_e32 v[4:5], v[12:13]
.LBB80_12:
	v_mov_b32_e32 v6, 0
	ds_read_b128 v[10:13], v6 offset:240
	s_waitcnt lgkmcnt(0)
	v_mul_f64 v[6:7], v[4:5], v[12:13]
	v_mul_f64 v[66:67], v[2:3], v[12:13]
	v_fma_f64 v[64:65], v[2:3], v[10:11], -v[6:7]
	v_fmac_f64_e32 v[66:67], v[4:5], v[10:11]
	scratch_store_dwordx4 off, v[64:67], off offset:240
.LBB80_13:
	s_or_b64 exec, exec, s[2:3]
	scratch_load_dwordx4 v[2:5], v51, off
	v_cmp_lt_u32_e64 s[2:3], 14, v0
	s_waitcnt vmcnt(0)
	ds_write_b128 v9, v[2:5]
	s_waitcnt lgkmcnt(0)
	; wave barrier
	s_waitcnt lgkmcnt(0)
	s_and_saveexec_b64 s[4:5], s[2:3]
	s_cbranch_execz .LBB80_19
; %bb.14:
	ds_read_b128 v[2:5], v9
	s_andn2_b64 vcc, exec, s[6:7]
	s_cbranch_vccnz .LBB80_16
; %bb.15:
	scratch_load_dwordx4 v[10:13], v8, off
	s_waitcnt vmcnt(0) lgkmcnt(0)
	v_mul_f64 v[6:7], v[4:5], v[12:13]
	v_mul_f64 v[12:13], v[2:3], v[12:13]
	v_fmac_f64_e32 v[12:13], v[4:5], v[10:11]
	v_fma_f64 v[2:3], v[2:3], v[10:11], -v[6:7]
	v_mov_b64_e32 v[4:5], v[12:13]
.LBB80_16:
	s_and_saveexec_b64 s[8:9], s[0:1]
	s_cbranch_execz .LBB80_18
; %bb.17:
	scratch_load_dwordx4 v[10:13], off, off offset:240
	v_mov_b32_e32 v6, 0
	ds_read_b128 v[64:67], v6 offset:512
	s_waitcnt vmcnt(0) lgkmcnt(0)
	v_mul_f64 v[6:7], v[64:65], v[12:13]
	v_mul_f64 v[12:13], v[66:67], v[12:13]
	v_fmac_f64_e32 v[6:7], v[66:67], v[10:11]
	v_fma_f64 v[10:11], v[64:65], v[10:11], -v[12:13]
	v_add_f64 v[4:5], v[4:5], v[6:7]
	v_add_f64 v[2:3], v[2:3], v[10:11]
.LBB80_18:
	s_or_b64 exec, exec, s[8:9]
	v_mov_b32_e32 v6, 0
	ds_read_b128 v[10:13], v6 offset:224
	s_waitcnt lgkmcnt(0)
	v_mul_f64 v[6:7], v[4:5], v[12:13]
	v_mul_f64 v[66:67], v[2:3], v[12:13]
	v_fma_f64 v[64:65], v[2:3], v[10:11], -v[6:7]
	v_fmac_f64_e32 v[66:67], v[4:5], v[10:11]
	scratch_store_dwordx4 off, v[64:67], off offset:224
.LBB80_19:
	s_or_b64 exec, exec, s[4:5]
	scratch_load_dwordx4 v[2:5], v50, off
	v_cmp_lt_u32_e64 s[0:1], 13, v0
	s_waitcnt vmcnt(0)
	ds_write_b128 v9, v[2:5]
	s_waitcnt lgkmcnt(0)
	; wave barrier
	s_waitcnt lgkmcnt(0)
	s_and_saveexec_b64 s[4:5], s[0:1]
	s_cbranch_execz .LBB80_27
; %bb.20:
	ds_read_b128 v[2:5], v9
	s_andn2_b64 vcc, exec, s[6:7]
	s_cbranch_vccnz .LBB80_22
; %bb.21:
	scratch_load_dwordx4 v[10:13], v8, off
	s_waitcnt vmcnt(0) lgkmcnt(0)
	v_mul_f64 v[6:7], v[4:5], v[12:13]
	v_mul_f64 v[12:13], v[2:3], v[12:13]
	v_fmac_f64_e32 v[12:13], v[4:5], v[10:11]
	v_fma_f64 v[2:3], v[2:3], v[10:11], -v[6:7]
	v_mov_b64_e32 v[4:5], v[12:13]
.LBB80_22:
	s_and_saveexec_b64 s[8:9], s[2:3]
	s_cbranch_execz .LBB80_26
; %bb.23:
	v_mov_b32_e32 v7, 0
	v_add_u32_e32 v6, -14, v0
	v_add_u32_e32 v7, 0xe8, v7
	s_movk_i32 s10, 0x1f0
	s_mov_b64 s[2:3], 0
.LBB80_24:                              ; =>This Inner Loop Header: Depth=1
	v_add_u32_e32 v10, -8, v7
	scratch_load_dwordx4 v[10:13], v10, off
	v_mov_b32_e32 v64, s10
	ds_read_b128 v[64:67], v64
	v_add_u32_e32 v6, -1, v6
	s_add_i32 s10, s10, 16
	v_cmp_eq_u32_e32 vcc, 0, v6
	v_add_u32_e32 v7, 16, v7
	s_or_b64 s[2:3], vcc, s[2:3]
	s_waitcnt vmcnt(0) lgkmcnt(0)
	v_mul_f64 v[68:69], v[66:67], v[12:13]
	v_mul_f64 v[12:13], v[64:65], v[12:13]
	v_fma_f64 v[64:65], v[64:65], v[10:11], -v[68:69]
	v_fmac_f64_e32 v[12:13], v[66:67], v[10:11]
	v_add_f64 v[2:3], v[2:3], v[64:65]
	v_add_f64 v[4:5], v[4:5], v[12:13]
	s_andn2_b64 exec, exec, s[2:3]
	s_cbranch_execnz .LBB80_24
; %bb.25:
	s_or_b64 exec, exec, s[2:3]
.LBB80_26:
	s_or_b64 exec, exec, s[8:9]
	v_mov_b32_e32 v6, 0
	ds_read_b128 v[10:13], v6 offset:208
	s_waitcnt lgkmcnt(0)
	v_mul_f64 v[6:7], v[4:5], v[12:13]
	v_mul_f64 v[66:67], v[2:3], v[12:13]
	v_fma_f64 v[64:65], v[2:3], v[10:11], -v[6:7]
	v_fmac_f64_e32 v[66:67], v[4:5], v[10:11]
	scratch_store_dwordx4 off, v[64:67], off offset:208
.LBB80_27:
	s_or_b64 exec, exec, s[4:5]
	scratch_load_dwordx4 v[2:5], v52, off
	v_cmp_lt_u32_e64 s[2:3], 12, v0
	s_waitcnt vmcnt(0)
	ds_write_b128 v9, v[2:5]
	s_waitcnt lgkmcnt(0)
	; wave barrier
	s_waitcnt lgkmcnt(0)
	s_and_saveexec_b64 s[4:5], s[2:3]
	s_cbranch_execz .LBB80_35
; %bb.28:
	ds_read_b128 v[2:5], v9
	s_andn2_b64 vcc, exec, s[6:7]
	s_cbranch_vccnz .LBB80_30
; %bb.29:
	scratch_load_dwordx4 v[10:13], v8, off
	s_waitcnt vmcnt(0) lgkmcnt(0)
	v_mul_f64 v[6:7], v[4:5], v[12:13]
	v_mul_f64 v[12:13], v[2:3], v[12:13]
	v_fmac_f64_e32 v[12:13], v[4:5], v[10:11]
	v_fma_f64 v[2:3], v[2:3], v[10:11], -v[6:7]
	v_mov_b64_e32 v[4:5], v[12:13]
.LBB80_30:
	s_and_saveexec_b64 s[8:9], s[0:1]
	s_cbranch_execz .LBB80_34
; %bb.31:
	v_mov_b32_e32 v7, 0
	v_add_u32_e32 v6, -13, v0
	v_add_u32_e32 v7, 0xd8, v7
	s_movk_i32 s10, 0x1e0
	s_mov_b64 s[0:1], 0
.LBB80_32:                              ; =>This Inner Loop Header: Depth=1
	v_add_u32_e32 v10, -8, v7
	scratch_load_dwordx4 v[10:13], v10, off
	v_mov_b32_e32 v64, s10
	ds_read_b128 v[64:67], v64
	v_add_u32_e32 v6, -1, v6
	s_add_i32 s10, s10, 16
	v_cmp_eq_u32_e32 vcc, 0, v6
	v_add_u32_e32 v7, 16, v7
	s_or_b64 s[0:1], vcc, s[0:1]
	s_waitcnt vmcnt(0) lgkmcnt(0)
	v_mul_f64 v[68:69], v[66:67], v[12:13]
	v_mul_f64 v[12:13], v[64:65], v[12:13]
	v_fma_f64 v[64:65], v[64:65], v[10:11], -v[68:69]
	v_fmac_f64_e32 v[12:13], v[66:67], v[10:11]
	v_add_f64 v[2:3], v[2:3], v[64:65]
	v_add_f64 v[4:5], v[4:5], v[12:13]
	s_andn2_b64 exec, exec, s[0:1]
	s_cbranch_execnz .LBB80_32
; %bb.33:
	s_or_b64 exec, exec, s[0:1]
.LBB80_34:
	s_or_b64 exec, exec, s[8:9]
	v_mov_b32_e32 v6, 0
	ds_read_b128 v[10:13], v6 offset:192
	s_waitcnt lgkmcnt(0)
	v_mul_f64 v[6:7], v[4:5], v[12:13]
	v_mul_f64 v[66:67], v[2:3], v[12:13]
	v_fma_f64 v[64:65], v[2:3], v[10:11], -v[6:7]
	v_fmac_f64_e32 v[66:67], v[4:5], v[10:11]
	scratch_store_dwordx4 off, v[64:67], off offset:192
.LBB80_35:
	;; [unrolled: 63-line block ×10, first 2 shown]
	s_or_b64 exec, exec, s[4:5]
	scratch_load_dwordx4 v[2:5], v59, off
	v_cmp_lt_u32_e64 s[0:1], 3, v0
	s_waitcnt vmcnt(0)
	ds_write_b128 v9, v[2:5]
	s_waitcnt lgkmcnt(0)
	; wave barrier
	s_waitcnt lgkmcnt(0)
	s_and_saveexec_b64 s[4:5], s[0:1]
	s_cbranch_execz .LBB80_107
; %bb.100:
	ds_read_b128 v[2:5], v9
	s_andn2_b64 vcc, exec, s[6:7]
	s_cbranch_vccnz .LBB80_102
; %bb.101:
	scratch_load_dwordx4 v[10:13], v8, off
	s_waitcnt vmcnt(0) lgkmcnt(0)
	v_mul_f64 v[6:7], v[4:5], v[12:13]
	v_mul_f64 v[12:13], v[2:3], v[12:13]
	v_fmac_f64_e32 v[12:13], v[4:5], v[10:11]
	v_fma_f64 v[2:3], v[2:3], v[10:11], -v[6:7]
	v_mov_b64_e32 v[4:5], v[12:13]
.LBB80_102:
	s_and_saveexec_b64 s[8:9], s[2:3]
	s_cbranch_execz .LBB80_106
; %bb.103:
	v_mov_b32_e32 v7, 0
	v_add_u32_e32 v6, -4, v0
	v_add_u32_e32 v7, 0x48, v7
	s_movk_i32 s10, 0x150
	s_mov_b64 s[2:3], 0
.LBB80_104:                             ; =>This Inner Loop Header: Depth=1
	v_add_u32_e32 v10, -8, v7
	scratch_load_dwordx4 v[10:13], v10, off
	v_mov_b32_e32 v64, s10
	ds_read_b128 v[64:67], v64
	v_add_u32_e32 v6, -1, v6
	s_add_i32 s10, s10, 16
	v_cmp_eq_u32_e32 vcc, 0, v6
	v_add_u32_e32 v7, 16, v7
	s_or_b64 s[2:3], vcc, s[2:3]
	s_waitcnt vmcnt(0) lgkmcnt(0)
	v_mul_f64 v[68:69], v[66:67], v[12:13]
	v_mul_f64 v[12:13], v[64:65], v[12:13]
	v_fma_f64 v[64:65], v[64:65], v[10:11], -v[68:69]
	v_fmac_f64_e32 v[12:13], v[66:67], v[10:11]
	v_add_f64 v[2:3], v[2:3], v[64:65]
	v_add_f64 v[4:5], v[4:5], v[12:13]
	s_andn2_b64 exec, exec, s[2:3]
	s_cbranch_execnz .LBB80_104
; %bb.105:
	s_or_b64 exec, exec, s[2:3]
.LBB80_106:
	s_or_b64 exec, exec, s[8:9]
	v_mov_b32_e32 v6, 0
	ds_read_b128 v[10:13], v6 offset:48
	s_waitcnt lgkmcnt(0)
	v_mul_f64 v[6:7], v[4:5], v[12:13]
	v_mul_f64 v[66:67], v[2:3], v[12:13]
	v_fma_f64 v[64:65], v[2:3], v[10:11], -v[6:7]
	v_fmac_f64_e32 v[66:67], v[4:5], v[10:11]
	scratch_store_dwordx4 off, v[64:67], off offset:48
.LBB80_107:
	s_or_b64 exec, exec, s[4:5]
	scratch_load_dwordx4 v[2:5], v61, off
	v_cmp_lt_u32_e64 s[2:3], 2, v0
	s_waitcnt vmcnt(0)
	ds_write_b128 v9, v[2:5]
	s_waitcnt lgkmcnt(0)
	; wave barrier
	s_waitcnt lgkmcnt(0)
	s_and_saveexec_b64 s[4:5], s[2:3]
	s_cbranch_execz .LBB80_115
; %bb.108:
	ds_read_b128 v[2:5], v9
	s_andn2_b64 vcc, exec, s[6:7]
	s_cbranch_vccnz .LBB80_110
; %bb.109:
	scratch_load_dwordx4 v[10:13], v8, off
	s_waitcnt vmcnt(0) lgkmcnt(0)
	v_mul_f64 v[6:7], v[4:5], v[12:13]
	v_mul_f64 v[12:13], v[2:3], v[12:13]
	v_fmac_f64_e32 v[12:13], v[4:5], v[10:11]
	v_fma_f64 v[2:3], v[2:3], v[10:11], -v[6:7]
	v_mov_b64_e32 v[4:5], v[12:13]
.LBB80_110:
	s_and_saveexec_b64 s[8:9], s[0:1]
	s_cbranch_execz .LBB80_114
; %bb.111:
	v_mov_b32_e32 v7, 0
	v_add_u32_e32 v6, -3, v0
	v_add_u32_e32 v7, 56, v7
	s_movk_i32 s10, 0x140
	s_mov_b64 s[0:1], 0
.LBB80_112:                             ; =>This Inner Loop Header: Depth=1
	v_add_u32_e32 v10, -8, v7
	scratch_load_dwordx4 v[10:13], v10, off
	v_mov_b32_e32 v64, s10
	ds_read_b128 v[64:67], v64
	v_add_u32_e32 v6, -1, v6
	s_add_i32 s10, s10, 16
	v_cmp_eq_u32_e32 vcc, 0, v6
	v_add_u32_e32 v7, 16, v7
	s_or_b64 s[0:1], vcc, s[0:1]
	s_waitcnt vmcnt(0) lgkmcnt(0)
	v_mul_f64 v[68:69], v[66:67], v[12:13]
	v_mul_f64 v[12:13], v[64:65], v[12:13]
	v_fma_f64 v[64:65], v[64:65], v[10:11], -v[68:69]
	v_fmac_f64_e32 v[12:13], v[66:67], v[10:11]
	v_add_f64 v[2:3], v[2:3], v[64:65]
	v_add_f64 v[4:5], v[4:5], v[12:13]
	s_andn2_b64 exec, exec, s[0:1]
	s_cbranch_execnz .LBB80_112
; %bb.113:
	s_or_b64 exec, exec, s[0:1]
.LBB80_114:
	s_or_b64 exec, exec, s[8:9]
	v_mov_b32_e32 v6, 0
	ds_read_b128 v[10:13], v6 offset:32
	s_waitcnt lgkmcnt(0)
	v_mul_f64 v[6:7], v[4:5], v[12:13]
	v_mul_f64 v[66:67], v[2:3], v[12:13]
	v_fma_f64 v[64:65], v[2:3], v[10:11], -v[6:7]
	v_fmac_f64_e32 v[66:67], v[4:5], v[10:11]
	scratch_store_dwordx4 off, v[64:67], off offset:32
.LBB80_115:
	;; [unrolled: 63-line block ×3, first 2 shown]
	s_or_b64 exec, exec, s[4:5]
	scratch_load_dwordx4 v[2:5], off, off
	v_cmp_ne_u32_e32 vcc, 0, v0
	s_mov_b64 s[2:3], 0
	s_mov_b64 s[4:5], 0
                                        ; implicit-def: $vgpr6_vgpr7
                                        ; implicit-def: $vgpr10
	s_waitcnt vmcnt(0)
	ds_write_b128 v9, v[2:5]
	s_waitcnt lgkmcnt(0)
	; wave barrier
	s_waitcnt lgkmcnt(0)
	s_and_saveexec_b64 s[8:9], vcc
	s_cbranch_execz .LBB80_131
; %bb.124:
	ds_read_b128 v[2:5], v9
	s_andn2_b64 vcc, exec, s[6:7]
	s_cbranch_vccnz .LBB80_126
; %bb.125:
	scratch_load_dwordx4 v[10:13], v8, off
	s_waitcnt vmcnt(0) lgkmcnt(0)
	v_mul_f64 v[6:7], v[4:5], v[12:13]
	v_mul_f64 v[12:13], v[2:3], v[12:13]
	v_fmac_f64_e32 v[12:13], v[4:5], v[10:11]
	v_fma_f64 v[2:3], v[2:3], v[10:11], -v[6:7]
	v_mov_b64_e32 v[4:5], v[12:13]
.LBB80_126:
	s_and_saveexec_b64 s[4:5], s[0:1]
	s_cbranch_execz .LBB80_130
; %bb.127:
	v_mov_b32_e32 v7, 0
	v_add_u32_e32 v6, -1, v0
	v_add_u32_e32 v7, 24, v7
	s_movk_i32 s10, 0x120
	s_mov_b64 s[0:1], 0
.LBB80_128:                             ; =>This Inner Loop Header: Depth=1
	v_add_u32_e32 v10, -8, v7
	scratch_load_dwordx4 v[10:13], v10, off
	v_mov_b32_e32 v64, s10
	ds_read_b128 v[64:67], v64
	v_add_u32_e32 v6, -1, v6
	s_add_i32 s10, s10, 16
	v_cmp_eq_u32_e32 vcc, 0, v6
	v_add_u32_e32 v7, 16, v7
	s_or_b64 s[0:1], vcc, s[0:1]
	s_waitcnt vmcnt(0) lgkmcnt(0)
	v_mul_f64 v[68:69], v[66:67], v[12:13]
	v_mul_f64 v[12:13], v[64:65], v[12:13]
	v_fma_f64 v[64:65], v[64:65], v[10:11], -v[68:69]
	v_fmac_f64_e32 v[12:13], v[66:67], v[10:11]
	v_add_f64 v[2:3], v[2:3], v[64:65]
	v_add_f64 v[4:5], v[4:5], v[12:13]
	s_andn2_b64 exec, exec, s[0:1]
	s_cbranch_execnz .LBB80_128
; %bb.129:
	s_or_b64 exec, exec, s[0:1]
.LBB80_130:
	s_or_b64 exec, exec, s[4:5]
	v_mov_b32_e32 v6, 0
	ds_read_b128 v[64:67], v6
	v_mov_b32_e32 v6, 0
	v_or_b32_e32 v10, 8, v6
	s_mov_b64 s[4:5], exec
	s_waitcnt lgkmcnt(0)
	v_mul_f64 v[12:13], v[4:5], v[66:67]
	v_mul_f64 v[6:7], v[2:3], v[66:67]
	v_fma_f64 v[2:3], v[2:3], v[64:65], -v[12:13]
	v_fmac_f64_e32 v[6:7], v[4:5], v[64:65]
	scratch_store_dwordx2 off, v[2:3], off
.LBB80_131:
	s_or_b64 exec, exec, s[8:9]
	s_and_b64 vcc, exec, s[2:3]
	s_cbranch_vccnz .LBB80_133
	s_branch .LBB80_256
.LBB80_132:
	s_mov_b64 s[4:5], 0
                                        ; implicit-def: $vgpr6_vgpr7
                                        ; implicit-def: $vgpr10
	s_cbranch_execz .LBB80_256
.LBB80_133:
	scratch_load_dwordx4 v[2:5], v58, off
	v_cndmask_b32_e64 v6, 0, 1, s[6:7]
	v_cmp_eq_u32_e64 s[2:3], 0, v0
	v_cmp_ne_u32_e64 s[0:1], 1, v6
	s_waitcnt vmcnt(0)
	ds_write_b128 v9, v[2:5]
	s_waitcnt lgkmcnt(0)
	; wave barrier
	s_waitcnt lgkmcnt(0)
	s_and_saveexec_b64 s[6:7], s[2:3]
	s_cbranch_execz .LBB80_137
; %bb.134:
	ds_read_b128 v[2:5], v9
	s_and_b64 vcc, exec, s[0:1]
	s_cbranch_vccnz .LBB80_136
; %bb.135:
	scratch_load_dwordx4 v[10:13], v8, off
	s_waitcnt vmcnt(0) lgkmcnt(0)
	v_mul_f64 v[6:7], v[4:5], v[12:13]
	v_mul_f64 v[12:13], v[2:3], v[12:13]
	v_fmac_f64_e32 v[12:13], v[4:5], v[10:11]
	v_fma_f64 v[2:3], v[2:3], v[10:11], -v[6:7]
	v_mov_b64_e32 v[4:5], v[12:13]
.LBB80_136:
	v_mov_b32_e32 v6, 0
	ds_read_b128 v[10:13], v6 offset:16
	s_waitcnt lgkmcnt(0)
	v_mul_f64 v[6:7], v[4:5], v[12:13]
	v_mul_f64 v[66:67], v[2:3], v[12:13]
	v_fma_f64 v[64:65], v[2:3], v[10:11], -v[6:7]
	v_fmac_f64_e32 v[66:67], v[4:5], v[10:11]
	scratch_store_dwordx4 off, v[64:67], off offset:16
.LBB80_137:
	s_or_b64 exec, exec, s[6:7]
	scratch_load_dwordx4 v[2:5], v61, off
	v_cmp_gt_u32_e32 vcc, 2, v0
	s_waitcnt vmcnt(0)
	ds_write_b128 v9, v[2:5]
	s_waitcnt lgkmcnt(0)
	; wave barrier
	s_waitcnt lgkmcnt(0)
	s_and_saveexec_b64 s[6:7], vcc
	s_cbranch_execz .LBB80_143
; %bb.138:
	ds_read_b128 v[2:5], v9
	s_and_b64 vcc, exec, s[0:1]
	s_cbranch_vccnz .LBB80_140
; %bb.139:
	scratch_load_dwordx4 v[10:13], v8, off
	s_waitcnt vmcnt(0) lgkmcnt(0)
	v_mul_f64 v[6:7], v[4:5], v[12:13]
	v_mul_f64 v[12:13], v[2:3], v[12:13]
	v_fmac_f64_e32 v[12:13], v[4:5], v[10:11]
	v_fma_f64 v[2:3], v[2:3], v[10:11], -v[6:7]
	v_mov_b64_e32 v[4:5], v[12:13]
.LBB80_140:
	s_and_saveexec_b64 s[8:9], s[2:3]
	s_cbranch_execz .LBB80_142
; %bb.141:
	scratch_load_dwordx4 v[10:13], v8, off offset:16
	ds_read_b128 v[64:67], v9 offset:16
	s_waitcnt vmcnt(0) lgkmcnt(0)
	v_mul_f64 v[6:7], v[66:67], v[12:13]
	v_mul_f64 v[12:13], v[64:65], v[12:13]
	v_fma_f64 v[6:7], v[64:65], v[10:11], -v[6:7]
	v_fmac_f64_e32 v[12:13], v[66:67], v[10:11]
	v_add_f64 v[2:3], v[2:3], v[6:7]
	v_add_f64 v[4:5], v[4:5], v[12:13]
.LBB80_142:
	s_or_b64 exec, exec, s[8:9]
	v_mov_b32_e32 v6, 0
	ds_read_b128 v[10:13], v6 offset:32
	s_waitcnt lgkmcnt(0)
	v_mul_f64 v[6:7], v[4:5], v[12:13]
	v_mul_f64 v[66:67], v[2:3], v[12:13]
	v_fma_f64 v[64:65], v[2:3], v[10:11], -v[6:7]
	v_fmac_f64_e32 v[66:67], v[4:5], v[10:11]
	scratch_store_dwordx4 off, v[64:67], off offset:32
.LBB80_143:
	s_or_b64 exec, exec, s[6:7]
	scratch_load_dwordx4 v[2:5], v59, off
	v_cmp_gt_u32_e32 vcc, 3, v0
	s_waitcnt vmcnt(0)
	ds_write_b128 v9, v[2:5]
	s_waitcnt lgkmcnt(0)
	; wave barrier
	s_waitcnt lgkmcnt(0)
	s_and_saveexec_b64 s[6:7], vcc
	s_cbranch_execz .LBB80_151
; %bb.144:
	ds_read_b128 v[2:5], v9
	s_and_b64 vcc, exec, s[0:1]
	s_cbranch_vccnz .LBB80_146
; %bb.145:
	scratch_load_dwordx4 v[10:13], v8, off
	s_waitcnt vmcnt(0) lgkmcnt(0)
	v_mul_f64 v[6:7], v[4:5], v[12:13]
	v_mul_f64 v[12:13], v[2:3], v[12:13]
	v_fmac_f64_e32 v[12:13], v[4:5], v[10:11]
	v_fma_f64 v[2:3], v[2:3], v[10:11], -v[6:7]
	v_mov_b64_e32 v[4:5], v[12:13]
.LBB80_146:
	v_cmp_ne_u32_e32 vcc, 2, v0
	s_and_saveexec_b64 s[8:9], vcc
	s_cbranch_execz .LBB80_150
; %bb.147:
	scratch_load_dwordx4 v[10:13], v8, off offset:16
	ds_read_b128 v[64:67], v9 offset:16
	s_waitcnt vmcnt(0) lgkmcnt(0)
	v_mul_f64 v[6:7], v[66:67], v[12:13]
	v_mul_f64 v[12:13], v[64:65], v[12:13]
	v_fma_f64 v[6:7], v[64:65], v[10:11], -v[6:7]
	v_fmac_f64_e32 v[12:13], v[66:67], v[10:11]
	v_add_f64 v[2:3], v[2:3], v[6:7]
	v_add_f64 v[4:5], v[4:5], v[12:13]
	s_and_saveexec_b64 s[10:11], s[2:3]
	s_cbranch_execz .LBB80_149
; %bb.148:
	scratch_load_dwordx4 v[10:13], off, off offset:32
	v_mov_b32_e32 v6, 0
	ds_read_b128 v[64:67], v6 offset:304
	s_waitcnt vmcnt(0) lgkmcnt(0)
	v_mul_f64 v[6:7], v[64:65], v[12:13]
	v_mul_f64 v[12:13], v[66:67], v[12:13]
	v_fmac_f64_e32 v[6:7], v[66:67], v[10:11]
	v_fma_f64 v[10:11], v[64:65], v[10:11], -v[12:13]
	v_add_f64 v[4:5], v[4:5], v[6:7]
	v_add_f64 v[2:3], v[2:3], v[10:11]
.LBB80_149:
	s_or_b64 exec, exec, s[10:11]
.LBB80_150:
	s_or_b64 exec, exec, s[8:9]
	v_mov_b32_e32 v6, 0
	ds_read_b128 v[10:13], v6 offset:48
	s_waitcnt lgkmcnt(0)
	v_mul_f64 v[6:7], v[4:5], v[12:13]
	v_mul_f64 v[66:67], v[2:3], v[12:13]
	v_fma_f64 v[64:65], v[2:3], v[10:11], -v[6:7]
	v_fmac_f64_e32 v[66:67], v[4:5], v[10:11]
	scratch_store_dwordx4 off, v[64:67], off offset:48
.LBB80_151:
	s_or_b64 exec, exec, s[6:7]
	scratch_load_dwordx4 v[2:5], v62, off
	v_cmp_gt_u32_e32 vcc, 4, v0
	s_waitcnt vmcnt(0)
	ds_write_b128 v9, v[2:5]
	s_waitcnt lgkmcnt(0)
	; wave barrier
	s_waitcnt lgkmcnt(0)
	s_and_saveexec_b64 s[2:3], vcc
	s_cbranch_execz .LBB80_159
; %bb.152:
	ds_read_b128 v[2:5], v9
	s_and_b64 vcc, exec, s[0:1]
	s_cbranch_vccnz .LBB80_154
; %bb.153:
	scratch_load_dwordx4 v[10:13], v8, off
	s_waitcnt vmcnt(0) lgkmcnt(0)
	v_mul_f64 v[6:7], v[4:5], v[12:13]
	v_mul_f64 v[12:13], v[2:3], v[12:13]
	v_fmac_f64_e32 v[12:13], v[4:5], v[10:11]
	v_fma_f64 v[2:3], v[2:3], v[10:11], -v[6:7]
	v_mov_b64_e32 v[4:5], v[12:13]
.LBB80_154:
	v_cmp_ne_u32_e32 vcc, 3, v0
	s_and_saveexec_b64 s[6:7], vcc
	s_cbranch_execz .LBB80_158
; %bb.155:
	v_mov_b32_e32 v7, 0
	v_add_u32_e32 v6, 0x120, v48
	v_add3_u32 v7, v48, v7, 24
	s_mov_b64 s[8:9], 0
	v_mov_b32_e32 v10, v0
.LBB80_156:                             ; =>This Inner Loop Header: Depth=1
	v_add_u32_e32 v11, -8, v7
	scratch_load_dwordx4 v[64:67], v11, off
	ds_read_b128 v[68:71], v6
	v_add_u32_e32 v10, 1, v10
	v_cmp_lt_u32_e32 vcc, 2, v10
	v_add_u32_e32 v6, 16, v6
	v_add_u32_e32 v7, 16, v7
	s_or_b64 s[8:9], vcc, s[8:9]
	s_waitcnt vmcnt(0) lgkmcnt(0)
	v_mul_f64 v[12:13], v[70:71], v[66:67]
	v_mul_f64 v[66:67], v[68:69], v[66:67]
	v_fma_f64 v[12:13], v[68:69], v[64:65], -v[12:13]
	v_fmac_f64_e32 v[66:67], v[70:71], v[64:65]
	v_add_f64 v[2:3], v[2:3], v[12:13]
	v_add_f64 v[4:5], v[4:5], v[66:67]
	s_andn2_b64 exec, exec, s[8:9]
	s_cbranch_execnz .LBB80_156
; %bb.157:
	s_or_b64 exec, exec, s[8:9]
.LBB80_158:
	s_or_b64 exec, exec, s[6:7]
	v_mov_b32_e32 v6, 0
	ds_read_b128 v[10:13], v6 offset:64
	s_waitcnt lgkmcnt(0)
	v_mul_f64 v[6:7], v[4:5], v[12:13]
	v_mul_f64 v[66:67], v[2:3], v[12:13]
	v_fma_f64 v[64:65], v[2:3], v[10:11], -v[6:7]
	v_fmac_f64_e32 v[66:67], v[4:5], v[10:11]
	scratch_store_dwordx4 off, v[64:67], off offset:64
.LBB80_159:
	s_or_b64 exec, exec, s[2:3]
	scratch_load_dwordx4 v[2:5], v60, off
	v_cmp_gt_u32_e32 vcc, 5, v0
	s_waitcnt vmcnt(0)
	ds_write_b128 v9, v[2:5]
	s_waitcnt lgkmcnt(0)
	; wave barrier
	s_waitcnt lgkmcnt(0)
	s_and_saveexec_b64 s[2:3], vcc
	s_cbranch_execz .LBB80_167
; %bb.160:
	ds_read_b128 v[2:5], v9
	s_and_b64 vcc, exec, s[0:1]
	s_cbranch_vccnz .LBB80_162
; %bb.161:
	scratch_load_dwordx4 v[10:13], v8, off
	s_waitcnt vmcnt(0) lgkmcnt(0)
	v_mul_f64 v[6:7], v[4:5], v[12:13]
	v_mul_f64 v[12:13], v[2:3], v[12:13]
	v_fmac_f64_e32 v[12:13], v[4:5], v[10:11]
	v_fma_f64 v[2:3], v[2:3], v[10:11], -v[6:7]
	v_mov_b64_e32 v[4:5], v[12:13]
.LBB80_162:
	v_cmp_ne_u32_e32 vcc, 4, v0
	s_and_saveexec_b64 s[6:7], vcc
	s_cbranch_execz .LBB80_166
; %bb.163:
	v_mov_b32_e32 v7, 0
	v_add_u32_e32 v6, 0x120, v48
	v_add3_u32 v7, v48, v7, 24
	s_mov_b64 s[8:9], 0
	v_mov_b32_e32 v10, v0
.LBB80_164:                             ; =>This Inner Loop Header: Depth=1
	v_add_u32_e32 v11, -8, v7
	scratch_load_dwordx4 v[64:67], v11, off
	ds_read_b128 v[68:71], v6
	v_add_u32_e32 v10, 1, v10
	v_cmp_lt_u32_e32 vcc, 3, v10
	v_add_u32_e32 v6, 16, v6
	v_add_u32_e32 v7, 16, v7
	s_or_b64 s[8:9], vcc, s[8:9]
	s_waitcnt vmcnt(0) lgkmcnt(0)
	v_mul_f64 v[12:13], v[70:71], v[66:67]
	v_mul_f64 v[66:67], v[68:69], v[66:67]
	v_fma_f64 v[12:13], v[68:69], v[64:65], -v[12:13]
	v_fmac_f64_e32 v[66:67], v[70:71], v[64:65]
	v_add_f64 v[2:3], v[2:3], v[12:13]
	v_add_f64 v[4:5], v[4:5], v[66:67]
	s_andn2_b64 exec, exec, s[8:9]
	s_cbranch_execnz .LBB80_164
; %bb.165:
	s_or_b64 exec, exec, s[8:9]
.LBB80_166:
	s_or_b64 exec, exec, s[6:7]
	v_mov_b32_e32 v6, 0
	ds_read_b128 v[10:13], v6 offset:80
	s_waitcnt lgkmcnt(0)
	v_mul_f64 v[6:7], v[4:5], v[12:13]
	v_mul_f64 v[66:67], v[2:3], v[12:13]
	v_fma_f64 v[64:65], v[2:3], v[10:11], -v[6:7]
	v_fmac_f64_e32 v[66:67], v[4:5], v[10:11]
	scratch_store_dwordx4 off, v[64:67], off offset:80
.LBB80_167:
	;; [unrolled: 63-line block ×11, first 2 shown]
	s_or_b64 exec, exec, s[2:3]
	scratch_load_dwordx4 v[2:5], v1, off
	v_cmp_gt_u32_e64 s[2:3], 15, v0
	s_waitcnt vmcnt(0)
	ds_write_b128 v9, v[2:5]
	s_waitcnt lgkmcnt(0)
	; wave barrier
	s_waitcnt lgkmcnt(0)
	s_and_saveexec_b64 s[6:7], s[2:3]
	s_cbranch_execz .LBB80_247
; %bb.240:
	ds_read_b128 v[2:5], v9
	s_and_b64 vcc, exec, s[0:1]
	s_cbranch_vccnz .LBB80_242
; %bb.241:
	scratch_load_dwordx4 v[10:13], v8, off
	s_waitcnt vmcnt(0) lgkmcnt(0)
	v_mul_f64 v[6:7], v[4:5], v[12:13]
	v_mul_f64 v[12:13], v[2:3], v[12:13]
	v_fmac_f64_e32 v[12:13], v[4:5], v[10:11]
	v_fma_f64 v[2:3], v[2:3], v[10:11], -v[6:7]
	v_mov_b64_e32 v[4:5], v[12:13]
.LBB80_242:
	v_cmp_ne_u32_e32 vcc, 14, v0
	s_and_saveexec_b64 s[8:9], vcc
	s_cbranch_execz .LBB80_246
; %bb.243:
	v_mov_b32_e32 v7, 0
	v_add_u32_e32 v6, 0x120, v48
	v_add3_u32 v7, v48, v7, 24
	s_mov_b64 s[10:11], 0
	v_mov_b32_e32 v10, v0
.LBB80_244:                             ; =>This Inner Loop Header: Depth=1
	v_add_u32_e32 v11, -8, v7
	scratch_load_dwordx4 v[64:67], v11, off
	ds_read_b128 v[68:71], v6
	v_add_u32_e32 v10, 1, v10
	v_cmp_lt_u32_e32 vcc, 13, v10
	v_add_u32_e32 v6, 16, v6
	v_add_u32_e32 v7, 16, v7
	s_or_b64 s[10:11], vcc, s[10:11]
	s_waitcnt vmcnt(0) lgkmcnt(0)
	v_mul_f64 v[12:13], v[70:71], v[66:67]
	v_mul_f64 v[66:67], v[68:69], v[66:67]
	v_fma_f64 v[12:13], v[68:69], v[64:65], -v[12:13]
	v_fmac_f64_e32 v[66:67], v[70:71], v[64:65]
	v_add_f64 v[2:3], v[2:3], v[12:13]
	v_add_f64 v[4:5], v[4:5], v[66:67]
	s_andn2_b64 exec, exec, s[10:11]
	s_cbranch_execnz .LBB80_244
; %bb.245:
	s_or_b64 exec, exec, s[10:11]
.LBB80_246:
	s_or_b64 exec, exec, s[8:9]
	v_mov_b32_e32 v6, 0
	ds_read_b128 v[10:13], v6 offset:240
	s_waitcnt lgkmcnt(0)
	v_mul_f64 v[6:7], v[4:5], v[12:13]
	v_mul_f64 v[66:67], v[2:3], v[12:13]
	v_fma_f64 v[64:65], v[2:3], v[10:11], -v[6:7]
	v_fmac_f64_e32 v[66:67], v[4:5], v[10:11]
	scratch_store_dwordx4 off, v[64:67], off offset:240
.LBB80_247:
	s_or_b64 exec, exec, s[6:7]
	scratch_load_dwordx4 v[2:5], v49, off
	v_cmp_ne_u32_e32 vcc, 16, v0
                                        ; implicit-def: $vgpr6_vgpr7
                                        ; implicit-def: $vgpr10
	s_waitcnt vmcnt(0)
	ds_write_b128 v9, v[2:5]
	s_waitcnt lgkmcnt(0)
	; wave barrier
	s_waitcnt lgkmcnt(0)
	s_and_saveexec_b64 s[6:7], vcc
	s_cbranch_execz .LBB80_255
; %bb.248:
	ds_read_b128 v[2:5], v9
	s_and_b64 vcc, exec, s[0:1]
	s_cbranch_vccnz .LBB80_250
; %bb.249:
	scratch_load_dwordx4 v[6:9], v8, off
	s_waitcnt vmcnt(0) lgkmcnt(0)
	v_mul_f64 v[10:11], v[4:5], v[8:9]
	v_mul_f64 v[8:9], v[2:3], v[8:9]
	v_fmac_f64_e32 v[8:9], v[4:5], v[6:7]
	v_fma_f64 v[2:3], v[2:3], v[6:7], -v[10:11]
	v_mov_b64_e32 v[4:5], v[8:9]
.LBB80_250:
	s_and_saveexec_b64 s[0:1], s[2:3]
	s_cbranch_execz .LBB80_254
; %bb.251:
	v_mov_b32_e32 v7, 0
	v_add_u32_e32 v6, 0x120, v48
	v_add3_u32 v7, v48, v7, 24
	s_mov_b64 s[2:3], 0
.LBB80_252:                             ; =>This Inner Loop Header: Depth=1
	v_add_u32_e32 v8, -8, v7
	scratch_load_dwordx4 v[8:11], v8, off
	ds_read_b128 v[64:67], v6
	v_add_u32_e32 v0, 1, v0
	v_cmp_lt_u32_e32 vcc, 14, v0
	v_add_u32_e32 v6, 16, v6
	v_add_u32_e32 v7, 16, v7
	s_or_b64 s[2:3], vcc, s[2:3]
	s_waitcnt vmcnt(0) lgkmcnt(0)
	v_mul_f64 v[12:13], v[66:67], v[10:11]
	v_mul_f64 v[10:11], v[64:65], v[10:11]
	v_fma_f64 v[12:13], v[64:65], v[8:9], -v[12:13]
	v_fmac_f64_e32 v[10:11], v[66:67], v[8:9]
	v_add_f64 v[2:3], v[2:3], v[12:13]
	v_add_f64 v[4:5], v[4:5], v[10:11]
	s_andn2_b64 exec, exec, s[2:3]
	s_cbranch_execnz .LBB80_252
; %bb.253:
	s_or_b64 exec, exec, s[2:3]
.LBB80_254:
	s_or_b64 exec, exec, s[0:1]
	v_mov_b32_e32 v0, 0
	ds_read_b128 v[64:67], v0 offset:256
	v_mov_b32_e32 v0, 0
	v_add_u32_e32 v10, 0x108, v0
	s_or_b64 s[4:5], s[4:5], exec
	s_waitcnt lgkmcnt(0)
	v_mul_f64 v[8:9], v[4:5], v[66:67]
	v_mul_f64 v[6:7], v[2:3], v[66:67]
	v_fma_f64 v[2:3], v[2:3], v[64:65], -v[8:9]
	v_fmac_f64_e32 v[6:7], v[4:5], v[64:65]
	scratch_store_dwordx2 off, v[2:3], off offset:256
.LBB80_255:
	s_or_b64 exec, exec, s[6:7]
.LBB80_256:
	s_and_saveexec_b64 s[0:1], s[4:5]
	s_cbranch_execz .LBB80_258
; %bb.257:
	scratch_store_dwordx2 v10, v[6:7], off
.LBB80_258:
	s_or_b64 exec, exec, s[0:1]
	scratch_load_dwordx4 v[2:5], off, off
	scratch_load_dwordx4 v[6:9], v58, off
	scratch_load_dwordx4 v[10:13], v61, off
	;; [unrolled: 1-line block ×6, first 2 shown]
	s_waitcnt vmcnt(6)
	global_store_dwordx4 v[16:17], v[2:5], off
	scratch_load_dwordx4 v[2:5], v57, off
	s_nop 0
	scratch_load_dwordx4 v[58:61], v56, off
	s_waitcnt vmcnt(8)
	global_store_dwordx4 v[14:15], v[6:9], off
	scratch_load_dwordx4 v[6:9], v55, off
	s_nop 0
	scratch_load_dwordx4 v[14:17], v54, off
	;; [unrolled: 5-line block ×5, first 2 shown]
	s_waitcnt vmcnt(16)
	global_store_dwordx4 v[24:25], v[72:75], off
	s_waitcnt vmcnt(16)
	global_store_dwordx4 v[26:27], v[76:79], off
	;; [unrolled: 2-line block ×12, first 2 shown]
.LBB80_259:
	s_endpgm
	.section	.rodata,"a",@progbits
	.p2align	6, 0x0
	.amdhsa_kernel _ZN9rocsolver6v33100L18trti2_kernel_smallILi17E19rocblas_complex_numIdEPKPS3_EEv13rocblas_fill_17rocblas_diagonal_T1_iil
		.amdhsa_group_segment_fixed_size 544
		.amdhsa_private_segment_fixed_size 288
		.amdhsa_kernarg_size 32
		.amdhsa_user_sgpr_count 2
		.amdhsa_user_sgpr_dispatch_ptr 0
		.amdhsa_user_sgpr_queue_ptr 0
		.amdhsa_user_sgpr_kernarg_segment_ptr 1
		.amdhsa_user_sgpr_dispatch_id 0
		.amdhsa_user_sgpr_kernarg_preload_length 0
		.amdhsa_user_sgpr_kernarg_preload_offset 0
		.amdhsa_user_sgpr_private_segment_size 0
		.amdhsa_uses_dynamic_stack 0
		.amdhsa_enable_private_segment 1
		.amdhsa_system_sgpr_workgroup_id_x 1
		.amdhsa_system_sgpr_workgroup_id_y 0
		.amdhsa_system_sgpr_workgroup_id_z 0
		.amdhsa_system_sgpr_workgroup_info 0
		.amdhsa_system_vgpr_workitem_id 0
		.amdhsa_next_free_vgpr 80
		.amdhsa_next_free_sgpr 12
		.amdhsa_accum_offset 80
		.amdhsa_reserve_vcc 1
		.amdhsa_float_round_mode_32 0
		.amdhsa_float_round_mode_16_64 0
		.amdhsa_float_denorm_mode_32 3
		.amdhsa_float_denorm_mode_16_64 3
		.amdhsa_dx10_clamp 1
		.amdhsa_ieee_mode 1
		.amdhsa_fp16_overflow 0
		.amdhsa_tg_split 0
		.amdhsa_exception_fp_ieee_invalid_op 0
		.amdhsa_exception_fp_denorm_src 0
		.amdhsa_exception_fp_ieee_div_zero 0
		.amdhsa_exception_fp_ieee_overflow 0
		.amdhsa_exception_fp_ieee_underflow 0
		.amdhsa_exception_fp_ieee_inexact 0
		.amdhsa_exception_int_div_zero 0
	.end_amdhsa_kernel
	.section	.text._ZN9rocsolver6v33100L18trti2_kernel_smallILi17E19rocblas_complex_numIdEPKPS3_EEv13rocblas_fill_17rocblas_diagonal_T1_iil,"axG",@progbits,_ZN9rocsolver6v33100L18trti2_kernel_smallILi17E19rocblas_complex_numIdEPKPS3_EEv13rocblas_fill_17rocblas_diagonal_T1_iil,comdat
.Lfunc_end80:
	.size	_ZN9rocsolver6v33100L18trti2_kernel_smallILi17E19rocblas_complex_numIdEPKPS3_EEv13rocblas_fill_17rocblas_diagonal_T1_iil, .Lfunc_end80-_ZN9rocsolver6v33100L18trti2_kernel_smallILi17E19rocblas_complex_numIdEPKPS3_EEv13rocblas_fill_17rocblas_diagonal_T1_iil
                                        ; -- End function
	.section	.AMDGPU.csdata,"",@progbits
; Kernel info:
; codeLenInByte = 11008
; NumSgprs: 18
; NumVgprs: 80
; NumAgprs: 0
; TotalNumVgprs: 80
; ScratchSize: 288
; MemoryBound: 0
; FloatMode: 240
; IeeeMode: 1
; LDSByteSize: 544 bytes/workgroup (compile time only)
; SGPRBlocks: 2
; VGPRBlocks: 9
; NumSGPRsForWavesPerEU: 18
; NumVGPRsForWavesPerEU: 80
; AccumOffset: 80
; Occupancy: 6
; WaveLimiterHint : 1
; COMPUTE_PGM_RSRC2:SCRATCH_EN: 1
; COMPUTE_PGM_RSRC2:USER_SGPR: 2
; COMPUTE_PGM_RSRC2:TRAP_HANDLER: 0
; COMPUTE_PGM_RSRC2:TGID_X_EN: 1
; COMPUTE_PGM_RSRC2:TGID_Y_EN: 0
; COMPUTE_PGM_RSRC2:TGID_Z_EN: 0
; COMPUTE_PGM_RSRC2:TIDIG_COMP_CNT: 0
; COMPUTE_PGM_RSRC3_GFX90A:ACCUM_OFFSET: 19
; COMPUTE_PGM_RSRC3_GFX90A:TG_SPLIT: 0
	.section	.text._ZN9rocsolver6v33100L18trti2_kernel_smallILi18E19rocblas_complex_numIdEPKPS3_EEv13rocblas_fill_17rocblas_diagonal_T1_iil,"axG",@progbits,_ZN9rocsolver6v33100L18trti2_kernel_smallILi18E19rocblas_complex_numIdEPKPS3_EEv13rocblas_fill_17rocblas_diagonal_T1_iil,comdat
	.globl	_ZN9rocsolver6v33100L18trti2_kernel_smallILi18E19rocblas_complex_numIdEPKPS3_EEv13rocblas_fill_17rocblas_diagonal_T1_iil ; -- Begin function _ZN9rocsolver6v33100L18trti2_kernel_smallILi18E19rocblas_complex_numIdEPKPS3_EEv13rocblas_fill_17rocblas_diagonal_T1_iil
	.p2align	8
	.type	_ZN9rocsolver6v33100L18trti2_kernel_smallILi18E19rocblas_complex_numIdEPKPS3_EEv13rocblas_fill_17rocblas_diagonal_T1_iil,@function
_ZN9rocsolver6v33100L18trti2_kernel_smallILi18E19rocblas_complex_numIdEPKPS3_EEv13rocblas_fill_17rocblas_diagonal_T1_iil: ; @_ZN9rocsolver6v33100L18trti2_kernel_smallILi18E19rocblas_complex_numIdEPKPS3_EEv13rocblas_fill_17rocblas_diagonal_T1_iil
; %bb.0:
	v_cmp_gt_u32_e32 vcc, 18, v0
	s_and_saveexec_b64 s[4:5], vcc
	s_cbranch_execz .LBB81_275
; %bb.1:
	s_load_dwordx2 s[8:9], s[0:1], 0x10
	s_load_dwordx4 s[4:7], s[0:1], 0x0
	s_ashr_i32 s3, s2, 31
	s_lshl_b64 s[0:1], s[2:3], 3
	v_lshlrev_b32_e32 v42, 4, v0
	s_waitcnt lgkmcnt(0)
	s_ashr_i32 s3, s8, 31
	s_add_u32 s0, s6, s0
	s_addc_u32 s1, s7, s1
	s_load_dwordx2 s[0:1], s[0:1], 0x0
	s_mov_b32 s2, s8
	s_lshl_b64 s[2:3], s[2:3], 4
	v_mov_b32_e32 v43, 0
	v_mov_b32_e32 v1, 0
	s_waitcnt lgkmcnt(0)
	s_add_u32 s0, s0, s2
	s_addc_u32 s1, s1, s3
	global_load_dwordx4 v[2:5], v42, s[0:1]
	s_add_i32 s6, s9, s9
	v_add_u32_e32 v6, s6, v0
	v_add_u32_e32 v18, s9, v6
	;; [unrolled: 1-line block ×13, first 2 shown]
	s_mov_b32 s2, s9
	s_ashr_i32 s3, s9, 31
	v_lshl_add_u64 v[20:21], s[0:1], 0, v[42:43]
	v_add_u32_e32 v80, s9, v78
	v_lshl_add_u64 v[14:15], s[2:3], 4, v[20:21]
	v_ashrrev_i32_e32 v7, 31, v6
	v_ashrrev_i32_e32 v19, 31, v18
	;; [unrolled: 1-line block ×6, first 2 shown]
	v_add_u32_e32 v82, s9, v80
	v_lshl_add_u64 v[16:17], v[6:7], 4, s[0:1]
	global_load_dwordx4 v[6:9], v[14:15], off
	global_load_dwordx4 v[10:13], v[16:17], off
	v_lshl_add_u64 v[18:19], v[18:19], 4, s[0:1]
	v_ashrrev_i32_e32 v23, 31, v22
	v_lshl_add_u64 v[26:27], v[24:25], 4, s[0:1]
	v_lshl_add_u64 v[24:25], v[28:29], 4, s[0:1]
	;; [unrolled: 1-line block ×4, first 2 shown]
	v_add_u32_e32 v32, s9, v82
	v_lshl_add_u64 v[22:23], v[22:23], 4, s[0:1]
	global_load_dwordx4 v[44:47], v[18:19], off
	global_load_dwordx4 v[48:51], v[22:23], off
	v_ashrrev_i32_e32 v33, 31, v32
	global_load_dwordx4 v[52:55], v[26:27], off
	global_load_dwordx4 v[56:59], v[24:25], off
	v_lshl_add_u64 v[32:33], v[32:33], 4, s[0:1]
	global_load_dwordx4 v[60:63], v[32:33], off
	v_ashrrev_i32_e32 v35, 31, v34
	v_lshl_add_u64 v[34:35], v[34:35], 4, s[0:1]
	v_ashrrev_i32_e32 v37, 31, v36
	v_ashrrev_i32_e32 v39, 31, v38
	v_lshl_add_u64 v[36:37], v[36:37], 4, s[0:1]
	v_lshl_add_u64 v[38:39], v[38:39], 4, s[0:1]
	v_ashrrev_i32_e32 v41, 31, v40
	v_ashrrev_i32_e32 v77, 31, v76
	v_lshl_add_u64 v[40:41], v[40:41], 4, s[0:1]
	v_ashrrev_i32_e32 v79, 31, v78
	v_ashrrev_i32_e32 v81, 31, v80
	;; [unrolled: 1-line block ×3, first 2 shown]
	s_cmpk_lg_i32 s5, 0x84
	s_cselect_b64 s[6:7], -1, 0
	s_cmpk_eq_i32 s5, 0x84
	s_waitcnt vmcnt(7)
	scratch_store_dwordx4 off, v[2:5], off
	global_load_dwordx4 v[2:5], v[28:29], off
	s_nop 0
	global_load_dwordx4 v[64:67], v[30:31], off
	s_waitcnt vmcnt(9)
	scratch_store_dwordx4 off, v[6:9], off offset:16
	s_waitcnt vmcnt(9)
	scratch_store_dwordx4 off, v[10:13], off offset:32
	global_load_dwordx4 v[6:9], v[34:35], off
	s_nop 0
	global_load_dwordx4 v[10:13], v[36:37], off
	s_waitcnt vmcnt(11)
	scratch_store_dwordx4 off, v[44:47], off offset:48
	s_waitcnt vmcnt(11)
	scratch_store_dwordx4 off, v[48:51], off offset:64
	global_load_dwordx4 v[68:71], v[38:39], off
	global_load_dwordx4 v[72:75], v[40:41], off
	v_lshl_add_u64 v[44:45], v[76:77], 4, s[0:1]
	s_waitcnt vmcnt(13)
	scratch_store_dwordx4 off, v[52:55], off offset:80
	s_waitcnt vmcnt(13)
	scratch_store_dwordx4 off, v[56:59], off offset:96
	v_lshl_add_u64 v[46:47], v[78:79], 4, s[0:1]
	global_load_dwordx4 v[52:55], v[44:45], off
	global_load_dwordx4 v[56:59], v[46:47], off
	v_lshl_add_u64 v[48:49], v[80:81], 4, s[0:1]
	v_lshl_add_u64 v[50:51], v[82:83], 4, s[0:1]
	s_waitcnt vmcnt(13)
	scratch_store_dwordx4 off, v[2:5], off offset:112
	s_waitcnt vmcnt(13)
	scratch_store_dwordx4 off, v[64:67], off offset:128
	global_load_dwordx4 v[2:5], v[48:49], off
	s_nop 0
	global_load_dwordx4 v[64:67], v[50:51], off
	s_waitcnt vmcnt(13)
	scratch_store_dwordx4 off, v[6:9], off offset:144
	s_waitcnt vmcnt(13)
	scratch_store_dwordx4 off, v[10:13], off offset:160
	;; [unrolled: 2-line block ×8, first 2 shown]
	scratch_store_dwordx4 off, v[60:63], off offset:272
	s_cbranch_scc1 .LBB81_7
; %bb.2:
	scratch_load_dwordx4 v[2:5], v42, off
                                        ; implicit-def: $vgpr10_vgpr11
	s_waitcnt vmcnt(0)
	v_xor_b32_e32 v7, 0x80000000, v3
	v_cmp_gt_f64_e32 vcc, 0, v[2:3]
	v_xor_b32_e32 v8, 0x80000000, v5
	v_mov_b32_e32 v6, v2
	v_cndmask_b32_e32 v7, v3, v7, vcc
	v_cmp_gt_f64_e32 vcc, 0, v[4:5]
	s_nop 1
	v_cndmask_b32_e32 v9, v5, v8, vcc
	v_mov_b32_e32 v8, v4
	v_cmp_ngt_f64_e32 vcc, v[6:7], v[8:9]
                                        ; implicit-def: $vgpr6_vgpr7
	s_and_saveexec_b64 s[0:1], vcc
	s_xor_b64 s[0:1], exec, s[0:1]
	s_cbranch_execz .LBB81_4
; %bb.3:
	v_div_scale_f64 v[6:7], s[2:3], v[4:5], v[4:5], v[2:3]
	v_rcp_f64_e32 v[8:9], v[6:7]
	v_div_scale_f64 v[10:11], vcc, v[2:3], v[4:5], v[2:3]
	v_fma_f64 v[12:13], -v[6:7], v[8:9], 1.0
	v_fmac_f64_e32 v[8:9], v[8:9], v[12:13]
	v_fma_f64 v[12:13], -v[6:7], v[8:9], 1.0
	v_fmac_f64_e32 v[8:9], v[8:9], v[12:13]
	v_mul_f64 v[12:13], v[10:11], v[8:9]
	v_fma_f64 v[6:7], -v[6:7], v[12:13], v[10:11]
	v_div_fmas_f64 v[6:7], v[6:7], v[8:9], v[12:13]
	v_div_fixup_f64 v[6:7], v[6:7], v[4:5], v[2:3]
	v_fmac_f64_e32 v[4:5], v[2:3], v[6:7]
	v_div_scale_f64 v[2:3], s[2:3], v[4:5], v[4:5], 1.0
	v_rcp_f64_e32 v[8:9], v[2:3]
	s_nop 0
	v_fma_f64 v[10:11], -v[2:3], v[8:9], 1.0
	v_fmac_f64_e32 v[8:9], v[8:9], v[10:11]
	v_fma_f64 v[10:11], -v[2:3], v[8:9], 1.0
	v_fmac_f64_e32 v[8:9], v[8:9], v[10:11]
	v_div_scale_f64 v[10:11], vcc, 1.0, v[4:5], 1.0
	v_mul_f64 v[12:13], v[10:11], v[8:9]
	v_fma_f64 v[2:3], -v[2:3], v[12:13], v[10:11]
	s_nop 1
	v_div_fmas_f64 v[2:3], v[2:3], v[8:9], v[12:13]
	v_div_fixup_f64 v[8:9], v[2:3], v[4:5], 1.0
	v_mul_f64 v[6:7], v[6:7], v[8:9]
	v_xor_b32_e32 v9, 0x80000000, v9
	v_xor_b32_e32 v11, 0x80000000, v7
	v_mov_b32_e32 v10, v6
                                        ; implicit-def: $vgpr2_vgpr3
.LBB81_4:
	s_or_saveexec_b64 s[0:1], s[0:1]
	v_add_u32_e32 v12, 0, v42
	s_xor_b64 exec, exec, s[0:1]
	s_cbranch_execz .LBB81_6
; %bb.5:
	v_div_scale_f64 v[6:7], s[2:3], v[2:3], v[2:3], v[4:5]
	v_rcp_f64_e32 v[8:9], v[6:7]
	v_div_scale_f64 v[10:11], vcc, v[4:5], v[2:3], v[4:5]
	v_fma_f64 v[52:53], -v[6:7], v[8:9], 1.0
	v_fmac_f64_e32 v[8:9], v[8:9], v[52:53]
	v_fma_f64 v[52:53], -v[6:7], v[8:9], 1.0
	v_fmac_f64_e32 v[8:9], v[8:9], v[52:53]
	v_mul_f64 v[52:53], v[10:11], v[8:9]
	v_fma_f64 v[6:7], -v[6:7], v[52:53], v[10:11]
	v_div_fmas_f64 v[6:7], v[6:7], v[8:9], v[52:53]
	v_div_fixup_f64 v[8:9], v[6:7], v[2:3], v[4:5]
	v_fmac_f64_e32 v[2:3], v[4:5], v[8:9]
	v_div_scale_f64 v[4:5], s[2:3], v[2:3], v[2:3], 1.0
	v_rcp_f64_e32 v[6:7], v[4:5]
	s_nop 0
	v_fma_f64 v[10:11], -v[4:5], v[6:7], 1.0
	v_fmac_f64_e32 v[6:7], v[6:7], v[10:11]
	v_fma_f64 v[10:11], -v[4:5], v[6:7], 1.0
	v_fmac_f64_e32 v[6:7], v[6:7], v[10:11]
	v_div_scale_f64 v[10:11], vcc, 1.0, v[2:3], 1.0
	v_mul_f64 v[52:53], v[10:11], v[6:7]
	v_fma_f64 v[4:5], -v[4:5], v[52:53], v[10:11]
	s_nop 1
	v_div_fmas_f64 v[4:5], v[4:5], v[6:7], v[52:53]
	v_div_fixup_f64 v[6:7], v[4:5], v[2:3], 1.0
	v_xor_b32_e32 v11, 0x80000000, v7
	v_mov_b32_e32 v10, v6
	v_mul_f64 v[8:9], v[8:9], -v[6:7]
.LBB81_6:
	s_or_b64 exec, exec, s[0:1]
	scratch_store_dwordx4 v12, v[6:9], off
	s_nop 1
	v_xor_b32_e32 v9, 0x80000000, v9
	s_branch .LBB81_8
.LBB81_7:
	v_mov_b64_e32 v[8:9], 0
	v_mov_b64_e32 v[10:11], -1.0
.LBB81_8:
	v_add_u32_e32 v63, 16, v1
	v_add_u32_e32 v62, 32, v1
	;; [unrolled: 1-line block ×17, first 2 shown]
	v_mov_b32_e32 v12, v8
	v_mov_b32_e32 v13, v9
	s_cmpk_eq_i32 s4, 0x79
	v_add_u32_e32 v9, 0x120, v42
	v_add_u32_e32 v8, 0, v42
	ds_write_b128 v42, v[10:13]
	s_cbranch_scc1 .LBB81_140
; %bb.9:
	scratch_load_dwordx4 v[2:5], v43, off
	v_cmp_eq_u32_e64 s[0:1], 17, v0
	s_waitcnt vmcnt(0)
	ds_write_b128 v9, v[2:5]
	s_waitcnt lgkmcnt(0)
	; wave barrier
	s_waitcnt lgkmcnt(0)
	s_and_saveexec_b64 s[2:3], s[0:1]
	s_cbranch_execz .LBB81_13
; %bb.10:
	ds_read_b128 v[2:5], v9
	s_andn2_b64 vcc, exec, s[6:7]
	s_cbranch_vccnz .LBB81_12
; %bb.11:
	scratch_load_dwordx4 v[10:13], v8, off
	s_waitcnt vmcnt(0) lgkmcnt(0)
	v_mul_f64 v[6:7], v[4:5], v[12:13]
	v_mul_f64 v[12:13], v[2:3], v[12:13]
	v_fmac_f64_e32 v[12:13], v[4:5], v[10:11]
	v_fma_f64 v[2:3], v[2:3], v[10:11], -v[6:7]
	v_mov_b64_e32 v[4:5], v[12:13]
.LBB81_12:
	v_mov_b32_e32 v6, 0
	ds_read_b128 v[10:13], v6 offset:256
	s_waitcnt lgkmcnt(0)
	v_mul_f64 v[6:7], v[4:5], v[12:13]
	v_mul_f64 v[70:71], v[2:3], v[12:13]
	v_fma_f64 v[68:69], v[2:3], v[10:11], -v[6:7]
	v_fmac_f64_e32 v[70:71], v[4:5], v[10:11]
	scratch_store_dwordx4 off, v[68:71], off offset:256
.LBB81_13:
	s_or_b64 exec, exec, s[2:3]
	scratch_load_dwordx4 v[2:5], v53, off
	v_cmp_lt_u32_e64 s[2:3], 15, v0
	s_waitcnt vmcnt(0)
	ds_write_b128 v9, v[2:5]
	s_waitcnt lgkmcnt(0)
	; wave barrier
	s_waitcnt lgkmcnt(0)
	s_and_saveexec_b64 s[4:5], s[2:3]
	s_cbranch_execz .LBB81_19
; %bb.14:
	ds_read_b128 v[2:5], v9
	s_andn2_b64 vcc, exec, s[6:7]
	s_cbranch_vccnz .LBB81_16
; %bb.15:
	scratch_load_dwordx4 v[10:13], v8, off
	s_waitcnt vmcnt(0) lgkmcnt(0)
	v_mul_f64 v[6:7], v[4:5], v[12:13]
	v_mul_f64 v[12:13], v[2:3], v[12:13]
	v_fmac_f64_e32 v[12:13], v[4:5], v[10:11]
	v_fma_f64 v[2:3], v[2:3], v[10:11], -v[6:7]
	v_mov_b64_e32 v[4:5], v[12:13]
.LBB81_16:
	s_and_saveexec_b64 s[8:9], s[0:1]
	s_cbranch_execz .LBB81_18
; %bb.17:
	scratch_load_dwordx4 v[10:13], off, off offset:256
	v_mov_b32_e32 v6, 0
	ds_read_b128 v[68:71], v6 offset:544
	s_waitcnt vmcnt(0) lgkmcnt(0)
	v_mul_f64 v[6:7], v[68:69], v[12:13]
	v_mul_f64 v[12:13], v[70:71], v[12:13]
	v_fmac_f64_e32 v[6:7], v[70:71], v[10:11]
	v_fma_f64 v[10:11], v[68:69], v[10:11], -v[12:13]
	v_add_f64 v[4:5], v[4:5], v[6:7]
	v_add_f64 v[2:3], v[2:3], v[10:11]
.LBB81_18:
	s_or_b64 exec, exec, s[8:9]
	v_mov_b32_e32 v6, 0
	ds_read_b128 v[10:13], v6 offset:240
	s_waitcnt lgkmcnt(0)
	v_mul_f64 v[6:7], v[4:5], v[12:13]
	v_mul_f64 v[70:71], v[2:3], v[12:13]
	v_fma_f64 v[68:69], v[2:3], v[10:11], -v[6:7]
	v_fmac_f64_e32 v[70:71], v[4:5], v[10:11]
	scratch_store_dwordx4 off, v[68:71], off offset:240
.LBB81_19:
	s_or_b64 exec, exec, s[4:5]
	scratch_load_dwordx4 v[2:5], v52, off
	v_cmp_lt_u32_e64 s[0:1], 14, v0
	s_waitcnt vmcnt(0)
	ds_write_b128 v9, v[2:5]
	s_waitcnt lgkmcnt(0)
	; wave barrier
	s_waitcnt lgkmcnt(0)
	s_and_saveexec_b64 s[4:5], s[0:1]
	s_cbranch_execz .LBB81_27
; %bb.20:
	ds_read_b128 v[2:5], v9
	s_andn2_b64 vcc, exec, s[6:7]
	s_cbranch_vccnz .LBB81_22
; %bb.21:
	scratch_load_dwordx4 v[10:13], v8, off
	s_waitcnt vmcnt(0) lgkmcnt(0)
	v_mul_f64 v[6:7], v[4:5], v[12:13]
	v_mul_f64 v[12:13], v[2:3], v[12:13]
	v_fmac_f64_e32 v[12:13], v[4:5], v[10:11]
	v_fma_f64 v[2:3], v[2:3], v[10:11], -v[6:7]
	v_mov_b64_e32 v[4:5], v[12:13]
.LBB81_22:
	s_and_saveexec_b64 s[8:9], s[2:3]
	s_cbranch_execz .LBB81_26
; %bb.23:
	v_mov_b32_e32 v7, 0
	v_add_u32_e32 v6, -15, v0
	v_add_u32_e32 v7, 0xf8, v7
	s_movk_i32 s10, 0x210
	s_mov_b64 s[2:3], 0
.LBB81_24:                              ; =>This Inner Loop Header: Depth=1
	v_add_u32_e32 v10, -8, v7
	scratch_load_dwordx4 v[10:13], v10, off
	v_mov_b32_e32 v67, s10
	ds_read_b128 v[68:71], v67
	v_add_u32_e32 v6, -1, v6
	s_add_i32 s10, s10, 16
	v_cmp_eq_u32_e32 vcc, 0, v6
	v_add_u32_e32 v7, 16, v7
	s_or_b64 s[2:3], vcc, s[2:3]
	s_waitcnt vmcnt(0) lgkmcnt(0)
	v_mul_f64 v[72:73], v[70:71], v[12:13]
	v_mul_f64 v[12:13], v[68:69], v[12:13]
	v_fma_f64 v[68:69], v[68:69], v[10:11], -v[72:73]
	v_fmac_f64_e32 v[12:13], v[70:71], v[10:11]
	v_add_f64 v[2:3], v[2:3], v[68:69]
	v_add_f64 v[4:5], v[4:5], v[12:13]
	s_andn2_b64 exec, exec, s[2:3]
	s_cbranch_execnz .LBB81_24
; %bb.25:
	s_or_b64 exec, exec, s[2:3]
.LBB81_26:
	s_or_b64 exec, exec, s[8:9]
	v_mov_b32_e32 v6, 0
	ds_read_b128 v[10:13], v6 offset:224
	s_waitcnt lgkmcnt(0)
	v_mul_f64 v[6:7], v[4:5], v[12:13]
	v_mul_f64 v[70:71], v[2:3], v[12:13]
	v_fma_f64 v[68:69], v[2:3], v[10:11], -v[6:7]
	v_fmac_f64_e32 v[70:71], v[4:5], v[10:11]
	scratch_store_dwordx4 off, v[68:71], off offset:224
.LBB81_27:
	s_or_b64 exec, exec, s[4:5]
	scratch_load_dwordx4 v[2:5], v55, off
	v_cmp_lt_u32_e64 s[2:3], 13, v0
	s_waitcnt vmcnt(0)
	ds_write_b128 v9, v[2:5]
	s_waitcnt lgkmcnt(0)
	; wave barrier
	s_waitcnt lgkmcnt(0)
	s_and_saveexec_b64 s[4:5], s[2:3]
	s_cbranch_execz .LBB81_35
; %bb.28:
	ds_read_b128 v[2:5], v9
	s_andn2_b64 vcc, exec, s[6:7]
	s_cbranch_vccnz .LBB81_30
; %bb.29:
	scratch_load_dwordx4 v[10:13], v8, off
	s_waitcnt vmcnt(0) lgkmcnt(0)
	v_mul_f64 v[6:7], v[4:5], v[12:13]
	v_mul_f64 v[12:13], v[2:3], v[12:13]
	v_fmac_f64_e32 v[12:13], v[4:5], v[10:11]
	v_fma_f64 v[2:3], v[2:3], v[10:11], -v[6:7]
	v_mov_b64_e32 v[4:5], v[12:13]
.LBB81_30:
	s_and_saveexec_b64 s[8:9], s[0:1]
	s_cbranch_execz .LBB81_34
; %bb.31:
	v_mov_b32_e32 v7, 0
	v_add_u32_e32 v6, -14, v0
	v_add_u32_e32 v7, 0xe8, v7
	s_movk_i32 s10, 0x200
	s_mov_b64 s[0:1], 0
.LBB81_32:                              ; =>This Inner Loop Header: Depth=1
	v_add_u32_e32 v10, -8, v7
	scratch_load_dwordx4 v[10:13], v10, off
	v_mov_b32_e32 v67, s10
	ds_read_b128 v[68:71], v67
	v_add_u32_e32 v6, -1, v6
	s_add_i32 s10, s10, 16
	v_cmp_eq_u32_e32 vcc, 0, v6
	v_add_u32_e32 v7, 16, v7
	s_or_b64 s[0:1], vcc, s[0:1]
	s_waitcnt vmcnt(0) lgkmcnt(0)
	v_mul_f64 v[72:73], v[70:71], v[12:13]
	v_mul_f64 v[12:13], v[68:69], v[12:13]
	v_fma_f64 v[68:69], v[68:69], v[10:11], -v[72:73]
	v_fmac_f64_e32 v[12:13], v[70:71], v[10:11]
	v_add_f64 v[2:3], v[2:3], v[68:69]
	v_add_f64 v[4:5], v[4:5], v[12:13]
	s_andn2_b64 exec, exec, s[0:1]
	s_cbranch_execnz .LBB81_32
; %bb.33:
	s_or_b64 exec, exec, s[0:1]
.LBB81_34:
	s_or_b64 exec, exec, s[8:9]
	v_mov_b32_e32 v6, 0
	ds_read_b128 v[10:13], v6 offset:208
	s_waitcnt lgkmcnt(0)
	v_mul_f64 v[6:7], v[4:5], v[12:13]
	v_mul_f64 v[70:71], v[2:3], v[12:13]
	v_fma_f64 v[68:69], v[2:3], v[10:11], -v[6:7]
	v_fmac_f64_e32 v[70:71], v[4:5], v[10:11]
	scratch_store_dwordx4 off, v[68:71], off offset:208
.LBB81_35:
	;; [unrolled: 63-line block ×10, first 2 shown]
	s_or_b64 exec, exec, s[4:5]
	scratch_load_dwordx4 v[2:5], v66, off
	v_cmp_lt_u32_e64 s[0:1], 4, v0
	s_waitcnt vmcnt(0)
	ds_write_b128 v9, v[2:5]
	s_waitcnt lgkmcnt(0)
	; wave barrier
	s_waitcnt lgkmcnt(0)
	s_and_saveexec_b64 s[4:5], s[0:1]
	s_cbranch_execz .LBB81_107
; %bb.100:
	ds_read_b128 v[2:5], v9
	s_andn2_b64 vcc, exec, s[6:7]
	s_cbranch_vccnz .LBB81_102
; %bb.101:
	scratch_load_dwordx4 v[10:13], v8, off
	s_waitcnt vmcnt(0) lgkmcnt(0)
	v_mul_f64 v[6:7], v[4:5], v[12:13]
	v_mul_f64 v[12:13], v[2:3], v[12:13]
	v_fmac_f64_e32 v[12:13], v[4:5], v[10:11]
	v_fma_f64 v[2:3], v[2:3], v[10:11], -v[6:7]
	v_mov_b64_e32 v[4:5], v[12:13]
.LBB81_102:
	s_and_saveexec_b64 s[8:9], s[2:3]
	s_cbranch_execz .LBB81_106
; %bb.103:
	v_mov_b32_e32 v7, 0
	v_add_u32_e32 v6, -5, v0
	v_add_u32_e32 v7, 0x58, v7
	s_movk_i32 s10, 0x170
	s_mov_b64 s[2:3], 0
.LBB81_104:                             ; =>This Inner Loop Header: Depth=1
	v_add_u32_e32 v10, -8, v7
	scratch_load_dwordx4 v[10:13], v10, off
	v_mov_b32_e32 v67, s10
	ds_read_b128 v[68:71], v67
	v_add_u32_e32 v6, -1, v6
	s_add_i32 s10, s10, 16
	v_cmp_eq_u32_e32 vcc, 0, v6
	v_add_u32_e32 v7, 16, v7
	s_or_b64 s[2:3], vcc, s[2:3]
	s_waitcnt vmcnt(0) lgkmcnt(0)
	v_mul_f64 v[72:73], v[70:71], v[12:13]
	v_mul_f64 v[12:13], v[68:69], v[12:13]
	v_fma_f64 v[68:69], v[68:69], v[10:11], -v[72:73]
	v_fmac_f64_e32 v[12:13], v[70:71], v[10:11]
	v_add_f64 v[2:3], v[2:3], v[68:69]
	v_add_f64 v[4:5], v[4:5], v[12:13]
	s_andn2_b64 exec, exec, s[2:3]
	s_cbranch_execnz .LBB81_104
; %bb.105:
	s_or_b64 exec, exec, s[2:3]
.LBB81_106:
	s_or_b64 exec, exec, s[8:9]
	v_mov_b32_e32 v6, 0
	ds_read_b128 v[10:13], v6 offset:64
	s_waitcnt lgkmcnt(0)
	v_mul_f64 v[6:7], v[4:5], v[12:13]
	v_mul_f64 v[70:71], v[2:3], v[12:13]
	v_fma_f64 v[68:69], v[2:3], v[10:11], -v[6:7]
	v_fmac_f64_e32 v[70:71], v[4:5], v[10:11]
	scratch_store_dwordx4 off, v[68:71], off offset:64
.LBB81_107:
	s_or_b64 exec, exec, s[4:5]
	scratch_load_dwordx4 v[2:5], v64, off
	v_cmp_lt_u32_e64 s[2:3], 3, v0
	s_waitcnt vmcnt(0)
	ds_write_b128 v9, v[2:5]
	s_waitcnt lgkmcnt(0)
	; wave barrier
	s_waitcnt lgkmcnt(0)
	s_and_saveexec_b64 s[4:5], s[2:3]
	s_cbranch_execz .LBB81_115
; %bb.108:
	ds_read_b128 v[2:5], v9
	s_andn2_b64 vcc, exec, s[6:7]
	s_cbranch_vccnz .LBB81_110
; %bb.109:
	scratch_load_dwordx4 v[10:13], v8, off
	s_waitcnt vmcnt(0) lgkmcnt(0)
	v_mul_f64 v[6:7], v[4:5], v[12:13]
	v_mul_f64 v[12:13], v[2:3], v[12:13]
	v_fmac_f64_e32 v[12:13], v[4:5], v[10:11]
	v_fma_f64 v[2:3], v[2:3], v[10:11], -v[6:7]
	v_mov_b64_e32 v[4:5], v[12:13]
.LBB81_110:
	s_and_saveexec_b64 s[8:9], s[0:1]
	s_cbranch_execz .LBB81_114
; %bb.111:
	v_mov_b32_e32 v7, 0
	v_add_u32_e32 v6, -4, v0
	v_add_u32_e32 v7, 0x48, v7
	s_movk_i32 s10, 0x160
	s_mov_b64 s[0:1], 0
.LBB81_112:                             ; =>This Inner Loop Header: Depth=1
	v_add_u32_e32 v10, -8, v7
	scratch_load_dwordx4 v[10:13], v10, off
	v_mov_b32_e32 v67, s10
	ds_read_b128 v[68:71], v67
	v_add_u32_e32 v6, -1, v6
	s_add_i32 s10, s10, 16
	v_cmp_eq_u32_e32 vcc, 0, v6
	v_add_u32_e32 v7, 16, v7
	s_or_b64 s[0:1], vcc, s[0:1]
	s_waitcnt vmcnt(0) lgkmcnt(0)
	v_mul_f64 v[72:73], v[70:71], v[12:13]
	v_mul_f64 v[12:13], v[68:69], v[12:13]
	v_fma_f64 v[68:69], v[68:69], v[10:11], -v[72:73]
	v_fmac_f64_e32 v[12:13], v[70:71], v[10:11]
	v_add_f64 v[2:3], v[2:3], v[68:69]
	v_add_f64 v[4:5], v[4:5], v[12:13]
	s_andn2_b64 exec, exec, s[0:1]
	s_cbranch_execnz .LBB81_112
; %bb.113:
	s_or_b64 exec, exec, s[0:1]
.LBB81_114:
	s_or_b64 exec, exec, s[8:9]
	v_mov_b32_e32 v6, 0
	ds_read_b128 v[10:13], v6 offset:48
	s_waitcnt lgkmcnt(0)
	v_mul_f64 v[6:7], v[4:5], v[12:13]
	v_mul_f64 v[70:71], v[2:3], v[12:13]
	v_fma_f64 v[68:69], v[2:3], v[10:11], -v[6:7]
	v_fmac_f64_e32 v[70:71], v[4:5], v[10:11]
	scratch_store_dwordx4 off, v[68:71], off offset:48
.LBB81_115:
	;; [unrolled: 63-line block ×4, first 2 shown]
	s_or_b64 exec, exec, s[2:3]
	scratch_load_dwordx4 v[2:5], off, off
	v_cmp_ne_u32_e32 vcc, 0, v0
	s_mov_b64 s[2:3], 0
	s_mov_b64 s[4:5], 0
                                        ; implicit-def: $vgpr6_vgpr7
                                        ; implicit-def: $vgpr10
	s_waitcnt vmcnt(0)
	ds_write_b128 v9, v[2:5]
	s_waitcnt lgkmcnt(0)
	; wave barrier
	s_waitcnt lgkmcnt(0)
	s_and_saveexec_b64 s[8:9], vcc
	s_cbranch_execz .LBB81_139
; %bb.132:
	ds_read_b128 v[2:5], v9
	s_andn2_b64 vcc, exec, s[6:7]
	s_cbranch_vccnz .LBB81_134
; %bb.133:
	scratch_load_dwordx4 v[10:13], v8, off
	s_waitcnt vmcnt(0) lgkmcnt(0)
	v_mul_f64 v[6:7], v[4:5], v[12:13]
	v_mul_f64 v[12:13], v[2:3], v[12:13]
	v_fmac_f64_e32 v[12:13], v[4:5], v[10:11]
	v_fma_f64 v[2:3], v[2:3], v[10:11], -v[6:7]
	v_mov_b64_e32 v[4:5], v[12:13]
.LBB81_134:
	s_and_saveexec_b64 s[4:5], s[0:1]
	s_cbranch_execz .LBB81_138
; %bb.135:
	v_mov_b32_e32 v7, 0
	v_add_u32_e32 v6, -1, v0
	v_add_u32_e32 v7, 24, v7
	s_movk_i32 s10, 0x130
	s_mov_b64 s[0:1], 0
.LBB81_136:                             ; =>This Inner Loop Header: Depth=1
	v_add_u32_e32 v10, -8, v7
	scratch_load_dwordx4 v[10:13], v10, off
	v_mov_b32_e32 v67, s10
	ds_read_b128 v[68:71], v67
	v_add_u32_e32 v6, -1, v6
	s_add_i32 s10, s10, 16
	v_cmp_eq_u32_e32 vcc, 0, v6
	v_add_u32_e32 v7, 16, v7
	s_or_b64 s[0:1], vcc, s[0:1]
	s_waitcnt vmcnt(0) lgkmcnt(0)
	v_mul_f64 v[72:73], v[70:71], v[12:13]
	v_mul_f64 v[12:13], v[68:69], v[12:13]
	v_fma_f64 v[68:69], v[68:69], v[10:11], -v[72:73]
	v_fmac_f64_e32 v[12:13], v[70:71], v[10:11]
	v_add_f64 v[2:3], v[2:3], v[68:69]
	v_add_f64 v[4:5], v[4:5], v[12:13]
	s_andn2_b64 exec, exec, s[0:1]
	s_cbranch_execnz .LBB81_136
; %bb.137:
	s_or_b64 exec, exec, s[0:1]
.LBB81_138:
	s_or_b64 exec, exec, s[4:5]
	v_mov_b32_e32 v6, 0
	ds_read_b128 v[68:71], v6
	v_mov_b32_e32 v6, 0
	v_or_b32_e32 v10, 8, v6
	s_mov_b64 s[4:5], exec
	s_waitcnt lgkmcnt(0)
	v_mul_f64 v[12:13], v[4:5], v[70:71]
	v_mul_f64 v[6:7], v[2:3], v[70:71]
	v_fma_f64 v[2:3], v[2:3], v[68:69], -v[12:13]
	v_fmac_f64_e32 v[6:7], v[4:5], v[68:69]
	scratch_store_dwordx2 off, v[2:3], off
.LBB81_139:
	s_or_b64 exec, exec, s[8:9]
	s_and_b64 vcc, exec, s[2:3]
	s_cbranch_vccnz .LBB81_141
	s_branch .LBB81_272
.LBB81_140:
	s_mov_b64 s[4:5], 0
                                        ; implicit-def: $vgpr6_vgpr7
                                        ; implicit-def: $vgpr10
	s_cbranch_execz .LBB81_272
.LBB81_141:
	scratch_load_dwordx4 v[2:5], v63, off
	v_cndmask_b32_e64 v6, 0, 1, s[6:7]
	v_cmp_eq_u32_e64 s[2:3], 0, v0
	v_cmp_ne_u32_e64 s[0:1], 1, v6
	s_waitcnt vmcnt(0)
	ds_write_b128 v9, v[2:5]
	s_waitcnt lgkmcnt(0)
	; wave barrier
	s_waitcnt lgkmcnt(0)
	s_and_saveexec_b64 s[6:7], s[2:3]
	s_cbranch_execz .LBB81_145
; %bb.142:
	ds_read_b128 v[2:5], v9
	s_and_b64 vcc, exec, s[0:1]
	s_cbranch_vccnz .LBB81_144
; %bb.143:
	scratch_load_dwordx4 v[10:13], v8, off
	s_waitcnt vmcnt(0) lgkmcnt(0)
	v_mul_f64 v[6:7], v[4:5], v[12:13]
	v_mul_f64 v[12:13], v[2:3], v[12:13]
	v_fmac_f64_e32 v[12:13], v[4:5], v[10:11]
	v_fma_f64 v[2:3], v[2:3], v[10:11], -v[6:7]
	v_mov_b64_e32 v[4:5], v[12:13]
.LBB81_144:
	v_mov_b32_e32 v6, 0
	ds_read_b128 v[10:13], v6 offset:16
	s_waitcnt lgkmcnt(0)
	v_mul_f64 v[6:7], v[4:5], v[12:13]
	v_mul_f64 v[70:71], v[2:3], v[12:13]
	v_fma_f64 v[68:69], v[2:3], v[10:11], -v[6:7]
	v_fmac_f64_e32 v[70:71], v[4:5], v[10:11]
	scratch_store_dwordx4 off, v[68:71], off offset:16
.LBB81_145:
	s_or_b64 exec, exec, s[6:7]
	scratch_load_dwordx4 v[2:5], v62, off
	v_cmp_gt_u32_e32 vcc, 2, v0
	s_waitcnt vmcnt(0)
	ds_write_b128 v9, v[2:5]
	s_waitcnt lgkmcnt(0)
	; wave barrier
	s_waitcnt lgkmcnt(0)
	s_and_saveexec_b64 s[6:7], vcc
	s_cbranch_execz .LBB81_151
; %bb.146:
	ds_read_b128 v[2:5], v9
	s_and_b64 vcc, exec, s[0:1]
	s_cbranch_vccnz .LBB81_148
; %bb.147:
	scratch_load_dwordx4 v[10:13], v8, off
	s_waitcnt vmcnt(0) lgkmcnt(0)
	v_mul_f64 v[6:7], v[4:5], v[12:13]
	v_mul_f64 v[12:13], v[2:3], v[12:13]
	v_fmac_f64_e32 v[12:13], v[4:5], v[10:11]
	v_fma_f64 v[2:3], v[2:3], v[10:11], -v[6:7]
	v_mov_b64_e32 v[4:5], v[12:13]
.LBB81_148:
	s_and_saveexec_b64 s[8:9], s[2:3]
	s_cbranch_execz .LBB81_150
; %bb.149:
	scratch_load_dwordx4 v[10:13], v8, off offset:16
	ds_read_b128 v[68:71], v9 offset:16
	s_waitcnt vmcnt(0) lgkmcnt(0)
	v_mul_f64 v[6:7], v[70:71], v[12:13]
	v_mul_f64 v[12:13], v[68:69], v[12:13]
	v_fma_f64 v[6:7], v[68:69], v[10:11], -v[6:7]
	v_fmac_f64_e32 v[12:13], v[70:71], v[10:11]
	v_add_f64 v[2:3], v[2:3], v[6:7]
	v_add_f64 v[4:5], v[4:5], v[12:13]
.LBB81_150:
	s_or_b64 exec, exec, s[8:9]
	v_mov_b32_e32 v6, 0
	ds_read_b128 v[10:13], v6 offset:32
	s_waitcnt lgkmcnt(0)
	v_mul_f64 v[6:7], v[4:5], v[12:13]
	v_mul_f64 v[70:71], v[2:3], v[12:13]
	v_fma_f64 v[68:69], v[2:3], v[10:11], -v[6:7]
	v_fmac_f64_e32 v[70:71], v[4:5], v[10:11]
	scratch_store_dwordx4 off, v[68:71], off offset:32
.LBB81_151:
	s_or_b64 exec, exec, s[6:7]
	scratch_load_dwordx4 v[2:5], v64, off
	v_cmp_gt_u32_e32 vcc, 3, v0
	s_waitcnt vmcnt(0)
	ds_write_b128 v9, v[2:5]
	s_waitcnt lgkmcnt(0)
	; wave barrier
	s_waitcnt lgkmcnt(0)
	s_and_saveexec_b64 s[6:7], vcc
	s_cbranch_execz .LBB81_159
; %bb.152:
	ds_read_b128 v[2:5], v9
	s_and_b64 vcc, exec, s[0:1]
	s_cbranch_vccnz .LBB81_154
; %bb.153:
	scratch_load_dwordx4 v[10:13], v8, off
	s_waitcnt vmcnt(0) lgkmcnt(0)
	v_mul_f64 v[6:7], v[4:5], v[12:13]
	v_mul_f64 v[12:13], v[2:3], v[12:13]
	v_fmac_f64_e32 v[12:13], v[4:5], v[10:11]
	v_fma_f64 v[2:3], v[2:3], v[10:11], -v[6:7]
	v_mov_b64_e32 v[4:5], v[12:13]
.LBB81_154:
	v_cmp_ne_u32_e32 vcc, 2, v0
	s_and_saveexec_b64 s[8:9], vcc
	s_cbranch_execz .LBB81_158
; %bb.155:
	scratch_load_dwordx4 v[10:13], v8, off offset:16
	ds_read_b128 v[68:71], v9 offset:16
	s_waitcnt vmcnt(0) lgkmcnt(0)
	v_mul_f64 v[6:7], v[70:71], v[12:13]
	v_mul_f64 v[12:13], v[68:69], v[12:13]
	v_fma_f64 v[6:7], v[68:69], v[10:11], -v[6:7]
	v_fmac_f64_e32 v[12:13], v[70:71], v[10:11]
	v_add_f64 v[2:3], v[2:3], v[6:7]
	v_add_f64 v[4:5], v[4:5], v[12:13]
	s_and_saveexec_b64 s[10:11], s[2:3]
	s_cbranch_execz .LBB81_157
; %bb.156:
	scratch_load_dwordx4 v[10:13], off, off offset:32
	v_mov_b32_e32 v6, 0
	ds_read_b128 v[68:71], v6 offset:320
	s_waitcnt vmcnt(0) lgkmcnt(0)
	v_mul_f64 v[6:7], v[68:69], v[12:13]
	v_mul_f64 v[12:13], v[70:71], v[12:13]
	v_fmac_f64_e32 v[6:7], v[70:71], v[10:11]
	v_fma_f64 v[10:11], v[68:69], v[10:11], -v[12:13]
	v_add_f64 v[4:5], v[4:5], v[6:7]
	v_add_f64 v[2:3], v[2:3], v[10:11]
.LBB81_157:
	s_or_b64 exec, exec, s[10:11]
.LBB81_158:
	s_or_b64 exec, exec, s[8:9]
	v_mov_b32_e32 v6, 0
	ds_read_b128 v[10:13], v6 offset:48
	s_waitcnt lgkmcnt(0)
	v_mul_f64 v[6:7], v[4:5], v[12:13]
	v_mul_f64 v[70:71], v[2:3], v[12:13]
	v_fma_f64 v[68:69], v[2:3], v[10:11], -v[6:7]
	v_fmac_f64_e32 v[70:71], v[4:5], v[10:11]
	scratch_store_dwordx4 off, v[68:71], off offset:48
.LBB81_159:
	s_or_b64 exec, exec, s[6:7]
	scratch_load_dwordx4 v[2:5], v66, off
	v_cmp_gt_u32_e32 vcc, 4, v0
	s_waitcnt vmcnt(0)
	ds_write_b128 v9, v[2:5]
	s_waitcnt lgkmcnt(0)
	; wave barrier
	s_waitcnt lgkmcnt(0)
	s_and_saveexec_b64 s[2:3], vcc
	s_cbranch_execz .LBB81_167
; %bb.160:
	ds_read_b128 v[2:5], v9
	s_and_b64 vcc, exec, s[0:1]
	s_cbranch_vccnz .LBB81_162
; %bb.161:
	scratch_load_dwordx4 v[10:13], v8, off
	s_waitcnt vmcnt(0) lgkmcnt(0)
	v_mul_f64 v[6:7], v[4:5], v[12:13]
	v_mul_f64 v[12:13], v[2:3], v[12:13]
	v_fmac_f64_e32 v[12:13], v[4:5], v[10:11]
	v_fma_f64 v[2:3], v[2:3], v[10:11], -v[6:7]
	v_mov_b64_e32 v[4:5], v[12:13]
.LBB81_162:
	v_cmp_ne_u32_e32 vcc, 3, v0
	s_and_saveexec_b64 s[6:7], vcc
	s_cbranch_execz .LBB81_166
; %bb.163:
	v_mov_b32_e32 v7, 0
	v_add_u32_e32 v6, 0x130, v42
	v_add3_u32 v7, v42, v7, 24
	s_mov_b64 s[8:9], 0
	v_mov_b32_e32 v10, v0
.LBB81_164:                             ; =>This Inner Loop Header: Depth=1
	v_add_u32_e32 v11, -8, v7
	scratch_load_dwordx4 v[68:71], v11, off
	ds_read_b128 v[72:75], v6
	v_add_u32_e32 v10, 1, v10
	v_cmp_lt_u32_e32 vcc, 2, v10
	v_add_u32_e32 v6, 16, v6
	v_add_u32_e32 v7, 16, v7
	s_or_b64 s[8:9], vcc, s[8:9]
	s_waitcnt vmcnt(0) lgkmcnt(0)
	v_mul_f64 v[12:13], v[74:75], v[70:71]
	v_mul_f64 v[70:71], v[72:73], v[70:71]
	v_fma_f64 v[12:13], v[72:73], v[68:69], -v[12:13]
	v_fmac_f64_e32 v[70:71], v[74:75], v[68:69]
	v_add_f64 v[2:3], v[2:3], v[12:13]
	v_add_f64 v[4:5], v[4:5], v[70:71]
	s_andn2_b64 exec, exec, s[8:9]
	s_cbranch_execnz .LBB81_164
; %bb.165:
	s_or_b64 exec, exec, s[8:9]
.LBB81_166:
	s_or_b64 exec, exec, s[6:7]
	v_mov_b32_e32 v6, 0
	ds_read_b128 v[10:13], v6 offset:64
	s_waitcnt lgkmcnt(0)
	v_mul_f64 v[6:7], v[4:5], v[12:13]
	v_mul_f64 v[70:71], v[2:3], v[12:13]
	v_fma_f64 v[68:69], v[2:3], v[10:11], -v[6:7]
	v_fmac_f64_e32 v[70:71], v[4:5], v[10:11]
	scratch_store_dwordx4 off, v[68:71], off offset:64
.LBB81_167:
	s_or_b64 exec, exec, s[2:3]
	scratch_load_dwordx4 v[2:5], v65, off
	v_cmp_gt_u32_e32 vcc, 5, v0
	s_waitcnt vmcnt(0)
	ds_write_b128 v9, v[2:5]
	s_waitcnt lgkmcnt(0)
	; wave barrier
	s_waitcnt lgkmcnt(0)
	s_and_saveexec_b64 s[2:3], vcc
	s_cbranch_execz .LBB81_175
; %bb.168:
	ds_read_b128 v[2:5], v9
	s_and_b64 vcc, exec, s[0:1]
	s_cbranch_vccnz .LBB81_170
; %bb.169:
	scratch_load_dwordx4 v[10:13], v8, off
	s_waitcnt vmcnt(0) lgkmcnt(0)
	v_mul_f64 v[6:7], v[4:5], v[12:13]
	v_mul_f64 v[12:13], v[2:3], v[12:13]
	v_fmac_f64_e32 v[12:13], v[4:5], v[10:11]
	v_fma_f64 v[2:3], v[2:3], v[10:11], -v[6:7]
	v_mov_b64_e32 v[4:5], v[12:13]
.LBB81_170:
	v_cmp_ne_u32_e32 vcc, 4, v0
	s_and_saveexec_b64 s[6:7], vcc
	s_cbranch_execz .LBB81_174
; %bb.171:
	v_mov_b32_e32 v7, 0
	v_add_u32_e32 v6, 0x130, v42
	v_add3_u32 v7, v42, v7, 24
	s_mov_b64 s[8:9], 0
	v_mov_b32_e32 v10, v0
.LBB81_172:                             ; =>This Inner Loop Header: Depth=1
	v_add_u32_e32 v11, -8, v7
	scratch_load_dwordx4 v[68:71], v11, off
	ds_read_b128 v[72:75], v6
	v_add_u32_e32 v10, 1, v10
	v_cmp_lt_u32_e32 vcc, 3, v10
	v_add_u32_e32 v6, 16, v6
	v_add_u32_e32 v7, 16, v7
	s_or_b64 s[8:9], vcc, s[8:9]
	s_waitcnt vmcnt(0) lgkmcnt(0)
	v_mul_f64 v[12:13], v[74:75], v[70:71]
	v_mul_f64 v[70:71], v[72:73], v[70:71]
	v_fma_f64 v[12:13], v[72:73], v[68:69], -v[12:13]
	v_fmac_f64_e32 v[70:71], v[74:75], v[68:69]
	v_add_f64 v[2:3], v[2:3], v[12:13]
	v_add_f64 v[4:5], v[4:5], v[70:71]
	s_andn2_b64 exec, exec, s[8:9]
	s_cbranch_execnz .LBB81_172
; %bb.173:
	s_or_b64 exec, exec, s[8:9]
.LBB81_174:
	s_or_b64 exec, exec, s[6:7]
	v_mov_b32_e32 v6, 0
	ds_read_b128 v[10:13], v6 offset:80
	s_waitcnt lgkmcnt(0)
	v_mul_f64 v[6:7], v[4:5], v[12:13]
	v_mul_f64 v[70:71], v[2:3], v[12:13]
	v_fma_f64 v[68:69], v[2:3], v[10:11], -v[6:7]
	v_fmac_f64_e32 v[70:71], v[4:5], v[10:11]
	scratch_store_dwordx4 off, v[68:71], off offset:80
.LBB81_175:
	;; [unrolled: 63-line block ×12, first 2 shown]
	s_or_b64 exec, exec, s[2:3]
	scratch_load_dwordx4 v[2:5], v43, off
	v_cmp_gt_u32_e64 s[2:3], 16, v0
	s_waitcnt vmcnt(0)
	ds_write_b128 v9, v[2:5]
	s_waitcnt lgkmcnt(0)
	; wave barrier
	s_waitcnt lgkmcnt(0)
	s_and_saveexec_b64 s[6:7], s[2:3]
	s_cbranch_execz .LBB81_263
; %bb.256:
	ds_read_b128 v[2:5], v9
	s_and_b64 vcc, exec, s[0:1]
	s_cbranch_vccnz .LBB81_258
; %bb.257:
	scratch_load_dwordx4 v[10:13], v8, off
	s_waitcnt vmcnt(0) lgkmcnt(0)
	v_mul_f64 v[6:7], v[4:5], v[12:13]
	v_mul_f64 v[12:13], v[2:3], v[12:13]
	v_fmac_f64_e32 v[12:13], v[4:5], v[10:11]
	v_fma_f64 v[2:3], v[2:3], v[10:11], -v[6:7]
	v_mov_b64_e32 v[4:5], v[12:13]
.LBB81_258:
	v_cmp_ne_u32_e32 vcc, 15, v0
	s_and_saveexec_b64 s[8:9], vcc
	s_cbranch_execz .LBB81_262
; %bb.259:
	v_mov_b32_e32 v7, 0
	v_add_u32_e32 v6, 0x130, v42
	v_add3_u32 v7, v42, v7, 24
	s_mov_b64 s[10:11], 0
	v_mov_b32_e32 v10, v0
.LBB81_260:                             ; =>This Inner Loop Header: Depth=1
	v_add_u32_e32 v11, -8, v7
	scratch_load_dwordx4 v[68:71], v11, off
	ds_read_b128 v[72:75], v6
	v_add_u32_e32 v10, 1, v10
	v_cmp_lt_u32_e32 vcc, 14, v10
	v_add_u32_e32 v6, 16, v6
	v_add_u32_e32 v7, 16, v7
	s_or_b64 s[10:11], vcc, s[10:11]
	s_waitcnt vmcnt(0) lgkmcnt(0)
	v_mul_f64 v[12:13], v[74:75], v[70:71]
	v_mul_f64 v[70:71], v[72:73], v[70:71]
	v_fma_f64 v[12:13], v[72:73], v[68:69], -v[12:13]
	v_fmac_f64_e32 v[70:71], v[74:75], v[68:69]
	v_add_f64 v[2:3], v[2:3], v[12:13]
	v_add_f64 v[4:5], v[4:5], v[70:71]
	s_andn2_b64 exec, exec, s[10:11]
	s_cbranch_execnz .LBB81_260
; %bb.261:
	s_or_b64 exec, exec, s[10:11]
.LBB81_262:
	s_or_b64 exec, exec, s[8:9]
	v_mov_b32_e32 v6, 0
	ds_read_b128 v[10:13], v6 offset:256
	s_waitcnt lgkmcnt(0)
	v_mul_f64 v[6:7], v[4:5], v[12:13]
	v_mul_f64 v[70:71], v[2:3], v[12:13]
	v_fma_f64 v[68:69], v[2:3], v[10:11], -v[6:7]
	v_fmac_f64_e32 v[70:71], v[4:5], v[10:11]
	scratch_store_dwordx4 off, v[68:71], off offset:256
.LBB81_263:
	s_or_b64 exec, exec, s[6:7]
	scratch_load_dwordx4 v[2:5], v1, off
	v_cmp_ne_u32_e32 vcc, 17, v0
                                        ; implicit-def: $vgpr6_vgpr7
                                        ; implicit-def: $vgpr10
	s_waitcnt vmcnt(0)
	ds_write_b128 v9, v[2:5]
	s_waitcnt lgkmcnt(0)
	; wave barrier
	s_waitcnt lgkmcnt(0)
	s_and_saveexec_b64 s[6:7], vcc
	s_cbranch_execz .LBB81_271
; %bb.264:
	ds_read_b128 v[2:5], v9
	s_and_b64 vcc, exec, s[0:1]
	s_cbranch_vccnz .LBB81_266
; %bb.265:
	scratch_load_dwordx4 v[6:9], v8, off
	s_waitcnt vmcnt(0) lgkmcnt(0)
	v_mul_f64 v[10:11], v[4:5], v[8:9]
	v_mul_f64 v[8:9], v[2:3], v[8:9]
	v_fmac_f64_e32 v[8:9], v[4:5], v[6:7]
	v_fma_f64 v[2:3], v[2:3], v[6:7], -v[10:11]
	v_mov_b64_e32 v[4:5], v[8:9]
.LBB81_266:
	s_and_saveexec_b64 s[0:1], s[2:3]
	s_cbranch_execz .LBB81_270
; %bb.267:
	v_mov_b32_e32 v7, 0
	v_add_u32_e32 v6, 0x130, v42
	v_add3_u32 v7, v42, v7, 24
	s_mov_b64 s[2:3], 0
.LBB81_268:                             ; =>This Inner Loop Header: Depth=1
	v_add_u32_e32 v8, -8, v7
	scratch_load_dwordx4 v[8:11], v8, off
	ds_read_b128 v[68:71], v6
	v_add_u32_e32 v0, 1, v0
	v_cmp_lt_u32_e32 vcc, 15, v0
	v_add_u32_e32 v6, 16, v6
	v_add_u32_e32 v7, 16, v7
	s_or_b64 s[2:3], vcc, s[2:3]
	s_waitcnt vmcnt(0) lgkmcnt(0)
	v_mul_f64 v[12:13], v[70:71], v[10:11]
	v_mul_f64 v[10:11], v[68:69], v[10:11]
	v_fma_f64 v[12:13], v[68:69], v[8:9], -v[12:13]
	v_fmac_f64_e32 v[10:11], v[70:71], v[8:9]
	v_add_f64 v[2:3], v[2:3], v[12:13]
	v_add_f64 v[4:5], v[4:5], v[10:11]
	s_andn2_b64 exec, exec, s[2:3]
	s_cbranch_execnz .LBB81_268
; %bb.269:
	s_or_b64 exec, exec, s[2:3]
.LBB81_270:
	s_or_b64 exec, exec, s[0:1]
	v_mov_b32_e32 v0, 0
	ds_read_b128 v[68:71], v0 offset:272
	v_mov_b32_e32 v0, 0
	v_add_u32_e32 v10, 0x118, v0
	s_or_b64 s[4:5], s[4:5], exec
	s_waitcnt lgkmcnt(0)
	v_mul_f64 v[8:9], v[4:5], v[70:71]
	v_mul_f64 v[6:7], v[2:3], v[70:71]
	v_fma_f64 v[2:3], v[2:3], v[68:69], -v[8:9]
	v_fmac_f64_e32 v[6:7], v[4:5], v[68:69]
	scratch_store_dwordx2 off, v[2:3], off offset:272
.LBB81_271:
	s_or_b64 exec, exec, s[6:7]
.LBB81_272:
	s_and_saveexec_b64 s[0:1], s[4:5]
	s_cbranch_execz .LBB81_274
; %bb.273:
	scratch_store_dwordx2 v10, v[6:7], off
.LBB81_274:
	s_or_b64 exec, exec, s[0:1]
	scratch_load_dwordx4 v[2:5], off, off
	scratch_load_dwordx4 v[6:9], v63, off
	scratch_load_dwordx4 v[10:13], v62, off
	scratch_load_dwordx4 v[68:71], v64, off
	scratch_load_dwordx4 v[72:75], v66, off
	scratch_load_dwordx4 v[76:79], v65, off
	s_waitcnt vmcnt(5)
	global_store_dwordx4 v[20:21], v[2:5], off
	scratch_load_dwordx4 v[2:5], v61, off
	s_nop 0
	scratch_load_dwordx4 v[62:65], v60, off
	s_waitcnt vmcnt(7)
	global_store_dwordx4 v[14:15], v[6:9], off
	scratch_load_dwordx4 v[6:9], v59, off
	s_nop 0
	scratch_load_dwordx4 v[80:83], v58, off
	;; [unrolled: 5-line block ×6, first 2 shown]
	s_waitcnt vmcnt(16)
	global_store_dwordx4 v[24:25], v[2:5], off
	s_waitcnt vmcnt(16)
	global_store_dwordx4 v[28:29], v[62:65], off
	;; [unrolled: 2-line block ×12, first 2 shown]
.LBB81_275:
	s_endpgm
	.section	.rodata,"a",@progbits
	.p2align	6, 0x0
	.amdhsa_kernel _ZN9rocsolver6v33100L18trti2_kernel_smallILi18E19rocblas_complex_numIdEPKPS3_EEv13rocblas_fill_17rocblas_diagonal_T1_iil
		.amdhsa_group_segment_fixed_size 576
		.amdhsa_private_segment_fixed_size 304
		.amdhsa_kernarg_size 32
		.amdhsa_user_sgpr_count 2
		.amdhsa_user_sgpr_dispatch_ptr 0
		.amdhsa_user_sgpr_queue_ptr 0
		.amdhsa_user_sgpr_kernarg_segment_ptr 1
		.amdhsa_user_sgpr_dispatch_id 0
		.amdhsa_user_sgpr_kernarg_preload_length 0
		.amdhsa_user_sgpr_kernarg_preload_offset 0
		.amdhsa_user_sgpr_private_segment_size 0
		.amdhsa_uses_dynamic_stack 0
		.amdhsa_enable_private_segment 1
		.amdhsa_system_sgpr_workgroup_id_x 1
		.amdhsa_system_sgpr_workgroup_id_y 0
		.amdhsa_system_sgpr_workgroup_id_z 0
		.amdhsa_system_sgpr_workgroup_info 0
		.amdhsa_system_vgpr_workitem_id 0
		.amdhsa_next_free_vgpr 84
		.amdhsa_next_free_sgpr 12
		.amdhsa_accum_offset 84
		.amdhsa_reserve_vcc 1
		.amdhsa_float_round_mode_32 0
		.amdhsa_float_round_mode_16_64 0
		.amdhsa_float_denorm_mode_32 3
		.amdhsa_float_denorm_mode_16_64 3
		.amdhsa_dx10_clamp 1
		.amdhsa_ieee_mode 1
		.amdhsa_fp16_overflow 0
		.amdhsa_tg_split 0
		.amdhsa_exception_fp_ieee_invalid_op 0
		.amdhsa_exception_fp_denorm_src 0
		.amdhsa_exception_fp_ieee_div_zero 0
		.amdhsa_exception_fp_ieee_overflow 0
		.amdhsa_exception_fp_ieee_underflow 0
		.amdhsa_exception_fp_ieee_inexact 0
		.amdhsa_exception_int_div_zero 0
	.end_amdhsa_kernel
	.section	.text._ZN9rocsolver6v33100L18trti2_kernel_smallILi18E19rocblas_complex_numIdEPKPS3_EEv13rocblas_fill_17rocblas_diagonal_T1_iil,"axG",@progbits,_ZN9rocsolver6v33100L18trti2_kernel_smallILi18E19rocblas_complex_numIdEPKPS3_EEv13rocblas_fill_17rocblas_diagonal_T1_iil,comdat
.Lfunc_end81:
	.size	_ZN9rocsolver6v33100L18trti2_kernel_smallILi18E19rocblas_complex_numIdEPKPS3_EEv13rocblas_fill_17rocblas_diagonal_T1_iil, .Lfunc_end81-_ZN9rocsolver6v33100L18trti2_kernel_smallILi18E19rocblas_complex_numIdEPKPS3_EEv13rocblas_fill_17rocblas_diagonal_T1_iil
                                        ; -- End function
	.section	.AMDGPU.csdata,"",@progbits
; Kernel info:
; codeLenInByte = 11684
; NumSgprs: 18
; NumVgprs: 84
; NumAgprs: 0
; TotalNumVgprs: 84
; ScratchSize: 304
; MemoryBound: 0
; FloatMode: 240
; IeeeMode: 1
; LDSByteSize: 576 bytes/workgroup (compile time only)
; SGPRBlocks: 2
; VGPRBlocks: 10
; NumSGPRsForWavesPerEU: 18
; NumVGPRsForWavesPerEU: 84
; AccumOffset: 84
; Occupancy: 5
; WaveLimiterHint : 1
; COMPUTE_PGM_RSRC2:SCRATCH_EN: 1
; COMPUTE_PGM_RSRC2:USER_SGPR: 2
; COMPUTE_PGM_RSRC2:TRAP_HANDLER: 0
; COMPUTE_PGM_RSRC2:TGID_X_EN: 1
; COMPUTE_PGM_RSRC2:TGID_Y_EN: 0
; COMPUTE_PGM_RSRC2:TGID_Z_EN: 0
; COMPUTE_PGM_RSRC2:TIDIG_COMP_CNT: 0
; COMPUTE_PGM_RSRC3_GFX90A:ACCUM_OFFSET: 20
; COMPUTE_PGM_RSRC3_GFX90A:TG_SPLIT: 0
	.section	.text._ZN9rocsolver6v33100L18trti2_kernel_smallILi19E19rocblas_complex_numIdEPKPS3_EEv13rocblas_fill_17rocblas_diagonal_T1_iil,"axG",@progbits,_ZN9rocsolver6v33100L18trti2_kernel_smallILi19E19rocblas_complex_numIdEPKPS3_EEv13rocblas_fill_17rocblas_diagonal_T1_iil,comdat
	.globl	_ZN9rocsolver6v33100L18trti2_kernel_smallILi19E19rocblas_complex_numIdEPKPS3_EEv13rocblas_fill_17rocblas_diagonal_T1_iil ; -- Begin function _ZN9rocsolver6v33100L18trti2_kernel_smallILi19E19rocblas_complex_numIdEPKPS3_EEv13rocblas_fill_17rocblas_diagonal_T1_iil
	.p2align	8
	.type	_ZN9rocsolver6v33100L18trti2_kernel_smallILi19E19rocblas_complex_numIdEPKPS3_EEv13rocblas_fill_17rocblas_diagonal_T1_iil,@function
_ZN9rocsolver6v33100L18trti2_kernel_smallILi19E19rocblas_complex_numIdEPKPS3_EEv13rocblas_fill_17rocblas_diagonal_T1_iil: ; @_ZN9rocsolver6v33100L18trti2_kernel_smallILi19E19rocblas_complex_numIdEPKPS3_EEv13rocblas_fill_17rocblas_diagonal_T1_iil
; %bb.0:
	v_cmp_gt_u32_e32 vcc, 19, v0
	s_and_saveexec_b64 s[4:5], vcc
	s_cbranch_execz .LBB82_291
; %bb.1:
	s_load_dwordx2 s[8:9], s[0:1], 0x10
	s_load_dwordx4 s[4:7], s[0:1], 0x0
	s_ashr_i32 s3, s2, 31
	s_lshl_b64 s[0:1], s[2:3], 3
	v_lshlrev_b32_e32 v52, 4, v0
	s_waitcnt lgkmcnt(0)
	s_ashr_i32 s3, s8, 31
	s_add_u32 s0, s6, s0
	s_addc_u32 s1, s7, s1
	s_load_dwordx2 s[0:1], s[0:1], 0x0
	s_mov_b32 s2, s8
	s_lshl_b64 s[2:3], s[2:3], 4
	v_mov_b32_e32 v53, 0
	s_waitcnt lgkmcnt(0)
	s_add_u32 s0, s0, s2
	s_addc_u32 s1, s1, s3
	v_lshl_add_u64 v[14:15], s[0:1], 0, v[52:53]
	s_ashr_i32 s3, s9, 31
	s_mov_b32 s2, s9
	v_lshl_add_u64 v[16:17], s[2:3], 4, v[14:15]
	s_add_i32 s2, s9, s9
	v_add_u32_e32 v20, s2, v0
	v_add_u32_e32 v22, s9, v20
	v_add_u32_e32 v24, s9, v22
	v_add_u32_e32 v26, s9, v24
	v_ashrrev_i32_e32 v21, 31, v20
	v_add_u32_e32 v28, s9, v26
	global_load_dwordx4 v[2:5], v52, s[0:1]
	v_lshl_add_u64 v[18:19], v[20:21], 4, s[0:1]
	global_load_dwordx4 v[6:9], v[16:17], off
	global_load_dwordx4 v[10:13], v[18:19], off
	v_add_u32_e32 v30, s9, v28
	v_ashrrev_i32_e32 v23, 31, v22
	v_add_u32_e32 v32, s9, v30
	v_lshl_add_u64 v[20:21], v[22:23], 4, s[0:1]
	v_ashrrev_i32_e32 v25, 31, v24
	v_ashrrev_i32_e32 v27, 31, v26
	;; [unrolled: 1-line block ×5, first 2 shown]
	v_lshl_add_u64 v[22:23], v[24:25], 4, s[0:1]
	global_load_dwordx4 v[44:47], v[20:21], off
	global_load_dwordx4 v[48:51], v[22:23], off
	v_lshl_add_u64 v[24:25], v[26:27], 4, s[0:1]
	v_lshl_add_u64 v[26:27], v[28:29], 4, s[0:1]
	;; [unrolled: 1-line block ×4, first 2 shown]
	v_add_u32_e32 v32, s9, v32
	v_ashrrev_i32_e32 v33, 31, v32
	global_load_dwordx4 v[54:57], v[24:25], off
	global_load_dwordx4 v[58:61], v[26:27], off
	global_load_dwordx4 v[62:65], v[28:29], off
	global_load_dwordx4 v[66:69], v[30:31], off
	v_add_u32_e32 v36, s9, v32
	v_lshl_add_u64 v[32:33], v[32:33], 4, s[0:1]
	global_load_dwordx4 v[70:73], v[32:33], off
	v_ashrrev_i32_e32 v37, 31, v36
	v_lshl_add_u64 v[34:35], v[36:37], 4, s[0:1]
	global_load_dwordx4 v[74:77], v[34:35], off
	v_add_u32_e32 v36, s9, v36
	v_add_u32_e32 v38, s9, v36
	;; [unrolled: 1-line block ×4, first 2 shown]
	v_ashrrev_i32_e32 v37, 31, v36
	v_lshl_add_u64 v[36:37], v[36:37], 4, s[0:1]
	v_ashrrev_i32_e32 v39, 31, v38
	v_lshl_add_u64 v[38:39], v[38:39], 4, s[0:1]
	v_ashrrev_i32_e32 v41, 31, v40
	v_lshl_add_u64 v[40:41], v[40:41], 4, s[0:1]
	v_ashrrev_i32_e32 v43, 31, v42
	s_cmpk_lg_i32 s5, 0x84
	s_cselect_b64 s[6:7], -1, 0
	s_cmpk_eq_i32 s5, 0x84
	s_waitcnt vmcnt(10)
	scratch_store_dwordx4 off, v[2:5], off
	s_waitcnt vmcnt(10)
	scratch_store_dwordx4 off, v[6:9], off offset:16
	s_waitcnt vmcnt(10)
	scratch_store_dwordx4 off, v[10:13], off offset:32
	global_load_dwordx4 v[2:5], v[36:37], off
	global_load_dwordx4 v[6:9], v[38:39], off
	v_add_u32_e32 v10, s9, v42
	v_ashrrev_i32_e32 v11, 31, v10
	v_add_u32_e32 v12, s9, v10
	v_ashrrev_i32_e32 v13, 31, v12
	v_lshl_add_u64 v[42:43], v[42:43], 4, s[0:1]
	s_waitcnt vmcnt(12)
	scratch_store_dwordx4 off, v[44:47], off offset:48
	s_nop 1
	v_lshl_add_u64 v[44:45], v[10:11], 4, s[0:1]
	v_add_u32_e32 v10, s9, v12
	v_lshl_add_u64 v[46:47], v[12:13], 4, s[0:1]
	v_add_u32_e32 v12, s9, v10
	s_waitcnt vmcnt(12)
	scratch_store_dwordx4 off, v[48:51], off offset:64
	s_waitcnt vmcnt(12)
	scratch_store_dwordx4 off, v[54:57], off offset:80
	v_ashrrev_i32_e32 v11, 31, v10
	v_ashrrev_i32_e32 v13, 31, v12
	global_load_dwordx4 v[54:57], v[40:41], off
	global_load_dwordx4 v[78:81], v[42:43], off
	v_lshl_add_u64 v[48:49], v[10:11], 4, s[0:1]
	s_waitcnt vmcnt(14)
	scratch_store_dwordx4 off, v[58:61], off offset:96
	s_waitcnt vmcnt(14)
	scratch_store_dwordx4 off, v[62:65], off offset:112
	;; [unrolled: 2-line block ×3, first 2 shown]
	v_lshl_add_u64 v[50:51], v[12:13], 4, s[0:1]
	global_load_dwordx4 v[58:61], v[44:45], off
	global_load_dwordx4 v[62:65], v[46:47], off
	;; [unrolled: 1-line block ×3, first 2 shown]
	v_mov_b32_e32 v12, 0
	s_waitcnt vmcnt(17)
	scratch_store_dwordx4 off, v[70:73], off offset:144
	global_load_dwordx4 v[70:73], v[50:51], off
	s_waitcnt vmcnt(18)
	scratch_store_dwordx4 off, v[74:77], off offset:160
	s_waitcnt vmcnt(15)
	scratch_store_dwordx4 off, v[2:5], off offset:176
	;; [unrolled: 2-line block ×9, first 2 shown]
	s_cbranch_scc1 .LBB82_7
; %bb.2:
	scratch_load_dwordx4 v[2:5], v52, off
                                        ; implicit-def: $vgpr10_vgpr11
	s_waitcnt vmcnt(0)
	v_xor_b32_e32 v1, 0x80000000, v3
	v_cmp_gt_f64_e32 vcc, 0, v[2:3]
	v_xor_b32_e32 v8, 0x80000000, v5
	v_mov_b32_e32 v6, v2
	v_cndmask_b32_e32 v7, v3, v1, vcc
	v_cmp_gt_f64_e32 vcc, 0, v[4:5]
	s_nop 1
	v_cndmask_b32_e32 v9, v5, v8, vcc
	v_mov_b32_e32 v8, v4
	v_cmp_ngt_f64_e32 vcc, v[6:7], v[8:9]
                                        ; implicit-def: $vgpr6_vgpr7
	s_and_saveexec_b64 s[0:1], vcc
	s_xor_b64 s[0:1], exec, s[0:1]
	s_cbranch_execz .LBB82_4
; %bb.3:
	v_div_scale_f64 v[6:7], s[2:3], v[4:5], v[4:5], v[2:3]
	v_rcp_f64_e32 v[8:9], v[6:7]
	v_div_scale_f64 v[10:11], vcc, v[2:3], v[4:5], v[2:3]
	v_fma_f64 v[54:55], -v[6:7], v[8:9], 1.0
	v_fmac_f64_e32 v[8:9], v[8:9], v[54:55]
	v_fma_f64 v[54:55], -v[6:7], v[8:9], 1.0
	v_fmac_f64_e32 v[8:9], v[8:9], v[54:55]
	v_mul_f64 v[54:55], v[10:11], v[8:9]
	v_fma_f64 v[6:7], -v[6:7], v[54:55], v[10:11]
	v_div_fmas_f64 v[6:7], v[6:7], v[8:9], v[54:55]
	v_div_fixup_f64 v[6:7], v[6:7], v[4:5], v[2:3]
	v_fmac_f64_e32 v[4:5], v[2:3], v[6:7]
	v_div_scale_f64 v[2:3], s[2:3], v[4:5], v[4:5], 1.0
	v_rcp_f64_e32 v[8:9], v[2:3]
	s_nop 0
	v_fma_f64 v[10:11], -v[2:3], v[8:9], 1.0
	v_fmac_f64_e32 v[8:9], v[8:9], v[10:11]
	v_fma_f64 v[10:11], -v[2:3], v[8:9], 1.0
	v_fmac_f64_e32 v[8:9], v[8:9], v[10:11]
	v_div_scale_f64 v[10:11], vcc, 1.0, v[4:5], 1.0
	v_mul_f64 v[54:55], v[10:11], v[8:9]
	v_fma_f64 v[2:3], -v[2:3], v[54:55], v[10:11]
	s_nop 1
	v_div_fmas_f64 v[2:3], v[2:3], v[8:9], v[54:55]
	v_div_fixup_f64 v[8:9], v[2:3], v[4:5], 1.0
	v_mul_f64 v[6:7], v[6:7], v[8:9]
	v_xor_b32_e32 v9, 0x80000000, v9
	v_xor_b32_e32 v11, 0x80000000, v7
	v_mov_b32_e32 v10, v6
                                        ; implicit-def: $vgpr2_vgpr3
.LBB82_4:
	s_or_saveexec_b64 s[0:1], s[0:1]
	v_add_u32_e32 v1, 0, v52
	s_xor_b64 exec, exec, s[0:1]
	s_cbranch_execz .LBB82_6
; %bb.5:
	v_div_scale_f64 v[6:7], s[2:3], v[2:3], v[2:3], v[4:5]
	v_rcp_f64_e32 v[8:9], v[6:7]
	v_div_scale_f64 v[10:11], vcc, v[4:5], v[2:3], v[4:5]
	v_fma_f64 v[54:55], -v[6:7], v[8:9], 1.0
	v_fmac_f64_e32 v[8:9], v[8:9], v[54:55]
	v_fma_f64 v[54:55], -v[6:7], v[8:9], 1.0
	v_fmac_f64_e32 v[8:9], v[8:9], v[54:55]
	v_mul_f64 v[54:55], v[10:11], v[8:9]
	v_fma_f64 v[6:7], -v[6:7], v[54:55], v[10:11]
	v_div_fmas_f64 v[6:7], v[6:7], v[8:9], v[54:55]
	v_div_fixup_f64 v[8:9], v[6:7], v[2:3], v[4:5]
	v_fmac_f64_e32 v[2:3], v[4:5], v[8:9]
	v_div_scale_f64 v[4:5], s[2:3], v[2:3], v[2:3], 1.0
	v_rcp_f64_e32 v[6:7], v[4:5]
	s_nop 0
	v_fma_f64 v[10:11], -v[4:5], v[6:7], 1.0
	v_fmac_f64_e32 v[6:7], v[6:7], v[10:11]
	v_fma_f64 v[10:11], -v[4:5], v[6:7], 1.0
	v_fmac_f64_e32 v[6:7], v[6:7], v[10:11]
	v_div_scale_f64 v[10:11], vcc, 1.0, v[2:3], 1.0
	v_mul_f64 v[54:55], v[10:11], v[6:7]
	v_fma_f64 v[4:5], -v[4:5], v[54:55], v[10:11]
	s_nop 1
	v_div_fmas_f64 v[4:5], v[4:5], v[6:7], v[54:55]
	v_div_fixup_f64 v[6:7], v[4:5], v[2:3], 1.0
	v_xor_b32_e32 v11, 0x80000000, v7
	v_mov_b32_e32 v10, v6
	v_mul_f64 v[8:9], v[8:9], -v[6:7]
.LBB82_6:
	s_or_b64 exec, exec, s[0:1]
	scratch_store_dwordx4 v1, v[6:9], off
	s_nop 1
	v_xor_b32_e32 v9, 0x80000000, v9
	s_branch .LBB82_8
.LBB82_7:
	v_mov_b64_e32 v[8:9], 0
	v_mov_b64_e32 v[10:11], -1.0
.LBB82_8:
	v_add_u32_e32 v64, 16, v12
	v_add_u32_e32 v67, 32, v12
	;; [unrolled: 1-line block ×18, first 2 shown]
	v_mov_b32_e32 v12, v8
	v_mov_b32_e32 v13, v9
	s_cmpk_eq_i32 s4, 0x79
	v_add_u32_e32 v9, 0x130, v52
	v_add_u32_e32 v8, 0, v52
	ds_write_b128 v52, v[10:13]
	s_cbranch_scc1 .LBB82_148
; %bb.9:
	scratch_load_dwordx4 v[2:5], v1, off
	v_cmp_eq_u32_e64 s[0:1], 18, v0
	s_waitcnt vmcnt(0)
	ds_write_b128 v9, v[2:5]
	s_waitcnt lgkmcnt(0)
	; wave barrier
	s_waitcnt lgkmcnt(0)
	s_and_saveexec_b64 s[2:3], s[0:1]
	s_cbranch_execz .LBB82_13
; %bb.10:
	ds_read_b128 v[2:5], v9
	s_andn2_b64 vcc, exec, s[6:7]
	s_cbranch_vccnz .LBB82_12
; %bb.11:
	scratch_load_dwordx4 v[10:13], v8, off
	s_waitcnt vmcnt(0) lgkmcnt(0)
	v_mul_f64 v[6:7], v[4:5], v[12:13]
	v_mul_f64 v[12:13], v[2:3], v[12:13]
	v_fmac_f64_e32 v[12:13], v[4:5], v[10:11]
	v_fma_f64 v[2:3], v[2:3], v[10:11], -v[6:7]
	v_mov_b64_e32 v[4:5], v[12:13]
.LBB82_12:
	v_mov_b32_e32 v6, 0
	ds_read_b128 v[10:13], v6 offset:272
	s_waitcnt lgkmcnt(0)
	v_mul_f64 v[6:7], v[4:5], v[12:13]
	v_mul_f64 v[72:73], v[2:3], v[12:13]
	v_fma_f64 v[70:71], v[2:3], v[10:11], -v[6:7]
	v_fmac_f64_e32 v[72:73], v[4:5], v[10:11]
	scratch_store_dwordx4 off, v[70:73], off offset:272
.LBB82_13:
	s_or_b64 exec, exec, s[2:3]
	scratch_load_dwordx4 v[2:5], v55, off
	v_cmp_lt_u32_e64 s[2:3], 16, v0
	s_waitcnt vmcnt(0)
	ds_write_b128 v9, v[2:5]
	s_waitcnt lgkmcnt(0)
	; wave barrier
	s_waitcnt lgkmcnt(0)
	s_and_saveexec_b64 s[4:5], s[2:3]
	s_cbranch_execz .LBB82_19
; %bb.14:
	ds_read_b128 v[2:5], v9
	s_andn2_b64 vcc, exec, s[6:7]
	s_cbranch_vccnz .LBB82_16
; %bb.15:
	scratch_load_dwordx4 v[10:13], v8, off
	s_waitcnt vmcnt(0) lgkmcnt(0)
	v_mul_f64 v[6:7], v[4:5], v[12:13]
	v_mul_f64 v[12:13], v[2:3], v[12:13]
	v_fmac_f64_e32 v[12:13], v[4:5], v[10:11]
	v_fma_f64 v[2:3], v[2:3], v[10:11], -v[6:7]
	v_mov_b64_e32 v[4:5], v[12:13]
.LBB82_16:
	s_and_saveexec_b64 s[8:9], s[0:1]
	s_cbranch_execz .LBB82_18
; %bb.17:
	scratch_load_dwordx4 v[10:13], off, off offset:272
	v_mov_b32_e32 v6, 0
	ds_read_b128 v[70:73], v6 offset:576
	s_waitcnt vmcnt(0) lgkmcnt(0)
	v_mul_f64 v[6:7], v[70:71], v[12:13]
	v_mul_f64 v[12:13], v[72:73], v[12:13]
	v_fmac_f64_e32 v[6:7], v[72:73], v[10:11]
	v_fma_f64 v[10:11], v[70:71], v[10:11], -v[12:13]
	v_add_f64 v[4:5], v[4:5], v[6:7]
	v_add_f64 v[2:3], v[2:3], v[10:11]
.LBB82_18:
	s_or_b64 exec, exec, s[8:9]
	v_mov_b32_e32 v6, 0
	ds_read_b128 v[10:13], v6 offset:256
	s_waitcnt lgkmcnt(0)
	v_mul_f64 v[6:7], v[4:5], v[12:13]
	v_mul_f64 v[72:73], v[2:3], v[12:13]
	v_fma_f64 v[70:71], v[2:3], v[10:11], -v[6:7]
	v_fmac_f64_e32 v[72:73], v[4:5], v[10:11]
	scratch_store_dwordx4 off, v[70:73], off offset:256
.LBB82_19:
	s_or_b64 exec, exec, s[4:5]
	scratch_load_dwordx4 v[2:5], v54, off
	v_cmp_lt_u32_e64 s[0:1], 15, v0
	s_waitcnt vmcnt(0)
	ds_write_b128 v9, v[2:5]
	s_waitcnt lgkmcnt(0)
	; wave barrier
	s_waitcnt lgkmcnt(0)
	s_and_saveexec_b64 s[4:5], s[0:1]
	s_cbranch_execz .LBB82_27
; %bb.20:
	ds_read_b128 v[2:5], v9
	s_andn2_b64 vcc, exec, s[6:7]
	s_cbranch_vccnz .LBB82_22
; %bb.21:
	scratch_load_dwordx4 v[10:13], v8, off
	s_waitcnt vmcnt(0) lgkmcnt(0)
	v_mul_f64 v[6:7], v[4:5], v[12:13]
	v_mul_f64 v[12:13], v[2:3], v[12:13]
	v_fmac_f64_e32 v[12:13], v[4:5], v[10:11]
	v_fma_f64 v[2:3], v[2:3], v[10:11], -v[6:7]
	v_mov_b64_e32 v[4:5], v[12:13]
.LBB82_22:
	s_and_saveexec_b64 s[8:9], s[2:3]
	s_cbranch_execz .LBB82_26
; %bb.23:
	v_mov_b32_e32 v7, 0
	v_add_u32_e32 v6, -16, v0
	v_add_u32_e32 v7, 0x108, v7
	s_movk_i32 s10, 0x230
	s_mov_b64 s[2:3], 0
.LBB82_24:                              ; =>This Inner Loop Header: Depth=1
	v_add_u32_e32 v10, -8, v7
	scratch_load_dwordx4 v[10:13], v10, off
	v_mov_b32_e32 v70, s10
	ds_read_b128 v[70:73], v70
	v_add_u32_e32 v6, -1, v6
	s_add_i32 s10, s10, 16
	v_cmp_eq_u32_e32 vcc, 0, v6
	v_add_u32_e32 v7, 16, v7
	s_or_b64 s[2:3], vcc, s[2:3]
	s_waitcnt vmcnt(0) lgkmcnt(0)
	v_mul_f64 v[74:75], v[72:73], v[12:13]
	v_mul_f64 v[12:13], v[70:71], v[12:13]
	v_fma_f64 v[70:71], v[70:71], v[10:11], -v[74:75]
	v_fmac_f64_e32 v[12:13], v[72:73], v[10:11]
	v_add_f64 v[2:3], v[2:3], v[70:71]
	v_add_f64 v[4:5], v[4:5], v[12:13]
	s_andn2_b64 exec, exec, s[2:3]
	s_cbranch_execnz .LBB82_24
; %bb.25:
	s_or_b64 exec, exec, s[2:3]
.LBB82_26:
	s_or_b64 exec, exec, s[8:9]
	v_mov_b32_e32 v6, 0
	ds_read_b128 v[10:13], v6 offset:240
	s_waitcnt lgkmcnt(0)
	v_mul_f64 v[6:7], v[4:5], v[12:13]
	v_mul_f64 v[72:73], v[2:3], v[12:13]
	v_fma_f64 v[70:71], v[2:3], v[10:11], -v[6:7]
	v_fmac_f64_e32 v[72:73], v[4:5], v[10:11]
	scratch_store_dwordx4 off, v[70:73], off offset:240
.LBB82_27:
	s_or_b64 exec, exec, s[4:5]
	scratch_load_dwordx4 v[2:5], v57, off
	v_cmp_lt_u32_e64 s[2:3], 14, v0
	s_waitcnt vmcnt(0)
	ds_write_b128 v9, v[2:5]
	s_waitcnt lgkmcnt(0)
	; wave barrier
	s_waitcnt lgkmcnt(0)
	s_and_saveexec_b64 s[4:5], s[2:3]
	s_cbranch_execz .LBB82_35
; %bb.28:
	ds_read_b128 v[2:5], v9
	s_andn2_b64 vcc, exec, s[6:7]
	s_cbranch_vccnz .LBB82_30
; %bb.29:
	scratch_load_dwordx4 v[10:13], v8, off
	s_waitcnt vmcnt(0) lgkmcnt(0)
	v_mul_f64 v[6:7], v[4:5], v[12:13]
	v_mul_f64 v[12:13], v[2:3], v[12:13]
	v_fmac_f64_e32 v[12:13], v[4:5], v[10:11]
	v_fma_f64 v[2:3], v[2:3], v[10:11], -v[6:7]
	v_mov_b64_e32 v[4:5], v[12:13]
.LBB82_30:
	s_and_saveexec_b64 s[8:9], s[0:1]
	s_cbranch_execz .LBB82_34
; %bb.31:
	v_mov_b32_e32 v7, 0
	v_add_u32_e32 v6, -15, v0
	v_add_u32_e32 v7, 0xf8, v7
	s_movk_i32 s10, 0x220
	s_mov_b64 s[0:1], 0
.LBB82_32:                              ; =>This Inner Loop Header: Depth=1
	v_add_u32_e32 v10, -8, v7
	scratch_load_dwordx4 v[10:13], v10, off
	v_mov_b32_e32 v70, s10
	ds_read_b128 v[70:73], v70
	v_add_u32_e32 v6, -1, v6
	s_add_i32 s10, s10, 16
	v_cmp_eq_u32_e32 vcc, 0, v6
	v_add_u32_e32 v7, 16, v7
	s_or_b64 s[0:1], vcc, s[0:1]
	s_waitcnt vmcnt(0) lgkmcnt(0)
	v_mul_f64 v[74:75], v[72:73], v[12:13]
	v_mul_f64 v[12:13], v[70:71], v[12:13]
	v_fma_f64 v[70:71], v[70:71], v[10:11], -v[74:75]
	v_fmac_f64_e32 v[12:13], v[72:73], v[10:11]
	v_add_f64 v[2:3], v[2:3], v[70:71]
	v_add_f64 v[4:5], v[4:5], v[12:13]
	s_andn2_b64 exec, exec, s[0:1]
	s_cbranch_execnz .LBB82_32
; %bb.33:
	s_or_b64 exec, exec, s[0:1]
.LBB82_34:
	s_or_b64 exec, exec, s[8:9]
	v_mov_b32_e32 v6, 0
	ds_read_b128 v[10:13], v6 offset:224
	s_waitcnt lgkmcnt(0)
	v_mul_f64 v[6:7], v[4:5], v[12:13]
	v_mul_f64 v[72:73], v[2:3], v[12:13]
	v_fma_f64 v[70:71], v[2:3], v[10:11], -v[6:7]
	v_fmac_f64_e32 v[72:73], v[4:5], v[10:11]
	scratch_store_dwordx4 off, v[70:73], off offset:224
.LBB82_35:
	s_or_b64 exec, exec, s[4:5]
	scratch_load_dwordx4 v[2:5], v56, off
	v_cmp_lt_u32_e64 s[0:1], 13, v0
	s_waitcnt vmcnt(0)
	ds_write_b128 v9, v[2:5]
	s_waitcnt lgkmcnt(0)
	; wave barrier
	s_waitcnt lgkmcnt(0)
	s_and_saveexec_b64 s[4:5], s[0:1]
	s_cbranch_execz .LBB82_43
; %bb.36:
	ds_read_b128 v[2:5], v9
	s_andn2_b64 vcc, exec, s[6:7]
	s_cbranch_vccnz .LBB82_38
; %bb.37:
	scratch_load_dwordx4 v[10:13], v8, off
	s_waitcnt vmcnt(0) lgkmcnt(0)
	v_mul_f64 v[6:7], v[4:5], v[12:13]
	v_mul_f64 v[12:13], v[2:3], v[12:13]
	v_fmac_f64_e32 v[12:13], v[4:5], v[10:11]
	v_fma_f64 v[2:3], v[2:3], v[10:11], -v[6:7]
	v_mov_b64_e32 v[4:5], v[12:13]
.LBB82_38:
	s_and_saveexec_b64 s[8:9], s[2:3]
	s_cbranch_execz .LBB82_42
; %bb.39:
	v_mov_b32_e32 v7, 0
	v_add_u32_e32 v6, -14, v0
	v_add_u32_e32 v7, 0xe8, v7
	s_movk_i32 s10, 0x210
	s_mov_b64 s[2:3], 0
.LBB82_40:                              ; =>This Inner Loop Header: Depth=1
	v_add_u32_e32 v10, -8, v7
	scratch_load_dwordx4 v[10:13], v10, off
	v_mov_b32_e32 v70, s10
	ds_read_b128 v[70:73], v70
	v_add_u32_e32 v6, -1, v6
	s_add_i32 s10, s10, 16
	v_cmp_eq_u32_e32 vcc, 0, v6
	v_add_u32_e32 v7, 16, v7
	s_or_b64 s[2:3], vcc, s[2:3]
	s_waitcnt vmcnt(0) lgkmcnt(0)
	v_mul_f64 v[74:75], v[72:73], v[12:13]
	v_mul_f64 v[12:13], v[70:71], v[12:13]
	v_fma_f64 v[70:71], v[70:71], v[10:11], -v[74:75]
	v_fmac_f64_e32 v[12:13], v[72:73], v[10:11]
	v_add_f64 v[2:3], v[2:3], v[70:71]
	v_add_f64 v[4:5], v[4:5], v[12:13]
	s_andn2_b64 exec, exec, s[2:3]
	s_cbranch_execnz .LBB82_40
; %bb.41:
	s_or_b64 exec, exec, s[2:3]
.LBB82_42:
	s_or_b64 exec, exec, s[8:9]
	v_mov_b32_e32 v6, 0
	ds_read_b128 v[10:13], v6 offset:208
	s_waitcnt lgkmcnt(0)
	v_mul_f64 v[6:7], v[4:5], v[12:13]
	v_mul_f64 v[72:73], v[2:3], v[12:13]
	v_fma_f64 v[70:71], v[2:3], v[10:11], -v[6:7]
	v_fmac_f64_e32 v[72:73], v[4:5], v[10:11]
	scratch_store_dwordx4 off, v[70:73], off offset:208
.LBB82_43:
	s_or_b64 exec, exec, s[4:5]
	scratch_load_dwordx4 v[2:5], v59, off
	v_cmp_lt_u32_e64 s[2:3], 12, v0
	s_waitcnt vmcnt(0)
	ds_write_b128 v9, v[2:5]
	s_waitcnt lgkmcnt(0)
	; wave barrier
	s_waitcnt lgkmcnt(0)
	s_and_saveexec_b64 s[4:5], s[2:3]
	s_cbranch_execz .LBB82_51
; %bb.44:
	ds_read_b128 v[2:5], v9
	s_andn2_b64 vcc, exec, s[6:7]
	s_cbranch_vccnz .LBB82_46
; %bb.45:
	scratch_load_dwordx4 v[10:13], v8, off
	s_waitcnt vmcnt(0) lgkmcnt(0)
	v_mul_f64 v[6:7], v[4:5], v[12:13]
	v_mul_f64 v[12:13], v[2:3], v[12:13]
	v_fmac_f64_e32 v[12:13], v[4:5], v[10:11]
	v_fma_f64 v[2:3], v[2:3], v[10:11], -v[6:7]
	v_mov_b64_e32 v[4:5], v[12:13]
.LBB82_46:
	s_and_saveexec_b64 s[8:9], s[0:1]
	s_cbranch_execz .LBB82_50
; %bb.47:
	v_mov_b32_e32 v7, 0
	v_add_u32_e32 v6, -13, v0
	v_add_u32_e32 v7, 0xd8, v7
	s_movk_i32 s10, 0x200
	s_mov_b64 s[0:1], 0
.LBB82_48:                              ; =>This Inner Loop Header: Depth=1
	v_add_u32_e32 v10, -8, v7
	scratch_load_dwordx4 v[10:13], v10, off
	v_mov_b32_e32 v70, s10
	ds_read_b128 v[70:73], v70
	v_add_u32_e32 v6, -1, v6
	s_add_i32 s10, s10, 16
	v_cmp_eq_u32_e32 vcc, 0, v6
	v_add_u32_e32 v7, 16, v7
	s_or_b64 s[0:1], vcc, s[0:1]
	s_waitcnt vmcnt(0) lgkmcnt(0)
	v_mul_f64 v[74:75], v[72:73], v[12:13]
	v_mul_f64 v[12:13], v[70:71], v[12:13]
	v_fma_f64 v[70:71], v[70:71], v[10:11], -v[74:75]
	v_fmac_f64_e32 v[12:13], v[72:73], v[10:11]
	v_add_f64 v[2:3], v[2:3], v[70:71]
	v_add_f64 v[4:5], v[4:5], v[12:13]
	s_andn2_b64 exec, exec, s[0:1]
	s_cbranch_execnz .LBB82_48
; %bb.49:
	s_or_b64 exec, exec, s[0:1]
.LBB82_50:
	s_or_b64 exec, exec, s[8:9]
	v_mov_b32_e32 v6, 0
	ds_read_b128 v[10:13], v6 offset:192
	s_waitcnt lgkmcnt(0)
	v_mul_f64 v[6:7], v[4:5], v[12:13]
	v_mul_f64 v[72:73], v[2:3], v[12:13]
	v_fma_f64 v[70:71], v[2:3], v[10:11], -v[6:7]
	v_fmac_f64_e32 v[72:73], v[4:5], v[10:11]
	scratch_store_dwordx4 off, v[70:73], off offset:192
.LBB82_51:
	s_or_b64 exec, exec, s[4:5]
	scratch_load_dwordx4 v[2:5], v58, off
	v_cmp_lt_u32_e64 s[0:1], 11, v0
	s_waitcnt vmcnt(0)
	ds_write_b128 v9, v[2:5]
	s_waitcnt lgkmcnt(0)
	; wave barrier
	s_waitcnt lgkmcnt(0)
	s_and_saveexec_b64 s[4:5], s[0:1]
	s_cbranch_execz .LBB82_59
; %bb.52:
	ds_read_b128 v[2:5], v9
	s_andn2_b64 vcc, exec, s[6:7]
	s_cbranch_vccnz .LBB82_54
; %bb.53:
	scratch_load_dwordx4 v[10:13], v8, off
	s_waitcnt vmcnt(0) lgkmcnt(0)
	v_mul_f64 v[6:7], v[4:5], v[12:13]
	v_mul_f64 v[12:13], v[2:3], v[12:13]
	v_fmac_f64_e32 v[12:13], v[4:5], v[10:11]
	v_fma_f64 v[2:3], v[2:3], v[10:11], -v[6:7]
	v_mov_b64_e32 v[4:5], v[12:13]
.LBB82_54:
	s_and_saveexec_b64 s[8:9], s[2:3]
	s_cbranch_execz .LBB82_58
; %bb.55:
	v_mov_b32_e32 v7, 0
	v_add_u32_e32 v6, -12, v0
	v_add_u32_e32 v7, 0xc8, v7
	s_movk_i32 s10, 0x1f0
	s_mov_b64 s[2:3], 0
.LBB82_56:                              ; =>This Inner Loop Header: Depth=1
	v_add_u32_e32 v10, -8, v7
	scratch_load_dwordx4 v[10:13], v10, off
	v_mov_b32_e32 v70, s10
	ds_read_b128 v[70:73], v70
	v_add_u32_e32 v6, -1, v6
	s_add_i32 s10, s10, 16
	v_cmp_eq_u32_e32 vcc, 0, v6
	v_add_u32_e32 v7, 16, v7
	s_or_b64 s[2:3], vcc, s[2:3]
	s_waitcnt vmcnt(0) lgkmcnt(0)
	v_mul_f64 v[74:75], v[72:73], v[12:13]
	v_mul_f64 v[12:13], v[70:71], v[12:13]
	v_fma_f64 v[70:71], v[70:71], v[10:11], -v[74:75]
	v_fmac_f64_e32 v[12:13], v[72:73], v[10:11]
	v_add_f64 v[2:3], v[2:3], v[70:71]
	v_add_f64 v[4:5], v[4:5], v[12:13]
	s_andn2_b64 exec, exec, s[2:3]
	s_cbranch_execnz .LBB82_56
; %bb.57:
	s_or_b64 exec, exec, s[2:3]
.LBB82_58:
	s_or_b64 exec, exec, s[8:9]
	v_mov_b32_e32 v6, 0
	ds_read_b128 v[10:13], v6 offset:176
	s_waitcnt lgkmcnt(0)
	v_mul_f64 v[6:7], v[4:5], v[12:13]
	v_mul_f64 v[72:73], v[2:3], v[12:13]
	v_fma_f64 v[70:71], v[2:3], v[10:11], -v[6:7]
	v_fmac_f64_e32 v[72:73], v[4:5], v[10:11]
	scratch_store_dwordx4 off, v[70:73], off offset:176
.LBB82_59:
	s_or_b64 exec, exec, s[4:5]
	scratch_load_dwordx4 v[2:5], v60, off
	v_cmp_lt_u32_e64 s[2:3], 10, v0
	s_waitcnt vmcnt(0)
	ds_write_b128 v9, v[2:5]
	s_waitcnt lgkmcnt(0)
	; wave barrier
	s_waitcnt lgkmcnt(0)
	s_and_saveexec_b64 s[4:5], s[2:3]
	s_cbranch_execz .LBB82_67
; %bb.60:
	ds_read_b128 v[2:5], v9
	s_andn2_b64 vcc, exec, s[6:7]
	s_cbranch_vccnz .LBB82_62
; %bb.61:
	scratch_load_dwordx4 v[10:13], v8, off
	s_waitcnt vmcnt(0) lgkmcnt(0)
	v_mul_f64 v[6:7], v[4:5], v[12:13]
	v_mul_f64 v[12:13], v[2:3], v[12:13]
	v_fmac_f64_e32 v[12:13], v[4:5], v[10:11]
	v_fma_f64 v[2:3], v[2:3], v[10:11], -v[6:7]
	v_mov_b64_e32 v[4:5], v[12:13]
.LBB82_62:
	s_and_saveexec_b64 s[8:9], s[0:1]
	s_cbranch_execz .LBB82_66
; %bb.63:
	v_mov_b32_e32 v7, 0
	v_add_u32_e32 v6, -11, v0
	v_add_u32_e32 v7, 0xb8, v7
	s_movk_i32 s10, 0x1e0
	s_mov_b64 s[0:1], 0
.LBB82_64:                              ; =>This Inner Loop Header: Depth=1
	v_add_u32_e32 v10, -8, v7
	scratch_load_dwordx4 v[10:13], v10, off
	v_mov_b32_e32 v70, s10
	ds_read_b128 v[70:73], v70
	v_add_u32_e32 v6, -1, v6
	s_add_i32 s10, s10, 16
	v_cmp_eq_u32_e32 vcc, 0, v6
	v_add_u32_e32 v7, 16, v7
	s_or_b64 s[0:1], vcc, s[0:1]
	s_waitcnt vmcnt(0) lgkmcnt(0)
	v_mul_f64 v[74:75], v[72:73], v[12:13]
	v_mul_f64 v[12:13], v[70:71], v[12:13]
	v_fma_f64 v[70:71], v[70:71], v[10:11], -v[74:75]
	v_fmac_f64_e32 v[12:13], v[72:73], v[10:11]
	v_add_f64 v[2:3], v[2:3], v[70:71]
	v_add_f64 v[4:5], v[4:5], v[12:13]
	s_andn2_b64 exec, exec, s[0:1]
	s_cbranch_execnz .LBB82_64
; %bb.65:
	s_or_b64 exec, exec, s[0:1]
.LBB82_66:
	s_or_b64 exec, exec, s[8:9]
	v_mov_b32_e32 v6, 0
	ds_read_b128 v[10:13], v6 offset:160
	s_waitcnt lgkmcnt(0)
	v_mul_f64 v[6:7], v[4:5], v[12:13]
	v_mul_f64 v[72:73], v[2:3], v[12:13]
	v_fma_f64 v[70:71], v[2:3], v[10:11], -v[6:7]
	v_fmac_f64_e32 v[72:73], v[4:5], v[10:11]
	scratch_store_dwordx4 off, v[70:73], off offset:160
.LBB82_67:
	s_or_b64 exec, exec, s[4:5]
	scratch_load_dwordx4 v[2:5], v61, off
	v_cmp_lt_u32_e64 s[0:1], 9, v0
	s_waitcnt vmcnt(0)
	ds_write_b128 v9, v[2:5]
	s_waitcnt lgkmcnt(0)
	; wave barrier
	s_waitcnt lgkmcnt(0)
	s_and_saveexec_b64 s[4:5], s[0:1]
	s_cbranch_execz .LBB82_75
; %bb.68:
	ds_read_b128 v[2:5], v9
	s_andn2_b64 vcc, exec, s[6:7]
	s_cbranch_vccnz .LBB82_70
; %bb.69:
	scratch_load_dwordx4 v[10:13], v8, off
	s_waitcnt vmcnt(0) lgkmcnt(0)
	v_mul_f64 v[6:7], v[4:5], v[12:13]
	v_mul_f64 v[12:13], v[2:3], v[12:13]
	v_fmac_f64_e32 v[12:13], v[4:5], v[10:11]
	v_fma_f64 v[2:3], v[2:3], v[10:11], -v[6:7]
	v_mov_b64_e32 v[4:5], v[12:13]
.LBB82_70:
	s_and_saveexec_b64 s[8:9], s[2:3]
	s_cbranch_execz .LBB82_74
; %bb.71:
	v_mov_b32_e32 v7, 0
	v_add_u32_e32 v6, -10, v0
	v_add_u32_e32 v7, 0xa8, v7
	s_movk_i32 s10, 0x1d0
	s_mov_b64 s[2:3], 0
.LBB82_72:                              ; =>This Inner Loop Header: Depth=1
	v_add_u32_e32 v10, -8, v7
	scratch_load_dwordx4 v[10:13], v10, off
	v_mov_b32_e32 v70, s10
	ds_read_b128 v[70:73], v70
	v_add_u32_e32 v6, -1, v6
	s_add_i32 s10, s10, 16
	v_cmp_eq_u32_e32 vcc, 0, v6
	v_add_u32_e32 v7, 16, v7
	s_or_b64 s[2:3], vcc, s[2:3]
	s_waitcnt vmcnt(0) lgkmcnt(0)
	v_mul_f64 v[74:75], v[72:73], v[12:13]
	v_mul_f64 v[12:13], v[70:71], v[12:13]
	v_fma_f64 v[70:71], v[70:71], v[10:11], -v[74:75]
	v_fmac_f64_e32 v[12:13], v[72:73], v[10:11]
	v_add_f64 v[2:3], v[2:3], v[70:71]
	v_add_f64 v[4:5], v[4:5], v[12:13]
	s_andn2_b64 exec, exec, s[2:3]
	s_cbranch_execnz .LBB82_72
; %bb.73:
	s_or_b64 exec, exec, s[2:3]
.LBB82_74:
	s_or_b64 exec, exec, s[8:9]
	v_mov_b32_e32 v6, 0
	ds_read_b128 v[10:13], v6 offset:144
	s_waitcnt lgkmcnt(0)
	v_mul_f64 v[6:7], v[4:5], v[12:13]
	v_mul_f64 v[72:73], v[2:3], v[12:13]
	v_fma_f64 v[70:71], v[2:3], v[10:11], -v[6:7]
	v_fmac_f64_e32 v[72:73], v[4:5], v[10:11]
	scratch_store_dwordx4 off, v[70:73], off offset:144
.LBB82_75:
	s_or_b64 exec, exec, s[4:5]
	scratch_load_dwordx4 v[2:5], v62, off
	v_cmp_lt_u32_e64 s[2:3], 8, v0
	s_waitcnt vmcnt(0)
	ds_write_b128 v9, v[2:5]
	s_waitcnt lgkmcnt(0)
	; wave barrier
	s_waitcnt lgkmcnt(0)
	s_and_saveexec_b64 s[4:5], s[2:3]
	s_cbranch_execz .LBB82_83
; %bb.76:
	ds_read_b128 v[2:5], v9
	s_andn2_b64 vcc, exec, s[6:7]
	s_cbranch_vccnz .LBB82_78
; %bb.77:
	scratch_load_dwordx4 v[10:13], v8, off
	s_waitcnt vmcnt(0) lgkmcnt(0)
	v_mul_f64 v[6:7], v[4:5], v[12:13]
	v_mul_f64 v[12:13], v[2:3], v[12:13]
	v_fmac_f64_e32 v[12:13], v[4:5], v[10:11]
	v_fma_f64 v[2:3], v[2:3], v[10:11], -v[6:7]
	v_mov_b64_e32 v[4:5], v[12:13]
.LBB82_78:
	s_and_saveexec_b64 s[8:9], s[0:1]
	s_cbranch_execz .LBB82_82
; %bb.79:
	v_mov_b32_e32 v7, 0
	v_add_u32_e32 v6, -9, v0
	v_add_u32_e32 v7, 0x98, v7
	s_movk_i32 s10, 0x1c0
	s_mov_b64 s[0:1], 0
.LBB82_80:                              ; =>This Inner Loop Header: Depth=1
	v_add_u32_e32 v10, -8, v7
	scratch_load_dwordx4 v[10:13], v10, off
	v_mov_b32_e32 v70, s10
	ds_read_b128 v[70:73], v70
	v_add_u32_e32 v6, -1, v6
	s_add_i32 s10, s10, 16
	v_cmp_eq_u32_e32 vcc, 0, v6
	v_add_u32_e32 v7, 16, v7
	s_or_b64 s[0:1], vcc, s[0:1]
	s_waitcnt vmcnt(0) lgkmcnt(0)
	v_mul_f64 v[74:75], v[72:73], v[12:13]
	v_mul_f64 v[12:13], v[70:71], v[12:13]
	v_fma_f64 v[70:71], v[70:71], v[10:11], -v[74:75]
	v_fmac_f64_e32 v[12:13], v[72:73], v[10:11]
	v_add_f64 v[2:3], v[2:3], v[70:71]
	v_add_f64 v[4:5], v[4:5], v[12:13]
	s_andn2_b64 exec, exec, s[0:1]
	s_cbranch_execnz .LBB82_80
; %bb.81:
	s_or_b64 exec, exec, s[0:1]
.LBB82_82:
	s_or_b64 exec, exec, s[8:9]
	v_mov_b32_e32 v6, 0
	ds_read_b128 v[10:13], v6 offset:128
	s_waitcnt lgkmcnt(0)
	v_mul_f64 v[6:7], v[4:5], v[12:13]
	v_mul_f64 v[72:73], v[2:3], v[12:13]
	v_fma_f64 v[70:71], v[2:3], v[10:11], -v[6:7]
	v_fmac_f64_e32 v[72:73], v[4:5], v[10:11]
	scratch_store_dwordx4 off, v[70:73], off offset:128
.LBB82_83:
	s_or_b64 exec, exec, s[4:5]
	scratch_load_dwordx4 v[2:5], v63, off
	v_cmp_lt_u32_e64 s[0:1], 7, v0
	s_waitcnt vmcnt(0)
	ds_write_b128 v9, v[2:5]
	s_waitcnt lgkmcnt(0)
	; wave barrier
	s_waitcnt lgkmcnt(0)
	s_and_saveexec_b64 s[4:5], s[0:1]
	s_cbranch_execz .LBB82_91
; %bb.84:
	ds_read_b128 v[2:5], v9
	s_andn2_b64 vcc, exec, s[6:7]
	s_cbranch_vccnz .LBB82_86
; %bb.85:
	scratch_load_dwordx4 v[10:13], v8, off
	s_waitcnt vmcnt(0) lgkmcnt(0)
	v_mul_f64 v[6:7], v[4:5], v[12:13]
	v_mul_f64 v[12:13], v[2:3], v[12:13]
	v_fmac_f64_e32 v[12:13], v[4:5], v[10:11]
	v_fma_f64 v[2:3], v[2:3], v[10:11], -v[6:7]
	v_mov_b64_e32 v[4:5], v[12:13]
.LBB82_86:
	s_and_saveexec_b64 s[8:9], s[2:3]
	s_cbranch_execz .LBB82_90
; %bb.87:
	v_mov_b32_e32 v7, 0
	v_add_u32_e32 v6, -8, v0
	v_add_u32_e32 v7, 0x88, v7
	s_movk_i32 s10, 0x1b0
	s_mov_b64 s[2:3], 0
.LBB82_88:                              ; =>This Inner Loop Header: Depth=1
	v_add_u32_e32 v10, -8, v7
	scratch_load_dwordx4 v[10:13], v10, off
	v_mov_b32_e32 v70, s10
	ds_read_b128 v[70:73], v70
	v_add_u32_e32 v6, -1, v6
	s_add_i32 s10, s10, 16
	v_cmp_eq_u32_e32 vcc, 0, v6
	v_add_u32_e32 v7, 16, v7
	s_or_b64 s[2:3], vcc, s[2:3]
	s_waitcnt vmcnt(0) lgkmcnt(0)
	v_mul_f64 v[74:75], v[72:73], v[12:13]
	v_mul_f64 v[12:13], v[70:71], v[12:13]
	v_fma_f64 v[70:71], v[70:71], v[10:11], -v[74:75]
	v_fmac_f64_e32 v[12:13], v[72:73], v[10:11]
	v_add_f64 v[2:3], v[2:3], v[70:71]
	v_add_f64 v[4:5], v[4:5], v[12:13]
	s_andn2_b64 exec, exec, s[2:3]
	s_cbranch_execnz .LBB82_88
; %bb.89:
	s_or_b64 exec, exec, s[2:3]
.LBB82_90:
	s_or_b64 exec, exec, s[8:9]
	v_mov_b32_e32 v6, 0
	ds_read_b128 v[10:13], v6 offset:112
	s_waitcnt lgkmcnt(0)
	v_mul_f64 v[6:7], v[4:5], v[12:13]
	v_mul_f64 v[72:73], v[2:3], v[12:13]
	v_fma_f64 v[70:71], v[2:3], v[10:11], -v[6:7]
	v_fmac_f64_e32 v[72:73], v[4:5], v[10:11]
	scratch_store_dwordx4 off, v[70:73], off offset:112
.LBB82_91:
	s_or_b64 exec, exec, s[4:5]
	scratch_load_dwordx4 v[2:5], v65, off
	v_cmp_lt_u32_e64 s[2:3], 6, v0
	s_waitcnt vmcnt(0)
	ds_write_b128 v9, v[2:5]
	s_waitcnt lgkmcnt(0)
	; wave barrier
	s_waitcnt lgkmcnt(0)
	s_and_saveexec_b64 s[4:5], s[2:3]
	s_cbranch_execz .LBB82_99
; %bb.92:
	ds_read_b128 v[2:5], v9
	s_andn2_b64 vcc, exec, s[6:7]
	s_cbranch_vccnz .LBB82_94
; %bb.93:
	scratch_load_dwordx4 v[10:13], v8, off
	s_waitcnt vmcnt(0) lgkmcnt(0)
	v_mul_f64 v[6:7], v[4:5], v[12:13]
	v_mul_f64 v[12:13], v[2:3], v[12:13]
	v_fmac_f64_e32 v[12:13], v[4:5], v[10:11]
	v_fma_f64 v[2:3], v[2:3], v[10:11], -v[6:7]
	v_mov_b64_e32 v[4:5], v[12:13]
.LBB82_94:
	s_and_saveexec_b64 s[8:9], s[0:1]
	s_cbranch_execz .LBB82_98
; %bb.95:
	v_mov_b32_e32 v7, 0
	v_add_u32_e32 v6, -7, v0
	v_add_u32_e32 v7, 0x78, v7
	s_movk_i32 s10, 0x1a0
	s_mov_b64 s[0:1], 0
.LBB82_96:                              ; =>This Inner Loop Header: Depth=1
	v_add_u32_e32 v10, -8, v7
	scratch_load_dwordx4 v[10:13], v10, off
	v_mov_b32_e32 v70, s10
	ds_read_b128 v[70:73], v70
	v_add_u32_e32 v6, -1, v6
	s_add_i32 s10, s10, 16
	v_cmp_eq_u32_e32 vcc, 0, v6
	v_add_u32_e32 v7, 16, v7
	s_or_b64 s[0:1], vcc, s[0:1]
	s_waitcnt vmcnt(0) lgkmcnt(0)
	v_mul_f64 v[74:75], v[72:73], v[12:13]
	v_mul_f64 v[12:13], v[70:71], v[12:13]
	v_fma_f64 v[70:71], v[70:71], v[10:11], -v[74:75]
	v_fmac_f64_e32 v[12:13], v[72:73], v[10:11]
	v_add_f64 v[2:3], v[2:3], v[70:71]
	v_add_f64 v[4:5], v[4:5], v[12:13]
	s_andn2_b64 exec, exec, s[0:1]
	s_cbranch_execnz .LBB82_96
; %bb.97:
	s_or_b64 exec, exec, s[0:1]
.LBB82_98:
	s_or_b64 exec, exec, s[8:9]
	v_mov_b32_e32 v6, 0
	ds_read_b128 v[10:13], v6 offset:96
	s_waitcnt lgkmcnt(0)
	v_mul_f64 v[6:7], v[4:5], v[12:13]
	v_mul_f64 v[72:73], v[2:3], v[12:13]
	v_fma_f64 v[70:71], v[2:3], v[10:11], -v[6:7]
	v_fmac_f64_e32 v[72:73], v[4:5], v[10:11]
	scratch_store_dwordx4 off, v[70:73], off offset:96
.LBB82_99:
	s_or_b64 exec, exec, s[4:5]
	scratch_load_dwordx4 v[2:5], v69, off
	v_cmp_lt_u32_e64 s[0:1], 5, v0
	s_waitcnt vmcnt(0)
	ds_write_b128 v9, v[2:5]
	s_waitcnt lgkmcnt(0)
	; wave barrier
	s_waitcnt lgkmcnt(0)
	s_and_saveexec_b64 s[4:5], s[0:1]
	s_cbranch_execz .LBB82_107
; %bb.100:
	ds_read_b128 v[2:5], v9
	s_andn2_b64 vcc, exec, s[6:7]
	s_cbranch_vccnz .LBB82_102
; %bb.101:
	scratch_load_dwordx4 v[10:13], v8, off
	s_waitcnt vmcnt(0) lgkmcnt(0)
	v_mul_f64 v[6:7], v[4:5], v[12:13]
	v_mul_f64 v[12:13], v[2:3], v[12:13]
	v_fmac_f64_e32 v[12:13], v[4:5], v[10:11]
	v_fma_f64 v[2:3], v[2:3], v[10:11], -v[6:7]
	v_mov_b64_e32 v[4:5], v[12:13]
.LBB82_102:
	s_and_saveexec_b64 s[8:9], s[2:3]
	s_cbranch_execz .LBB82_106
; %bb.103:
	v_mov_b32_e32 v7, 0
	v_add_u32_e32 v6, -6, v0
	v_add_u32_e32 v7, 0x68, v7
	s_movk_i32 s10, 0x190
	s_mov_b64 s[2:3], 0
.LBB82_104:                             ; =>This Inner Loop Header: Depth=1
	v_add_u32_e32 v10, -8, v7
	scratch_load_dwordx4 v[10:13], v10, off
	v_mov_b32_e32 v70, s10
	ds_read_b128 v[70:73], v70
	v_add_u32_e32 v6, -1, v6
	s_add_i32 s10, s10, 16
	v_cmp_eq_u32_e32 vcc, 0, v6
	v_add_u32_e32 v7, 16, v7
	s_or_b64 s[2:3], vcc, s[2:3]
	s_waitcnt vmcnt(0) lgkmcnt(0)
	v_mul_f64 v[74:75], v[72:73], v[12:13]
	v_mul_f64 v[12:13], v[70:71], v[12:13]
	v_fma_f64 v[70:71], v[70:71], v[10:11], -v[74:75]
	v_fmac_f64_e32 v[12:13], v[72:73], v[10:11]
	v_add_f64 v[2:3], v[2:3], v[70:71]
	v_add_f64 v[4:5], v[4:5], v[12:13]
	s_andn2_b64 exec, exec, s[2:3]
	s_cbranch_execnz .LBB82_104
; %bb.105:
	s_or_b64 exec, exec, s[2:3]
.LBB82_106:
	s_or_b64 exec, exec, s[8:9]
	v_mov_b32_e32 v6, 0
	ds_read_b128 v[10:13], v6 offset:80
	s_waitcnt lgkmcnt(0)
	v_mul_f64 v[6:7], v[4:5], v[12:13]
	v_mul_f64 v[72:73], v[2:3], v[12:13]
	v_fma_f64 v[70:71], v[2:3], v[10:11], -v[6:7]
	v_fmac_f64_e32 v[72:73], v[4:5], v[10:11]
	scratch_store_dwordx4 off, v[70:73], off offset:80
.LBB82_107:
	s_or_b64 exec, exec, s[4:5]
	scratch_load_dwordx4 v[2:5], v68, off
	v_cmp_lt_u32_e64 s[2:3], 4, v0
	s_waitcnt vmcnt(0)
	ds_write_b128 v9, v[2:5]
	s_waitcnt lgkmcnt(0)
	; wave barrier
	s_waitcnt lgkmcnt(0)
	s_and_saveexec_b64 s[4:5], s[2:3]
	s_cbranch_execz .LBB82_115
; %bb.108:
	ds_read_b128 v[2:5], v9
	s_andn2_b64 vcc, exec, s[6:7]
	s_cbranch_vccnz .LBB82_110
; %bb.109:
	scratch_load_dwordx4 v[10:13], v8, off
	s_waitcnt vmcnt(0) lgkmcnt(0)
	v_mul_f64 v[6:7], v[4:5], v[12:13]
	v_mul_f64 v[12:13], v[2:3], v[12:13]
	v_fmac_f64_e32 v[12:13], v[4:5], v[10:11]
	v_fma_f64 v[2:3], v[2:3], v[10:11], -v[6:7]
	v_mov_b64_e32 v[4:5], v[12:13]
.LBB82_110:
	s_and_saveexec_b64 s[8:9], s[0:1]
	s_cbranch_execz .LBB82_114
; %bb.111:
	v_mov_b32_e32 v7, 0
	v_add_u32_e32 v6, -5, v0
	v_add_u32_e32 v7, 0x58, v7
	s_movk_i32 s10, 0x180
	s_mov_b64 s[0:1], 0
.LBB82_112:                             ; =>This Inner Loop Header: Depth=1
	v_add_u32_e32 v10, -8, v7
	scratch_load_dwordx4 v[10:13], v10, off
	v_mov_b32_e32 v70, s10
	ds_read_b128 v[70:73], v70
	v_add_u32_e32 v6, -1, v6
	s_add_i32 s10, s10, 16
	v_cmp_eq_u32_e32 vcc, 0, v6
	v_add_u32_e32 v7, 16, v7
	s_or_b64 s[0:1], vcc, s[0:1]
	s_waitcnt vmcnt(0) lgkmcnt(0)
	v_mul_f64 v[74:75], v[72:73], v[12:13]
	v_mul_f64 v[12:13], v[70:71], v[12:13]
	v_fma_f64 v[70:71], v[70:71], v[10:11], -v[74:75]
	v_fmac_f64_e32 v[12:13], v[72:73], v[10:11]
	v_add_f64 v[2:3], v[2:3], v[70:71]
	v_add_f64 v[4:5], v[4:5], v[12:13]
	s_andn2_b64 exec, exec, s[0:1]
	s_cbranch_execnz .LBB82_112
; %bb.113:
	s_or_b64 exec, exec, s[0:1]
.LBB82_114:
	s_or_b64 exec, exec, s[8:9]
	v_mov_b32_e32 v6, 0
	ds_read_b128 v[10:13], v6 offset:64
	s_waitcnt lgkmcnt(0)
	v_mul_f64 v[6:7], v[4:5], v[12:13]
	v_mul_f64 v[72:73], v[2:3], v[12:13]
	v_fma_f64 v[70:71], v[2:3], v[10:11], -v[6:7]
	v_fmac_f64_e32 v[72:73], v[4:5], v[10:11]
	scratch_store_dwordx4 off, v[70:73], off offset:64
.LBB82_115:
	;; [unrolled: 63-line block ×5, first 2 shown]
	s_or_b64 exec, exec, s[4:5]
	scratch_load_dwordx4 v[2:5], off, off
	v_cmp_ne_u32_e32 vcc, 0, v0
	s_mov_b64 s[2:3], 0
	s_mov_b64 s[4:5], 0
                                        ; implicit-def: $vgpr6_vgpr7
                                        ; implicit-def: $vgpr10
	s_waitcnt vmcnt(0)
	ds_write_b128 v9, v[2:5]
	s_waitcnt lgkmcnt(0)
	; wave barrier
	s_waitcnt lgkmcnt(0)
	s_and_saveexec_b64 s[8:9], vcc
	s_cbranch_execz .LBB82_147
; %bb.140:
	ds_read_b128 v[2:5], v9
	s_andn2_b64 vcc, exec, s[6:7]
	s_cbranch_vccnz .LBB82_142
; %bb.141:
	scratch_load_dwordx4 v[10:13], v8, off
	s_waitcnt vmcnt(0) lgkmcnt(0)
	v_mul_f64 v[6:7], v[4:5], v[12:13]
	v_mul_f64 v[12:13], v[2:3], v[12:13]
	v_fmac_f64_e32 v[12:13], v[4:5], v[10:11]
	v_fma_f64 v[2:3], v[2:3], v[10:11], -v[6:7]
	v_mov_b64_e32 v[4:5], v[12:13]
.LBB82_142:
	s_and_saveexec_b64 s[4:5], s[0:1]
	s_cbranch_execz .LBB82_146
; %bb.143:
	v_mov_b32_e32 v7, 0
	v_add_u32_e32 v6, -1, v0
	v_add_u32_e32 v7, 24, v7
	s_movk_i32 s10, 0x140
	s_mov_b64 s[0:1], 0
.LBB82_144:                             ; =>This Inner Loop Header: Depth=1
	v_add_u32_e32 v10, -8, v7
	scratch_load_dwordx4 v[10:13], v10, off
	v_mov_b32_e32 v70, s10
	ds_read_b128 v[70:73], v70
	v_add_u32_e32 v6, -1, v6
	s_add_i32 s10, s10, 16
	v_cmp_eq_u32_e32 vcc, 0, v6
	v_add_u32_e32 v7, 16, v7
	s_or_b64 s[0:1], vcc, s[0:1]
	s_waitcnt vmcnt(0) lgkmcnt(0)
	v_mul_f64 v[74:75], v[72:73], v[12:13]
	v_mul_f64 v[12:13], v[70:71], v[12:13]
	v_fma_f64 v[70:71], v[70:71], v[10:11], -v[74:75]
	v_fmac_f64_e32 v[12:13], v[72:73], v[10:11]
	v_add_f64 v[2:3], v[2:3], v[70:71]
	v_add_f64 v[4:5], v[4:5], v[12:13]
	s_andn2_b64 exec, exec, s[0:1]
	s_cbranch_execnz .LBB82_144
; %bb.145:
	s_or_b64 exec, exec, s[0:1]
.LBB82_146:
	s_or_b64 exec, exec, s[4:5]
	v_mov_b32_e32 v6, 0
	ds_read_b128 v[70:73], v6
	v_mov_b32_e32 v6, 0
	v_or_b32_e32 v10, 8, v6
	s_mov_b64 s[4:5], exec
	s_waitcnt lgkmcnt(0)
	v_mul_f64 v[12:13], v[4:5], v[72:73]
	v_mul_f64 v[6:7], v[2:3], v[72:73]
	v_fma_f64 v[2:3], v[2:3], v[70:71], -v[12:13]
	v_fmac_f64_e32 v[6:7], v[4:5], v[70:71]
	scratch_store_dwordx2 off, v[2:3], off
.LBB82_147:
	s_or_b64 exec, exec, s[8:9]
	s_and_b64 vcc, exec, s[2:3]
	s_cbranch_vccnz .LBB82_149
	s_branch .LBB82_288
.LBB82_148:
	s_mov_b64 s[4:5], 0
                                        ; implicit-def: $vgpr6_vgpr7
                                        ; implicit-def: $vgpr10
	s_cbranch_execz .LBB82_288
.LBB82_149:
	scratch_load_dwordx4 v[2:5], v64, off
	v_cndmask_b32_e64 v6, 0, 1, s[6:7]
	v_cmp_eq_u32_e64 s[2:3], 0, v0
	v_cmp_ne_u32_e64 s[0:1], 1, v6
	s_waitcnt vmcnt(0)
	ds_write_b128 v9, v[2:5]
	s_waitcnt lgkmcnt(0)
	; wave barrier
	s_waitcnt lgkmcnt(0)
	s_and_saveexec_b64 s[6:7], s[2:3]
	s_cbranch_execz .LBB82_153
; %bb.150:
	ds_read_b128 v[2:5], v9
	s_and_b64 vcc, exec, s[0:1]
	s_cbranch_vccnz .LBB82_152
; %bb.151:
	scratch_load_dwordx4 v[10:13], v8, off
	s_waitcnt vmcnt(0) lgkmcnt(0)
	v_mul_f64 v[6:7], v[4:5], v[12:13]
	v_mul_f64 v[12:13], v[2:3], v[12:13]
	v_fmac_f64_e32 v[12:13], v[4:5], v[10:11]
	v_fma_f64 v[2:3], v[2:3], v[10:11], -v[6:7]
	v_mov_b64_e32 v[4:5], v[12:13]
.LBB82_152:
	v_mov_b32_e32 v6, 0
	ds_read_b128 v[10:13], v6 offset:16
	s_waitcnt lgkmcnt(0)
	v_mul_f64 v[6:7], v[4:5], v[12:13]
	v_mul_f64 v[72:73], v[2:3], v[12:13]
	v_fma_f64 v[70:71], v[2:3], v[10:11], -v[6:7]
	v_fmac_f64_e32 v[72:73], v[4:5], v[10:11]
	scratch_store_dwordx4 off, v[70:73], off offset:16
.LBB82_153:
	s_or_b64 exec, exec, s[6:7]
	scratch_load_dwordx4 v[2:5], v67, off
	v_cmp_gt_u32_e32 vcc, 2, v0
	s_waitcnt vmcnt(0)
	ds_write_b128 v9, v[2:5]
	s_waitcnt lgkmcnt(0)
	; wave barrier
	s_waitcnt lgkmcnt(0)
	s_and_saveexec_b64 s[6:7], vcc
	s_cbranch_execz .LBB82_159
; %bb.154:
	ds_read_b128 v[2:5], v9
	s_and_b64 vcc, exec, s[0:1]
	s_cbranch_vccnz .LBB82_156
; %bb.155:
	scratch_load_dwordx4 v[10:13], v8, off
	s_waitcnt vmcnt(0) lgkmcnt(0)
	v_mul_f64 v[6:7], v[4:5], v[12:13]
	v_mul_f64 v[12:13], v[2:3], v[12:13]
	v_fmac_f64_e32 v[12:13], v[4:5], v[10:11]
	v_fma_f64 v[2:3], v[2:3], v[10:11], -v[6:7]
	v_mov_b64_e32 v[4:5], v[12:13]
.LBB82_156:
	s_and_saveexec_b64 s[8:9], s[2:3]
	s_cbranch_execz .LBB82_158
; %bb.157:
	scratch_load_dwordx4 v[10:13], v8, off offset:16
	ds_read_b128 v[70:73], v9 offset:16
	s_waitcnt vmcnt(0) lgkmcnt(0)
	v_mul_f64 v[6:7], v[72:73], v[12:13]
	v_mul_f64 v[12:13], v[70:71], v[12:13]
	v_fma_f64 v[6:7], v[70:71], v[10:11], -v[6:7]
	v_fmac_f64_e32 v[12:13], v[72:73], v[10:11]
	v_add_f64 v[2:3], v[2:3], v[6:7]
	v_add_f64 v[4:5], v[4:5], v[12:13]
.LBB82_158:
	s_or_b64 exec, exec, s[8:9]
	v_mov_b32_e32 v6, 0
	ds_read_b128 v[10:13], v6 offset:32
	s_waitcnt lgkmcnt(0)
	v_mul_f64 v[6:7], v[4:5], v[12:13]
	v_mul_f64 v[72:73], v[2:3], v[12:13]
	v_fma_f64 v[70:71], v[2:3], v[10:11], -v[6:7]
	v_fmac_f64_e32 v[72:73], v[4:5], v[10:11]
	scratch_store_dwordx4 off, v[70:73], off offset:32
.LBB82_159:
	s_or_b64 exec, exec, s[6:7]
	scratch_load_dwordx4 v[2:5], v66, off
	v_cmp_gt_u32_e32 vcc, 3, v0
	s_waitcnt vmcnt(0)
	ds_write_b128 v9, v[2:5]
	s_waitcnt lgkmcnt(0)
	; wave barrier
	s_waitcnt lgkmcnt(0)
	s_and_saveexec_b64 s[6:7], vcc
	s_cbranch_execz .LBB82_167
; %bb.160:
	ds_read_b128 v[2:5], v9
	s_and_b64 vcc, exec, s[0:1]
	s_cbranch_vccnz .LBB82_162
; %bb.161:
	scratch_load_dwordx4 v[10:13], v8, off
	s_waitcnt vmcnt(0) lgkmcnt(0)
	v_mul_f64 v[6:7], v[4:5], v[12:13]
	v_mul_f64 v[12:13], v[2:3], v[12:13]
	v_fmac_f64_e32 v[12:13], v[4:5], v[10:11]
	v_fma_f64 v[2:3], v[2:3], v[10:11], -v[6:7]
	v_mov_b64_e32 v[4:5], v[12:13]
.LBB82_162:
	v_cmp_ne_u32_e32 vcc, 2, v0
	s_and_saveexec_b64 s[8:9], vcc
	s_cbranch_execz .LBB82_166
; %bb.163:
	scratch_load_dwordx4 v[10:13], v8, off offset:16
	ds_read_b128 v[70:73], v9 offset:16
	s_waitcnt vmcnt(0) lgkmcnt(0)
	v_mul_f64 v[6:7], v[72:73], v[12:13]
	v_mul_f64 v[12:13], v[70:71], v[12:13]
	v_fma_f64 v[6:7], v[70:71], v[10:11], -v[6:7]
	v_fmac_f64_e32 v[12:13], v[72:73], v[10:11]
	v_add_f64 v[2:3], v[2:3], v[6:7]
	v_add_f64 v[4:5], v[4:5], v[12:13]
	s_and_saveexec_b64 s[10:11], s[2:3]
	s_cbranch_execz .LBB82_165
; %bb.164:
	scratch_load_dwordx4 v[10:13], off, off offset:32
	v_mov_b32_e32 v6, 0
	ds_read_b128 v[70:73], v6 offset:336
	s_waitcnt vmcnt(0) lgkmcnt(0)
	v_mul_f64 v[6:7], v[70:71], v[12:13]
	v_mul_f64 v[12:13], v[72:73], v[12:13]
	v_fmac_f64_e32 v[6:7], v[72:73], v[10:11]
	v_fma_f64 v[10:11], v[70:71], v[10:11], -v[12:13]
	v_add_f64 v[4:5], v[4:5], v[6:7]
	v_add_f64 v[2:3], v[2:3], v[10:11]
.LBB82_165:
	s_or_b64 exec, exec, s[10:11]
.LBB82_166:
	s_or_b64 exec, exec, s[8:9]
	v_mov_b32_e32 v6, 0
	ds_read_b128 v[10:13], v6 offset:48
	s_waitcnt lgkmcnt(0)
	v_mul_f64 v[6:7], v[4:5], v[12:13]
	v_mul_f64 v[72:73], v[2:3], v[12:13]
	v_fma_f64 v[70:71], v[2:3], v[10:11], -v[6:7]
	v_fmac_f64_e32 v[72:73], v[4:5], v[10:11]
	scratch_store_dwordx4 off, v[70:73], off offset:48
.LBB82_167:
	s_or_b64 exec, exec, s[6:7]
	scratch_load_dwordx4 v[2:5], v68, off
	v_cmp_gt_u32_e32 vcc, 4, v0
	s_waitcnt vmcnt(0)
	ds_write_b128 v9, v[2:5]
	s_waitcnt lgkmcnt(0)
	; wave barrier
	s_waitcnt lgkmcnt(0)
	s_and_saveexec_b64 s[2:3], vcc
	s_cbranch_execz .LBB82_175
; %bb.168:
	ds_read_b128 v[2:5], v9
	s_and_b64 vcc, exec, s[0:1]
	s_cbranch_vccnz .LBB82_170
; %bb.169:
	scratch_load_dwordx4 v[10:13], v8, off
	s_waitcnt vmcnt(0) lgkmcnt(0)
	v_mul_f64 v[6:7], v[4:5], v[12:13]
	v_mul_f64 v[12:13], v[2:3], v[12:13]
	v_fmac_f64_e32 v[12:13], v[4:5], v[10:11]
	v_fma_f64 v[2:3], v[2:3], v[10:11], -v[6:7]
	v_mov_b64_e32 v[4:5], v[12:13]
.LBB82_170:
	v_cmp_ne_u32_e32 vcc, 3, v0
	s_and_saveexec_b64 s[6:7], vcc
	s_cbranch_execz .LBB82_174
; %bb.171:
	v_mov_b32_e32 v7, 0
	v_add_u32_e32 v6, 0x140, v52
	v_add3_u32 v7, v52, v7, 24
	s_mov_b64 s[8:9], 0
	v_mov_b32_e32 v10, v0
.LBB82_172:                             ; =>This Inner Loop Header: Depth=1
	v_add_u32_e32 v11, -8, v7
	scratch_load_dwordx4 v[70:73], v11, off
	ds_read_b128 v[74:77], v6
	v_add_u32_e32 v10, 1, v10
	v_cmp_lt_u32_e32 vcc, 2, v10
	v_add_u32_e32 v6, 16, v6
	v_add_u32_e32 v7, 16, v7
	s_or_b64 s[8:9], vcc, s[8:9]
	s_waitcnt vmcnt(0) lgkmcnt(0)
	v_mul_f64 v[12:13], v[76:77], v[72:73]
	v_mul_f64 v[72:73], v[74:75], v[72:73]
	v_fma_f64 v[12:13], v[74:75], v[70:71], -v[12:13]
	v_fmac_f64_e32 v[72:73], v[76:77], v[70:71]
	v_add_f64 v[2:3], v[2:3], v[12:13]
	v_add_f64 v[4:5], v[4:5], v[72:73]
	s_andn2_b64 exec, exec, s[8:9]
	s_cbranch_execnz .LBB82_172
; %bb.173:
	s_or_b64 exec, exec, s[8:9]
.LBB82_174:
	s_or_b64 exec, exec, s[6:7]
	v_mov_b32_e32 v6, 0
	ds_read_b128 v[10:13], v6 offset:64
	s_waitcnt lgkmcnt(0)
	v_mul_f64 v[6:7], v[4:5], v[12:13]
	v_mul_f64 v[72:73], v[2:3], v[12:13]
	v_fma_f64 v[70:71], v[2:3], v[10:11], -v[6:7]
	v_fmac_f64_e32 v[72:73], v[4:5], v[10:11]
	scratch_store_dwordx4 off, v[70:73], off offset:64
.LBB82_175:
	s_or_b64 exec, exec, s[2:3]
	scratch_load_dwordx4 v[2:5], v69, off
	v_cmp_gt_u32_e32 vcc, 5, v0
	s_waitcnt vmcnt(0)
	ds_write_b128 v9, v[2:5]
	s_waitcnt lgkmcnt(0)
	; wave barrier
	s_waitcnt lgkmcnt(0)
	s_and_saveexec_b64 s[2:3], vcc
	s_cbranch_execz .LBB82_183
; %bb.176:
	ds_read_b128 v[2:5], v9
	s_and_b64 vcc, exec, s[0:1]
	s_cbranch_vccnz .LBB82_178
; %bb.177:
	scratch_load_dwordx4 v[10:13], v8, off
	s_waitcnt vmcnt(0) lgkmcnt(0)
	v_mul_f64 v[6:7], v[4:5], v[12:13]
	v_mul_f64 v[12:13], v[2:3], v[12:13]
	v_fmac_f64_e32 v[12:13], v[4:5], v[10:11]
	v_fma_f64 v[2:3], v[2:3], v[10:11], -v[6:7]
	v_mov_b64_e32 v[4:5], v[12:13]
.LBB82_178:
	v_cmp_ne_u32_e32 vcc, 4, v0
	s_and_saveexec_b64 s[6:7], vcc
	s_cbranch_execz .LBB82_182
; %bb.179:
	v_mov_b32_e32 v7, 0
	v_add_u32_e32 v6, 0x140, v52
	v_add3_u32 v7, v52, v7, 24
	s_mov_b64 s[8:9], 0
	v_mov_b32_e32 v10, v0
.LBB82_180:                             ; =>This Inner Loop Header: Depth=1
	v_add_u32_e32 v11, -8, v7
	scratch_load_dwordx4 v[70:73], v11, off
	ds_read_b128 v[74:77], v6
	v_add_u32_e32 v10, 1, v10
	v_cmp_lt_u32_e32 vcc, 3, v10
	v_add_u32_e32 v6, 16, v6
	v_add_u32_e32 v7, 16, v7
	s_or_b64 s[8:9], vcc, s[8:9]
	s_waitcnt vmcnt(0) lgkmcnt(0)
	v_mul_f64 v[12:13], v[76:77], v[72:73]
	v_mul_f64 v[72:73], v[74:75], v[72:73]
	v_fma_f64 v[12:13], v[74:75], v[70:71], -v[12:13]
	v_fmac_f64_e32 v[72:73], v[76:77], v[70:71]
	v_add_f64 v[2:3], v[2:3], v[12:13]
	v_add_f64 v[4:5], v[4:5], v[72:73]
	s_andn2_b64 exec, exec, s[8:9]
	s_cbranch_execnz .LBB82_180
; %bb.181:
	s_or_b64 exec, exec, s[8:9]
.LBB82_182:
	s_or_b64 exec, exec, s[6:7]
	v_mov_b32_e32 v6, 0
	ds_read_b128 v[10:13], v6 offset:80
	s_waitcnt lgkmcnt(0)
	v_mul_f64 v[6:7], v[4:5], v[12:13]
	v_mul_f64 v[72:73], v[2:3], v[12:13]
	v_fma_f64 v[70:71], v[2:3], v[10:11], -v[6:7]
	v_fmac_f64_e32 v[72:73], v[4:5], v[10:11]
	scratch_store_dwordx4 off, v[70:73], off offset:80
.LBB82_183:
	s_or_b64 exec, exec, s[2:3]
	scratch_load_dwordx4 v[2:5], v65, off
	v_cmp_gt_u32_e32 vcc, 6, v0
	s_waitcnt vmcnt(0)
	ds_write_b128 v9, v[2:5]
	s_waitcnt lgkmcnt(0)
	; wave barrier
	s_waitcnt lgkmcnt(0)
	s_and_saveexec_b64 s[2:3], vcc
	s_cbranch_execz .LBB82_191
; %bb.184:
	ds_read_b128 v[2:5], v9
	s_and_b64 vcc, exec, s[0:1]
	s_cbranch_vccnz .LBB82_186
; %bb.185:
	scratch_load_dwordx4 v[10:13], v8, off
	s_waitcnt vmcnt(0) lgkmcnt(0)
	v_mul_f64 v[6:7], v[4:5], v[12:13]
	v_mul_f64 v[12:13], v[2:3], v[12:13]
	v_fmac_f64_e32 v[12:13], v[4:5], v[10:11]
	v_fma_f64 v[2:3], v[2:3], v[10:11], -v[6:7]
	v_mov_b64_e32 v[4:5], v[12:13]
.LBB82_186:
	v_cmp_ne_u32_e32 vcc, 5, v0
	s_and_saveexec_b64 s[6:7], vcc
	s_cbranch_execz .LBB82_190
; %bb.187:
	v_mov_b32_e32 v7, 0
	v_add_u32_e32 v6, 0x140, v52
	v_add3_u32 v7, v52, v7, 24
	s_mov_b64 s[8:9], 0
	v_mov_b32_e32 v10, v0
.LBB82_188:                             ; =>This Inner Loop Header: Depth=1
	v_add_u32_e32 v11, -8, v7
	scratch_load_dwordx4 v[70:73], v11, off
	ds_read_b128 v[74:77], v6
	v_add_u32_e32 v10, 1, v10
	v_cmp_lt_u32_e32 vcc, 4, v10
	v_add_u32_e32 v6, 16, v6
	v_add_u32_e32 v7, 16, v7
	s_or_b64 s[8:9], vcc, s[8:9]
	s_waitcnt vmcnt(0) lgkmcnt(0)
	v_mul_f64 v[12:13], v[76:77], v[72:73]
	v_mul_f64 v[72:73], v[74:75], v[72:73]
	v_fma_f64 v[12:13], v[74:75], v[70:71], -v[12:13]
	v_fmac_f64_e32 v[72:73], v[76:77], v[70:71]
	v_add_f64 v[2:3], v[2:3], v[12:13]
	v_add_f64 v[4:5], v[4:5], v[72:73]
	s_andn2_b64 exec, exec, s[8:9]
	s_cbranch_execnz .LBB82_188
; %bb.189:
	s_or_b64 exec, exec, s[8:9]
.LBB82_190:
	s_or_b64 exec, exec, s[6:7]
	v_mov_b32_e32 v6, 0
	ds_read_b128 v[10:13], v6 offset:96
	s_waitcnt lgkmcnt(0)
	v_mul_f64 v[6:7], v[4:5], v[12:13]
	v_mul_f64 v[72:73], v[2:3], v[12:13]
	v_fma_f64 v[70:71], v[2:3], v[10:11], -v[6:7]
	v_fmac_f64_e32 v[72:73], v[4:5], v[10:11]
	scratch_store_dwordx4 off, v[70:73], off offset:96
.LBB82_191:
	s_or_b64 exec, exec, s[2:3]
	scratch_load_dwordx4 v[2:5], v63, off
	v_cmp_gt_u32_e32 vcc, 7, v0
	s_waitcnt vmcnt(0)
	ds_write_b128 v9, v[2:5]
	s_waitcnt lgkmcnt(0)
	; wave barrier
	s_waitcnt lgkmcnt(0)
	s_and_saveexec_b64 s[2:3], vcc
	s_cbranch_execz .LBB82_199
; %bb.192:
	ds_read_b128 v[2:5], v9
	s_and_b64 vcc, exec, s[0:1]
	s_cbranch_vccnz .LBB82_194
; %bb.193:
	scratch_load_dwordx4 v[10:13], v8, off
	s_waitcnt vmcnt(0) lgkmcnt(0)
	v_mul_f64 v[6:7], v[4:5], v[12:13]
	v_mul_f64 v[12:13], v[2:3], v[12:13]
	v_fmac_f64_e32 v[12:13], v[4:5], v[10:11]
	v_fma_f64 v[2:3], v[2:3], v[10:11], -v[6:7]
	v_mov_b64_e32 v[4:5], v[12:13]
.LBB82_194:
	v_cmp_ne_u32_e32 vcc, 6, v0
	s_and_saveexec_b64 s[6:7], vcc
	s_cbranch_execz .LBB82_198
; %bb.195:
	v_mov_b32_e32 v7, 0
	v_add_u32_e32 v6, 0x140, v52
	v_add3_u32 v7, v52, v7, 24
	s_mov_b64 s[8:9], 0
	v_mov_b32_e32 v10, v0
.LBB82_196:                             ; =>This Inner Loop Header: Depth=1
	v_add_u32_e32 v11, -8, v7
	scratch_load_dwordx4 v[70:73], v11, off
	ds_read_b128 v[74:77], v6
	v_add_u32_e32 v10, 1, v10
	v_cmp_lt_u32_e32 vcc, 5, v10
	v_add_u32_e32 v6, 16, v6
	v_add_u32_e32 v7, 16, v7
	s_or_b64 s[8:9], vcc, s[8:9]
	s_waitcnt vmcnt(0) lgkmcnt(0)
	v_mul_f64 v[12:13], v[76:77], v[72:73]
	v_mul_f64 v[72:73], v[74:75], v[72:73]
	v_fma_f64 v[12:13], v[74:75], v[70:71], -v[12:13]
	v_fmac_f64_e32 v[72:73], v[76:77], v[70:71]
	v_add_f64 v[2:3], v[2:3], v[12:13]
	v_add_f64 v[4:5], v[4:5], v[72:73]
	s_andn2_b64 exec, exec, s[8:9]
	s_cbranch_execnz .LBB82_196
; %bb.197:
	s_or_b64 exec, exec, s[8:9]
.LBB82_198:
	s_or_b64 exec, exec, s[6:7]
	v_mov_b32_e32 v6, 0
	ds_read_b128 v[10:13], v6 offset:112
	s_waitcnt lgkmcnt(0)
	v_mul_f64 v[6:7], v[4:5], v[12:13]
	v_mul_f64 v[72:73], v[2:3], v[12:13]
	v_fma_f64 v[70:71], v[2:3], v[10:11], -v[6:7]
	v_fmac_f64_e32 v[72:73], v[4:5], v[10:11]
	scratch_store_dwordx4 off, v[70:73], off offset:112
.LBB82_199:
	s_or_b64 exec, exec, s[2:3]
	scratch_load_dwordx4 v[2:5], v62, off
	v_cmp_gt_u32_e32 vcc, 8, v0
	s_waitcnt vmcnt(0)
	ds_write_b128 v9, v[2:5]
	s_waitcnt lgkmcnt(0)
	; wave barrier
	s_waitcnt lgkmcnt(0)
	s_and_saveexec_b64 s[2:3], vcc
	s_cbranch_execz .LBB82_207
; %bb.200:
	ds_read_b128 v[2:5], v9
	s_and_b64 vcc, exec, s[0:1]
	s_cbranch_vccnz .LBB82_202
; %bb.201:
	scratch_load_dwordx4 v[10:13], v8, off
	s_waitcnt vmcnt(0) lgkmcnt(0)
	v_mul_f64 v[6:7], v[4:5], v[12:13]
	v_mul_f64 v[12:13], v[2:3], v[12:13]
	v_fmac_f64_e32 v[12:13], v[4:5], v[10:11]
	v_fma_f64 v[2:3], v[2:3], v[10:11], -v[6:7]
	v_mov_b64_e32 v[4:5], v[12:13]
.LBB82_202:
	v_cmp_ne_u32_e32 vcc, 7, v0
	s_and_saveexec_b64 s[6:7], vcc
	s_cbranch_execz .LBB82_206
; %bb.203:
	v_mov_b32_e32 v7, 0
	v_add_u32_e32 v6, 0x140, v52
	v_add3_u32 v7, v52, v7, 24
	s_mov_b64 s[8:9], 0
	v_mov_b32_e32 v10, v0
.LBB82_204:                             ; =>This Inner Loop Header: Depth=1
	v_add_u32_e32 v11, -8, v7
	scratch_load_dwordx4 v[70:73], v11, off
	ds_read_b128 v[74:77], v6
	v_add_u32_e32 v10, 1, v10
	v_cmp_lt_u32_e32 vcc, 6, v10
	v_add_u32_e32 v6, 16, v6
	v_add_u32_e32 v7, 16, v7
	s_or_b64 s[8:9], vcc, s[8:9]
	s_waitcnt vmcnt(0) lgkmcnt(0)
	v_mul_f64 v[12:13], v[76:77], v[72:73]
	v_mul_f64 v[72:73], v[74:75], v[72:73]
	v_fma_f64 v[12:13], v[74:75], v[70:71], -v[12:13]
	v_fmac_f64_e32 v[72:73], v[76:77], v[70:71]
	v_add_f64 v[2:3], v[2:3], v[12:13]
	v_add_f64 v[4:5], v[4:5], v[72:73]
	s_andn2_b64 exec, exec, s[8:9]
	s_cbranch_execnz .LBB82_204
; %bb.205:
	s_or_b64 exec, exec, s[8:9]
.LBB82_206:
	s_or_b64 exec, exec, s[6:7]
	v_mov_b32_e32 v6, 0
	ds_read_b128 v[10:13], v6 offset:128
	s_waitcnt lgkmcnt(0)
	v_mul_f64 v[6:7], v[4:5], v[12:13]
	v_mul_f64 v[72:73], v[2:3], v[12:13]
	v_fma_f64 v[70:71], v[2:3], v[10:11], -v[6:7]
	v_fmac_f64_e32 v[72:73], v[4:5], v[10:11]
	scratch_store_dwordx4 off, v[70:73], off offset:128
.LBB82_207:
	s_or_b64 exec, exec, s[2:3]
	scratch_load_dwordx4 v[2:5], v61, off
	v_cmp_gt_u32_e32 vcc, 9, v0
	s_waitcnt vmcnt(0)
	ds_write_b128 v9, v[2:5]
	s_waitcnt lgkmcnt(0)
	; wave barrier
	s_waitcnt lgkmcnt(0)
	s_and_saveexec_b64 s[2:3], vcc
	s_cbranch_execz .LBB82_215
; %bb.208:
	ds_read_b128 v[2:5], v9
	s_and_b64 vcc, exec, s[0:1]
	s_cbranch_vccnz .LBB82_210
; %bb.209:
	scratch_load_dwordx4 v[10:13], v8, off
	s_waitcnt vmcnt(0) lgkmcnt(0)
	v_mul_f64 v[6:7], v[4:5], v[12:13]
	v_mul_f64 v[12:13], v[2:3], v[12:13]
	v_fmac_f64_e32 v[12:13], v[4:5], v[10:11]
	v_fma_f64 v[2:3], v[2:3], v[10:11], -v[6:7]
	v_mov_b64_e32 v[4:5], v[12:13]
.LBB82_210:
	v_cmp_ne_u32_e32 vcc, 8, v0
	s_and_saveexec_b64 s[6:7], vcc
	s_cbranch_execz .LBB82_214
; %bb.211:
	v_mov_b32_e32 v7, 0
	v_add_u32_e32 v6, 0x140, v52
	v_add3_u32 v7, v52, v7, 24
	s_mov_b64 s[8:9], 0
	v_mov_b32_e32 v10, v0
.LBB82_212:                             ; =>This Inner Loop Header: Depth=1
	v_add_u32_e32 v11, -8, v7
	scratch_load_dwordx4 v[70:73], v11, off
	ds_read_b128 v[74:77], v6
	v_add_u32_e32 v10, 1, v10
	v_cmp_lt_u32_e32 vcc, 7, v10
	v_add_u32_e32 v6, 16, v6
	v_add_u32_e32 v7, 16, v7
	s_or_b64 s[8:9], vcc, s[8:9]
	s_waitcnt vmcnt(0) lgkmcnt(0)
	v_mul_f64 v[12:13], v[76:77], v[72:73]
	v_mul_f64 v[72:73], v[74:75], v[72:73]
	v_fma_f64 v[12:13], v[74:75], v[70:71], -v[12:13]
	v_fmac_f64_e32 v[72:73], v[76:77], v[70:71]
	v_add_f64 v[2:3], v[2:3], v[12:13]
	v_add_f64 v[4:5], v[4:5], v[72:73]
	s_andn2_b64 exec, exec, s[8:9]
	s_cbranch_execnz .LBB82_212
; %bb.213:
	s_or_b64 exec, exec, s[8:9]
.LBB82_214:
	s_or_b64 exec, exec, s[6:7]
	v_mov_b32_e32 v6, 0
	ds_read_b128 v[10:13], v6 offset:144
	s_waitcnt lgkmcnt(0)
	v_mul_f64 v[6:7], v[4:5], v[12:13]
	v_mul_f64 v[72:73], v[2:3], v[12:13]
	v_fma_f64 v[70:71], v[2:3], v[10:11], -v[6:7]
	v_fmac_f64_e32 v[72:73], v[4:5], v[10:11]
	scratch_store_dwordx4 off, v[70:73], off offset:144
.LBB82_215:
	s_or_b64 exec, exec, s[2:3]
	scratch_load_dwordx4 v[2:5], v60, off
	v_cmp_gt_u32_e32 vcc, 10, v0
	s_waitcnt vmcnt(0)
	ds_write_b128 v9, v[2:5]
	s_waitcnt lgkmcnt(0)
	; wave barrier
	s_waitcnt lgkmcnt(0)
	s_and_saveexec_b64 s[2:3], vcc
	s_cbranch_execz .LBB82_223
; %bb.216:
	ds_read_b128 v[2:5], v9
	s_and_b64 vcc, exec, s[0:1]
	s_cbranch_vccnz .LBB82_218
; %bb.217:
	scratch_load_dwordx4 v[10:13], v8, off
	s_waitcnt vmcnt(0) lgkmcnt(0)
	v_mul_f64 v[6:7], v[4:5], v[12:13]
	v_mul_f64 v[12:13], v[2:3], v[12:13]
	v_fmac_f64_e32 v[12:13], v[4:5], v[10:11]
	v_fma_f64 v[2:3], v[2:3], v[10:11], -v[6:7]
	v_mov_b64_e32 v[4:5], v[12:13]
.LBB82_218:
	v_cmp_ne_u32_e32 vcc, 9, v0
	s_and_saveexec_b64 s[6:7], vcc
	s_cbranch_execz .LBB82_222
; %bb.219:
	v_mov_b32_e32 v7, 0
	v_add_u32_e32 v6, 0x140, v52
	v_add3_u32 v7, v52, v7, 24
	s_mov_b64 s[8:9], 0
	v_mov_b32_e32 v10, v0
.LBB82_220:                             ; =>This Inner Loop Header: Depth=1
	v_add_u32_e32 v11, -8, v7
	scratch_load_dwordx4 v[70:73], v11, off
	ds_read_b128 v[74:77], v6
	v_add_u32_e32 v10, 1, v10
	v_cmp_lt_u32_e32 vcc, 8, v10
	v_add_u32_e32 v6, 16, v6
	v_add_u32_e32 v7, 16, v7
	s_or_b64 s[8:9], vcc, s[8:9]
	s_waitcnt vmcnt(0) lgkmcnt(0)
	v_mul_f64 v[12:13], v[76:77], v[72:73]
	v_mul_f64 v[72:73], v[74:75], v[72:73]
	v_fma_f64 v[12:13], v[74:75], v[70:71], -v[12:13]
	v_fmac_f64_e32 v[72:73], v[76:77], v[70:71]
	v_add_f64 v[2:3], v[2:3], v[12:13]
	v_add_f64 v[4:5], v[4:5], v[72:73]
	s_andn2_b64 exec, exec, s[8:9]
	s_cbranch_execnz .LBB82_220
; %bb.221:
	s_or_b64 exec, exec, s[8:9]
.LBB82_222:
	s_or_b64 exec, exec, s[6:7]
	v_mov_b32_e32 v6, 0
	ds_read_b128 v[10:13], v6 offset:160
	s_waitcnt lgkmcnt(0)
	v_mul_f64 v[6:7], v[4:5], v[12:13]
	v_mul_f64 v[72:73], v[2:3], v[12:13]
	v_fma_f64 v[70:71], v[2:3], v[10:11], -v[6:7]
	v_fmac_f64_e32 v[72:73], v[4:5], v[10:11]
	scratch_store_dwordx4 off, v[70:73], off offset:160
.LBB82_223:
	s_or_b64 exec, exec, s[2:3]
	scratch_load_dwordx4 v[2:5], v58, off
	v_cmp_gt_u32_e32 vcc, 11, v0
	s_waitcnt vmcnt(0)
	ds_write_b128 v9, v[2:5]
	s_waitcnt lgkmcnt(0)
	; wave barrier
	s_waitcnt lgkmcnt(0)
	s_and_saveexec_b64 s[2:3], vcc
	s_cbranch_execz .LBB82_231
; %bb.224:
	ds_read_b128 v[2:5], v9
	s_and_b64 vcc, exec, s[0:1]
	s_cbranch_vccnz .LBB82_226
; %bb.225:
	scratch_load_dwordx4 v[10:13], v8, off
	s_waitcnt vmcnt(0) lgkmcnt(0)
	v_mul_f64 v[6:7], v[4:5], v[12:13]
	v_mul_f64 v[12:13], v[2:3], v[12:13]
	v_fmac_f64_e32 v[12:13], v[4:5], v[10:11]
	v_fma_f64 v[2:3], v[2:3], v[10:11], -v[6:7]
	v_mov_b64_e32 v[4:5], v[12:13]
.LBB82_226:
	v_cmp_ne_u32_e32 vcc, 10, v0
	s_and_saveexec_b64 s[6:7], vcc
	s_cbranch_execz .LBB82_230
; %bb.227:
	v_mov_b32_e32 v7, 0
	v_add_u32_e32 v6, 0x140, v52
	v_add3_u32 v7, v52, v7, 24
	s_mov_b64 s[8:9], 0
	v_mov_b32_e32 v10, v0
.LBB82_228:                             ; =>This Inner Loop Header: Depth=1
	v_add_u32_e32 v11, -8, v7
	scratch_load_dwordx4 v[70:73], v11, off
	ds_read_b128 v[74:77], v6
	v_add_u32_e32 v10, 1, v10
	v_cmp_lt_u32_e32 vcc, 9, v10
	v_add_u32_e32 v6, 16, v6
	v_add_u32_e32 v7, 16, v7
	s_or_b64 s[8:9], vcc, s[8:9]
	s_waitcnt vmcnt(0) lgkmcnt(0)
	v_mul_f64 v[12:13], v[76:77], v[72:73]
	v_mul_f64 v[72:73], v[74:75], v[72:73]
	v_fma_f64 v[12:13], v[74:75], v[70:71], -v[12:13]
	v_fmac_f64_e32 v[72:73], v[76:77], v[70:71]
	v_add_f64 v[2:3], v[2:3], v[12:13]
	v_add_f64 v[4:5], v[4:5], v[72:73]
	s_andn2_b64 exec, exec, s[8:9]
	s_cbranch_execnz .LBB82_228
; %bb.229:
	s_or_b64 exec, exec, s[8:9]
.LBB82_230:
	s_or_b64 exec, exec, s[6:7]
	v_mov_b32_e32 v6, 0
	ds_read_b128 v[10:13], v6 offset:176
	s_waitcnt lgkmcnt(0)
	v_mul_f64 v[6:7], v[4:5], v[12:13]
	v_mul_f64 v[72:73], v[2:3], v[12:13]
	v_fma_f64 v[70:71], v[2:3], v[10:11], -v[6:7]
	v_fmac_f64_e32 v[72:73], v[4:5], v[10:11]
	scratch_store_dwordx4 off, v[70:73], off offset:176
.LBB82_231:
	s_or_b64 exec, exec, s[2:3]
	scratch_load_dwordx4 v[2:5], v59, off
	v_cmp_gt_u32_e32 vcc, 12, v0
	s_waitcnt vmcnt(0)
	ds_write_b128 v9, v[2:5]
	s_waitcnt lgkmcnt(0)
	; wave barrier
	s_waitcnt lgkmcnt(0)
	s_and_saveexec_b64 s[2:3], vcc
	s_cbranch_execz .LBB82_239
; %bb.232:
	ds_read_b128 v[2:5], v9
	s_and_b64 vcc, exec, s[0:1]
	s_cbranch_vccnz .LBB82_234
; %bb.233:
	scratch_load_dwordx4 v[10:13], v8, off
	s_waitcnt vmcnt(0) lgkmcnt(0)
	v_mul_f64 v[6:7], v[4:5], v[12:13]
	v_mul_f64 v[12:13], v[2:3], v[12:13]
	v_fmac_f64_e32 v[12:13], v[4:5], v[10:11]
	v_fma_f64 v[2:3], v[2:3], v[10:11], -v[6:7]
	v_mov_b64_e32 v[4:5], v[12:13]
.LBB82_234:
	v_cmp_ne_u32_e32 vcc, 11, v0
	s_and_saveexec_b64 s[6:7], vcc
	s_cbranch_execz .LBB82_238
; %bb.235:
	v_mov_b32_e32 v7, 0
	v_add_u32_e32 v6, 0x140, v52
	v_add3_u32 v7, v52, v7, 24
	s_mov_b64 s[8:9], 0
	v_mov_b32_e32 v10, v0
.LBB82_236:                             ; =>This Inner Loop Header: Depth=1
	v_add_u32_e32 v11, -8, v7
	scratch_load_dwordx4 v[70:73], v11, off
	ds_read_b128 v[74:77], v6
	v_add_u32_e32 v10, 1, v10
	v_cmp_lt_u32_e32 vcc, 10, v10
	v_add_u32_e32 v6, 16, v6
	v_add_u32_e32 v7, 16, v7
	s_or_b64 s[8:9], vcc, s[8:9]
	s_waitcnt vmcnt(0) lgkmcnt(0)
	v_mul_f64 v[12:13], v[76:77], v[72:73]
	v_mul_f64 v[72:73], v[74:75], v[72:73]
	v_fma_f64 v[12:13], v[74:75], v[70:71], -v[12:13]
	v_fmac_f64_e32 v[72:73], v[76:77], v[70:71]
	v_add_f64 v[2:3], v[2:3], v[12:13]
	v_add_f64 v[4:5], v[4:5], v[72:73]
	s_andn2_b64 exec, exec, s[8:9]
	s_cbranch_execnz .LBB82_236
; %bb.237:
	s_or_b64 exec, exec, s[8:9]
.LBB82_238:
	s_or_b64 exec, exec, s[6:7]
	v_mov_b32_e32 v6, 0
	ds_read_b128 v[10:13], v6 offset:192
	s_waitcnt lgkmcnt(0)
	v_mul_f64 v[6:7], v[4:5], v[12:13]
	v_mul_f64 v[72:73], v[2:3], v[12:13]
	v_fma_f64 v[70:71], v[2:3], v[10:11], -v[6:7]
	v_fmac_f64_e32 v[72:73], v[4:5], v[10:11]
	scratch_store_dwordx4 off, v[70:73], off offset:192
.LBB82_239:
	s_or_b64 exec, exec, s[2:3]
	scratch_load_dwordx4 v[2:5], v56, off
	v_cmp_gt_u32_e32 vcc, 13, v0
	s_waitcnt vmcnt(0)
	ds_write_b128 v9, v[2:5]
	s_waitcnt lgkmcnt(0)
	; wave barrier
	s_waitcnt lgkmcnt(0)
	s_and_saveexec_b64 s[2:3], vcc
	s_cbranch_execz .LBB82_247
; %bb.240:
	ds_read_b128 v[2:5], v9
	s_and_b64 vcc, exec, s[0:1]
	s_cbranch_vccnz .LBB82_242
; %bb.241:
	scratch_load_dwordx4 v[10:13], v8, off
	s_waitcnt vmcnt(0) lgkmcnt(0)
	v_mul_f64 v[6:7], v[4:5], v[12:13]
	v_mul_f64 v[12:13], v[2:3], v[12:13]
	v_fmac_f64_e32 v[12:13], v[4:5], v[10:11]
	v_fma_f64 v[2:3], v[2:3], v[10:11], -v[6:7]
	v_mov_b64_e32 v[4:5], v[12:13]
.LBB82_242:
	v_cmp_ne_u32_e32 vcc, 12, v0
	s_and_saveexec_b64 s[6:7], vcc
	s_cbranch_execz .LBB82_246
; %bb.243:
	v_mov_b32_e32 v7, 0
	v_add_u32_e32 v6, 0x140, v52
	v_add3_u32 v7, v52, v7, 24
	s_mov_b64 s[8:9], 0
	v_mov_b32_e32 v10, v0
.LBB82_244:                             ; =>This Inner Loop Header: Depth=1
	v_add_u32_e32 v11, -8, v7
	scratch_load_dwordx4 v[70:73], v11, off
	ds_read_b128 v[74:77], v6
	v_add_u32_e32 v10, 1, v10
	v_cmp_lt_u32_e32 vcc, 11, v10
	v_add_u32_e32 v6, 16, v6
	v_add_u32_e32 v7, 16, v7
	s_or_b64 s[8:9], vcc, s[8:9]
	s_waitcnt vmcnt(0) lgkmcnt(0)
	v_mul_f64 v[12:13], v[76:77], v[72:73]
	v_mul_f64 v[72:73], v[74:75], v[72:73]
	v_fma_f64 v[12:13], v[74:75], v[70:71], -v[12:13]
	v_fmac_f64_e32 v[72:73], v[76:77], v[70:71]
	v_add_f64 v[2:3], v[2:3], v[12:13]
	v_add_f64 v[4:5], v[4:5], v[72:73]
	s_andn2_b64 exec, exec, s[8:9]
	s_cbranch_execnz .LBB82_244
; %bb.245:
	s_or_b64 exec, exec, s[8:9]
.LBB82_246:
	s_or_b64 exec, exec, s[6:7]
	v_mov_b32_e32 v6, 0
	ds_read_b128 v[10:13], v6 offset:208
	s_waitcnt lgkmcnt(0)
	v_mul_f64 v[6:7], v[4:5], v[12:13]
	v_mul_f64 v[72:73], v[2:3], v[12:13]
	v_fma_f64 v[70:71], v[2:3], v[10:11], -v[6:7]
	v_fmac_f64_e32 v[72:73], v[4:5], v[10:11]
	scratch_store_dwordx4 off, v[70:73], off offset:208
.LBB82_247:
	s_or_b64 exec, exec, s[2:3]
	scratch_load_dwordx4 v[2:5], v57, off
	v_cmp_gt_u32_e32 vcc, 14, v0
	s_waitcnt vmcnt(0)
	ds_write_b128 v9, v[2:5]
	s_waitcnt lgkmcnt(0)
	; wave barrier
	s_waitcnt lgkmcnt(0)
	s_and_saveexec_b64 s[2:3], vcc
	s_cbranch_execz .LBB82_255
; %bb.248:
	ds_read_b128 v[2:5], v9
	s_and_b64 vcc, exec, s[0:1]
	s_cbranch_vccnz .LBB82_250
; %bb.249:
	scratch_load_dwordx4 v[10:13], v8, off
	s_waitcnt vmcnt(0) lgkmcnt(0)
	v_mul_f64 v[6:7], v[4:5], v[12:13]
	v_mul_f64 v[12:13], v[2:3], v[12:13]
	v_fmac_f64_e32 v[12:13], v[4:5], v[10:11]
	v_fma_f64 v[2:3], v[2:3], v[10:11], -v[6:7]
	v_mov_b64_e32 v[4:5], v[12:13]
.LBB82_250:
	v_cmp_ne_u32_e32 vcc, 13, v0
	s_and_saveexec_b64 s[6:7], vcc
	s_cbranch_execz .LBB82_254
; %bb.251:
	v_mov_b32_e32 v7, 0
	v_add_u32_e32 v6, 0x140, v52
	v_add3_u32 v7, v52, v7, 24
	s_mov_b64 s[8:9], 0
	v_mov_b32_e32 v10, v0
.LBB82_252:                             ; =>This Inner Loop Header: Depth=1
	v_add_u32_e32 v11, -8, v7
	scratch_load_dwordx4 v[70:73], v11, off
	ds_read_b128 v[74:77], v6
	v_add_u32_e32 v10, 1, v10
	v_cmp_lt_u32_e32 vcc, 12, v10
	v_add_u32_e32 v6, 16, v6
	v_add_u32_e32 v7, 16, v7
	s_or_b64 s[8:9], vcc, s[8:9]
	s_waitcnt vmcnt(0) lgkmcnt(0)
	v_mul_f64 v[12:13], v[76:77], v[72:73]
	v_mul_f64 v[72:73], v[74:75], v[72:73]
	v_fma_f64 v[12:13], v[74:75], v[70:71], -v[12:13]
	v_fmac_f64_e32 v[72:73], v[76:77], v[70:71]
	v_add_f64 v[2:3], v[2:3], v[12:13]
	v_add_f64 v[4:5], v[4:5], v[72:73]
	s_andn2_b64 exec, exec, s[8:9]
	s_cbranch_execnz .LBB82_252
; %bb.253:
	s_or_b64 exec, exec, s[8:9]
.LBB82_254:
	s_or_b64 exec, exec, s[6:7]
	v_mov_b32_e32 v6, 0
	ds_read_b128 v[10:13], v6 offset:224
	s_waitcnt lgkmcnt(0)
	v_mul_f64 v[6:7], v[4:5], v[12:13]
	v_mul_f64 v[72:73], v[2:3], v[12:13]
	v_fma_f64 v[70:71], v[2:3], v[10:11], -v[6:7]
	v_fmac_f64_e32 v[72:73], v[4:5], v[10:11]
	scratch_store_dwordx4 off, v[70:73], off offset:224
.LBB82_255:
	s_or_b64 exec, exec, s[2:3]
	scratch_load_dwordx4 v[2:5], v54, off
	v_cmp_gt_u32_e32 vcc, 15, v0
	s_waitcnt vmcnt(0)
	ds_write_b128 v9, v[2:5]
	s_waitcnt lgkmcnt(0)
	; wave barrier
	s_waitcnt lgkmcnt(0)
	s_and_saveexec_b64 s[2:3], vcc
	s_cbranch_execz .LBB82_263
; %bb.256:
	ds_read_b128 v[2:5], v9
	s_and_b64 vcc, exec, s[0:1]
	s_cbranch_vccnz .LBB82_258
; %bb.257:
	scratch_load_dwordx4 v[10:13], v8, off
	s_waitcnt vmcnt(0) lgkmcnt(0)
	v_mul_f64 v[6:7], v[4:5], v[12:13]
	v_mul_f64 v[12:13], v[2:3], v[12:13]
	v_fmac_f64_e32 v[12:13], v[4:5], v[10:11]
	v_fma_f64 v[2:3], v[2:3], v[10:11], -v[6:7]
	v_mov_b64_e32 v[4:5], v[12:13]
.LBB82_258:
	v_cmp_ne_u32_e32 vcc, 14, v0
	s_and_saveexec_b64 s[6:7], vcc
	s_cbranch_execz .LBB82_262
; %bb.259:
	v_mov_b32_e32 v7, 0
	v_add_u32_e32 v6, 0x140, v52
	v_add3_u32 v7, v52, v7, 24
	s_mov_b64 s[8:9], 0
	v_mov_b32_e32 v10, v0
.LBB82_260:                             ; =>This Inner Loop Header: Depth=1
	v_add_u32_e32 v11, -8, v7
	scratch_load_dwordx4 v[70:73], v11, off
	ds_read_b128 v[74:77], v6
	v_add_u32_e32 v10, 1, v10
	v_cmp_lt_u32_e32 vcc, 13, v10
	v_add_u32_e32 v6, 16, v6
	v_add_u32_e32 v7, 16, v7
	s_or_b64 s[8:9], vcc, s[8:9]
	s_waitcnt vmcnt(0) lgkmcnt(0)
	v_mul_f64 v[12:13], v[76:77], v[72:73]
	v_mul_f64 v[72:73], v[74:75], v[72:73]
	v_fma_f64 v[12:13], v[74:75], v[70:71], -v[12:13]
	v_fmac_f64_e32 v[72:73], v[76:77], v[70:71]
	v_add_f64 v[2:3], v[2:3], v[12:13]
	v_add_f64 v[4:5], v[4:5], v[72:73]
	s_andn2_b64 exec, exec, s[8:9]
	s_cbranch_execnz .LBB82_260
; %bb.261:
	s_or_b64 exec, exec, s[8:9]
.LBB82_262:
	s_or_b64 exec, exec, s[6:7]
	v_mov_b32_e32 v6, 0
	ds_read_b128 v[10:13], v6 offset:240
	s_waitcnt lgkmcnt(0)
	v_mul_f64 v[6:7], v[4:5], v[12:13]
	v_mul_f64 v[72:73], v[2:3], v[12:13]
	v_fma_f64 v[70:71], v[2:3], v[10:11], -v[6:7]
	v_fmac_f64_e32 v[72:73], v[4:5], v[10:11]
	scratch_store_dwordx4 off, v[70:73], off offset:240
.LBB82_263:
	s_or_b64 exec, exec, s[2:3]
	scratch_load_dwordx4 v[2:5], v55, off
	v_cmp_gt_u32_e32 vcc, 16, v0
	s_waitcnt vmcnt(0)
	ds_write_b128 v9, v[2:5]
	s_waitcnt lgkmcnt(0)
	; wave barrier
	s_waitcnt lgkmcnt(0)
	s_and_saveexec_b64 s[2:3], vcc
	s_cbranch_execz .LBB82_271
; %bb.264:
	ds_read_b128 v[2:5], v9
	s_and_b64 vcc, exec, s[0:1]
	s_cbranch_vccnz .LBB82_266
; %bb.265:
	scratch_load_dwordx4 v[10:13], v8, off
	s_waitcnt vmcnt(0) lgkmcnt(0)
	v_mul_f64 v[6:7], v[4:5], v[12:13]
	v_mul_f64 v[12:13], v[2:3], v[12:13]
	v_fmac_f64_e32 v[12:13], v[4:5], v[10:11]
	v_fma_f64 v[2:3], v[2:3], v[10:11], -v[6:7]
	v_mov_b64_e32 v[4:5], v[12:13]
.LBB82_266:
	v_cmp_ne_u32_e32 vcc, 15, v0
	s_and_saveexec_b64 s[6:7], vcc
	s_cbranch_execz .LBB82_270
; %bb.267:
	v_mov_b32_e32 v7, 0
	v_add_u32_e32 v6, 0x140, v52
	v_add3_u32 v7, v52, v7, 24
	s_mov_b64 s[8:9], 0
	v_mov_b32_e32 v10, v0
.LBB82_268:                             ; =>This Inner Loop Header: Depth=1
	v_add_u32_e32 v11, -8, v7
	scratch_load_dwordx4 v[70:73], v11, off
	ds_read_b128 v[74:77], v6
	v_add_u32_e32 v10, 1, v10
	v_cmp_lt_u32_e32 vcc, 14, v10
	v_add_u32_e32 v6, 16, v6
	v_add_u32_e32 v7, 16, v7
	s_or_b64 s[8:9], vcc, s[8:9]
	s_waitcnt vmcnt(0) lgkmcnt(0)
	v_mul_f64 v[12:13], v[76:77], v[72:73]
	v_mul_f64 v[72:73], v[74:75], v[72:73]
	v_fma_f64 v[12:13], v[74:75], v[70:71], -v[12:13]
	v_fmac_f64_e32 v[72:73], v[76:77], v[70:71]
	v_add_f64 v[2:3], v[2:3], v[12:13]
	v_add_f64 v[4:5], v[4:5], v[72:73]
	s_andn2_b64 exec, exec, s[8:9]
	s_cbranch_execnz .LBB82_268
; %bb.269:
	s_or_b64 exec, exec, s[8:9]
.LBB82_270:
	s_or_b64 exec, exec, s[6:7]
	v_mov_b32_e32 v6, 0
	ds_read_b128 v[10:13], v6 offset:256
	s_waitcnt lgkmcnt(0)
	v_mul_f64 v[6:7], v[4:5], v[12:13]
	v_mul_f64 v[72:73], v[2:3], v[12:13]
	v_fma_f64 v[70:71], v[2:3], v[10:11], -v[6:7]
	v_fmac_f64_e32 v[72:73], v[4:5], v[10:11]
	scratch_store_dwordx4 off, v[70:73], off offset:256
.LBB82_271:
	s_or_b64 exec, exec, s[2:3]
	scratch_load_dwordx4 v[2:5], v1, off
	v_cmp_gt_u32_e64 s[2:3], 17, v0
	s_waitcnt vmcnt(0)
	ds_write_b128 v9, v[2:5]
	s_waitcnt lgkmcnt(0)
	; wave barrier
	s_waitcnt lgkmcnt(0)
	s_and_saveexec_b64 s[6:7], s[2:3]
	s_cbranch_execz .LBB82_279
; %bb.272:
	ds_read_b128 v[2:5], v9
	s_and_b64 vcc, exec, s[0:1]
	s_cbranch_vccnz .LBB82_274
; %bb.273:
	scratch_load_dwordx4 v[10:13], v8, off
	s_waitcnt vmcnt(0) lgkmcnt(0)
	v_mul_f64 v[6:7], v[4:5], v[12:13]
	v_mul_f64 v[12:13], v[2:3], v[12:13]
	v_fmac_f64_e32 v[12:13], v[4:5], v[10:11]
	v_fma_f64 v[2:3], v[2:3], v[10:11], -v[6:7]
	v_mov_b64_e32 v[4:5], v[12:13]
.LBB82_274:
	v_cmp_ne_u32_e32 vcc, 16, v0
	s_and_saveexec_b64 s[8:9], vcc
	s_cbranch_execz .LBB82_278
; %bb.275:
	v_mov_b32_e32 v7, 0
	v_add_u32_e32 v6, 0x140, v52
	v_add3_u32 v7, v52, v7, 24
	s_mov_b64 s[10:11], 0
	v_mov_b32_e32 v10, v0
.LBB82_276:                             ; =>This Inner Loop Header: Depth=1
	v_add_u32_e32 v11, -8, v7
	scratch_load_dwordx4 v[70:73], v11, off
	ds_read_b128 v[74:77], v6
	v_add_u32_e32 v10, 1, v10
	v_cmp_lt_u32_e32 vcc, 15, v10
	v_add_u32_e32 v6, 16, v6
	v_add_u32_e32 v7, 16, v7
	s_or_b64 s[10:11], vcc, s[10:11]
	s_waitcnt vmcnt(0) lgkmcnt(0)
	v_mul_f64 v[12:13], v[76:77], v[72:73]
	v_mul_f64 v[72:73], v[74:75], v[72:73]
	v_fma_f64 v[12:13], v[74:75], v[70:71], -v[12:13]
	v_fmac_f64_e32 v[72:73], v[76:77], v[70:71]
	v_add_f64 v[2:3], v[2:3], v[12:13]
	v_add_f64 v[4:5], v[4:5], v[72:73]
	s_andn2_b64 exec, exec, s[10:11]
	s_cbranch_execnz .LBB82_276
; %bb.277:
	s_or_b64 exec, exec, s[10:11]
.LBB82_278:
	s_or_b64 exec, exec, s[8:9]
	v_mov_b32_e32 v6, 0
	ds_read_b128 v[10:13], v6 offset:272
	s_waitcnt lgkmcnt(0)
	v_mul_f64 v[6:7], v[4:5], v[12:13]
	v_mul_f64 v[72:73], v[2:3], v[12:13]
	v_fma_f64 v[70:71], v[2:3], v[10:11], -v[6:7]
	v_fmac_f64_e32 v[72:73], v[4:5], v[10:11]
	scratch_store_dwordx4 off, v[70:73], off offset:272
.LBB82_279:
	s_or_b64 exec, exec, s[6:7]
	scratch_load_dwordx4 v[2:5], v53, off
	v_cmp_ne_u32_e32 vcc, 18, v0
                                        ; implicit-def: $vgpr6_vgpr7
                                        ; implicit-def: $vgpr10
	s_waitcnt vmcnt(0)
	ds_write_b128 v9, v[2:5]
	s_waitcnt lgkmcnt(0)
	; wave barrier
	s_waitcnt lgkmcnt(0)
	s_and_saveexec_b64 s[6:7], vcc
	s_cbranch_execz .LBB82_287
; %bb.280:
	ds_read_b128 v[2:5], v9
	s_and_b64 vcc, exec, s[0:1]
	s_cbranch_vccnz .LBB82_282
; %bb.281:
	scratch_load_dwordx4 v[6:9], v8, off
	s_waitcnt vmcnt(0) lgkmcnt(0)
	v_mul_f64 v[10:11], v[4:5], v[8:9]
	v_mul_f64 v[8:9], v[2:3], v[8:9]
	v_fmac_f64_e32 v[8:9], v[4:5], v[6:7]
	v_fma_f64 v[2:3], v[2:3], v[6:7], -v[10:11]
	v_mov_b64_e32 v[4:5], v[8:9]
.LBB82_282:
	s_and_saveexec_b64 s[0:1], s[2:3]
	s_cbranch_execz .LBB82_286
; %bb.283:
	v_mov_b32_e32 v7, 0
	v_add_u32_e32 v6, 0x140, v52
	v_add3_u32 v7, v52, v7, 24
	s_mov_b64 s[2:3], 0
.LBB82_284:                             ; =>This Inner Loop Header: Depth=1
	v_add_u32_e32 v8, -8, v7
	scratch_load_dwordx4 v[8:11], v8, off
	ds_read_b128 v[70:73], v6
	v_add_u32_e32 v0, 1, v0
	v_cmp_lt_u32_e32 vcc, 16, v0
	v_add_u32_e32 v6, 16, v6
	v_add_u32_e32 v7, 16, v7
	s_or_b64 s[2:3], vcc, s[2:3]
	s_waitcnt vmcnt(0) lgkmcnt(0)
	v_mul_f64 v[12:13], v[72:73], v[10:11]
	v_mul_f64 v[10:11], v[70:71], v[10:11]
	v_fma_f64 v[12:13], v[70:71], v[8:9], -v[12:13]
	v_fmac_f64_e32 v[10:11], v[72:73], v[8:9]
	v_add_f64 v[2:3], v[2:3], v[12:13]
	v_add_f64 v[4:5], v[4:5], v[10:11]
	s_andn2_b64 exec, exec, s[2:3]
	s_cbranch_execnz .LBB82_284
; %bb.285:
	s_or_b64 exec, exec, s[2:3]
.LBB82_286:
	s_or_b64 exec, exec, s[0:1]
	v_mov_b32_e32 v0, 0
	ds_read_b128 v[70:73], v0 offset:288
	v_mov_b32_e32 v0, 0
	v_add_u32_e32 v10, 0x128, v0
	s_or_b64 s[4:5], s[4:5], exec
	s_waitcnt lgkmcnt(0)
	v_mul_f64 v[8:9], v[4:5], v[72:73]
	v_mul_f64 v[6:7], v[2:3], v[72:73]
	v_fma_f64 v[2:3], v[2:3], v[70:71], -v[8:9]
	v_fmac_f64_e32 v[6:7], v[4:5], v[70:71]
	scratch_store_dwordx2 off, v[2:3], off offset:288
.LBB82_287:
	s_or_b64 exec, exec, s[6:7]
.LBB82_288:
	s_and_saveexec_b64 s[0:1], s[4:5]
	s_cbranch_execz .LBB82_290
; %bb.289:
	scratch_store_dwordx2 v10, v[6:7], off
.LBB82_290:
	s_or_b64 exec, exec, s[0:1]
	scratch_load_dwordx4 v[2:5], off, off
	scratch_load_dwordx4 v[6:9], v64, off
	scratch_load_dwordx4 v[10:13], v67, off
	;; [unrolled: 1-line block ×5, first 2 shown]
	s_waitcnt vmcnt(5)
	global_store_dwordx4 v[14:15], v[2:5], off
	scratch_load_dwordx4 v[2:5], v65, off
	s_waitcnt vmcnt(6)
	global_store_dwordx4 v[16:17], v[6:9], off
	scratch_load_dwordx4 v[6:9], v63, off
	s_nop 0
	scratch_load_dwordx4 v[14:17], v62, off
	s_waitcnt vmcnt(8)
	global_store_dwordx4 v[18:19], v[10:13], off
	scratch_load_dwordx4 v[10:13], v61, off
	s_nop 0
	scratch_load_dwordx4 v[62:65], v60, off
	s_waitcnt vmcnt(10)
	global_store_dwordx4 v[20:21], v[70:73], off
	scratch_load_dwordx4 v[18:21], v58, off
	s_nop 0
	scratch_load_dwordx4 v[66:69], v59, off
	s_waitcnt vmcnt(12)
	global_store_dwordx4 v[22:23], v[74:77], off
	scratch_load_dwordx4 v[58:61], v56, off
	scratch_load_dwordx4 v[70:73], v57, off
	s_waitcnt vmcnt(14)
	global_store_dwordx4 v[24:25], v[78:81], off
	scratch_load_dwordx4 v[22:25], v54, off
	s_nop 0
	scratch_load_dwordx4 v[74:77], v55, off
	s_waitcnt vmcnt(15)
	global_store_dwordx4 v[26:27], v[2:5], off
	scratch_load_dwordx4 v[2:5], v1, off
	s_nop 0
	scratch_load_dwordx4 v[54:57], v53, off
	s_waitcnt vmcnt(16)
	global_store_dwordx4 v[28:29], v[6:9], off
	s_waitcnt vmcnt(16)
	global_store_dwordx4 v[30:31], v[14:17], off
	;; [unrolled: 2-line block ×12, first 2 shown]
.LBB82_291:
	s_endpgm
	.section	.rodata,"a",@progbits
	.p2align	6, 0x0
	.amdhsa_kernel _ZN9rocsolver6v33100L18trti2_kernel_smallILi19E19rocblas_complex_numIdEPKPS3_EEv13rocblas_fill_17rocblas_diagonal_T1_iil
		.amdhsa_group_segment_fixed_size 608
		.amdhsa_private_segment_fixed_size 320
		.amdhsa_kernarg_size 32
		.amdhsa_user_sgpr_count 2
		.amdhsa_user_sgpr_dispatch_ptr 0
		.amdhsa_user_sgpr_queue_ptr 0
		.amdhsa_user_sgpr_kernarg_segment_ptr 1
		.amdhsa_user_sgpr_dispatch_id 0
		.amdhsa_user_sgpr_kernarg_preload_length 0
		.amdhsa_user_sgpr_kernarg_preload_offset 0
		.amdhsa_user_sgpr_private_segment_size 0
		.amdhsa_uses_dynamic_stack 0
		.amdhsa_enable_private_segment 1
		.amdhsa_system_sgpr_workgroup_id_x 1
		.amdhsa_system_sgpr_workgroup_id_y 0
		.amdhsa_system_sgpr_workgroup_id_z 0
		.amdhsa_system_sgpr_workgroup_info 0
		.amdhsa_system_vgpr_workitem_id 0
		.amdhsa_next_free_vgpr 82
		.amdhsa_next_free_sgpr 12
		.amdhsa_accum_offset 84
		.amdhsa_reserve_vcc 1
		.amdhsa_float_round_mode_32 0
		.amdhsa_float_round_mode_16_64 0
		.amdhsa_float_denorm_mode_32 3
		.amdhsa_float_denorm_mode_16_64 3
		.amdhsa_dx10_clamp 1
		.amdhsa_ieee_mode 1
		.amdhsa_fp16_overflow 0
		.amdhsa_tg_split 0
		.amdhsa_exception_fp_ieee_invalid_op 0
		.amdhsa_exception_fp_denorm_src 0
		.amdhsa_exception_fp_ieee_div_zero 0
		.amdhsa_exception_fp_ieee_overflow 0
		.amdhsa_exception_fp_ieee_underflow 0
		.amdhsa_exception_fp_ieee_inexact 0
		.amdhsa_exception_int_div_zero 0
	.end_amdhsa_kernel
	.section	.text._ZN9rocsolver6v33100L18trti2_kernel_smallILi19E19rocblas_complex_numIdEPKPS3_EEv13rocblas_fill_17rocblas_diagonal_T1_iil,"axG",@progbits,_ZN9rocsolver6v33100L18trti2_kernel_smallILi19E19rocblas_complex_numIdEPKPS3_EEv13rocblas_fill_17rocblas_diagonal_T1_iil,comdat
.Lfunc_end82:
	.size	_ZN9rocsolver6v33100L18trti2_kernel_smallILi19E19rocblas_complex_numIdEPKPS3_EEv13rocblas_fill_17rocblas_diagonal_T1_iil, .Lfunc_end82-_ZN9rocsolver6v33100L18trti2_kernel_smallILi19E19rocblas_complex_numIdEPKPS3_EEv13rocblas_fill_17rocblas_diagonal_T1_iil
                                        ; -- End function
	.section	.AMDGPU.csdata,"",@progbits
; Kernel info:
; codeLenInByte = 12340
; NumSgprs: 18
; NumVgprs: 82
; NumAgprs: 0
; TotalNumVgprs: 82
; ScratchSize: 320
; MemoryBound: 0
; FloatMode: 240
; IeeeMode: 1
; LDSByteSize: 608 bytes/workgroup (compile time only)
; SGPRBlocks: 2
; VGPRBlocks: 10
; NumSGPRsForWavesPerEU: 18
; NumVGPRsForWavesPerEU: 82
; AccumOffset: 84
; Occupancy: 5
; WaveLimiterHint : 1
; COMPUTE_PGM_RSRC2:SCRATCH_EN: 1
; COMPUTE_PGM_RSRC2:USER_SGPR: 2
; COMPUTE_PGM_RSRC2:TRAP_HANDLER: 0
; COMPUTE_PGM_RSRC2:TGID_X_EN: 1
; COMPUTE_PGM_RSRC2:TGID_Y_EN: 0
; COMPUTE_PGM_RSRC2:TGID_Z_EN: 0
; COMPUTE_PGM_RSRC2:TIDIG_COMP_CNT: 0
; COMPUTE_PGM_RSRC3_GFX90A:ACCUM_OFFSET: 20
; COMPUTE_PGM_RSRC3_GFX90A:TG_SPLIT: 0
	.section	.text._ZN9rocsolver6v33100L18trti2_kernel_smallILi20E19rocblas_complex_numIdEPKPS3_EEv13rocblas_fill_17rocblas_diagonal_T1_iil,"axG",@progbits,_ZN9rocsolver6v33100L18trti2_kernel_smallILi20E19rocblas_complex_numIdEPKPS3_EEv13rocblas_fill_17rocblas_diagonal_T1_iil,comdat
	.globl	_ZN9rocsolver6v33100L18trti2_kernel_smallILi20E19rocblas_complex_numIdEPKPS3_EEv13rocblas_fill_17rocblas_diagonal_T1_iil ; -- Begin function _ZN9rocsolver6v33100L18trti2_kernel_smallILi20E19rocblas_complex_numIdEPKPS3_EEv13rocblas_fill_17rocblas_diagonal_T1_iil
	.p2align	8
	.type	_ZN9rocsolver6v33100L18trti2_kernel_smallILi20E19rocblas_complex_numIdEPKPS3_EEv13rocblas_fill_17rocblas_diagonal_T1_iil,@function
_ZN9rocsolver6v33100L18trti2_kernel_smallILi20E19rocblas_complex_numIdEPKPS3_EEv13rocblas_fill_17rocblas_diagonal_T1_iil: ; @_ZN9rocsolver6v33100L18trti2_kernel_smallILi20E19rocblas_complex_numIdEPKPS3_EEv13rocblas_fill_17rocblas_diagonal_T1_iil
; %bb.0:
	v_cmp_gt_u32_e32 vcc, 20, v0
	s_and_saveexec_b64 s[4:5], vcc
	s_cbranch_execz .LBB83_307
; %bb.1:
	s_load_dwordx2 s[8:9], s[0:1], 0x10
	s_load_dwordx4 s[4:7], s[0:1], 0x0
	s_ashr_i32 s3, s2, 31
	s_lshl_b64 s[0:1], s[2:3], 3
	v_lshlrev_b32_e32 v30, 4, v0
	s_waitcnt lgkmcnt(0)
	s_ashr_i32 s3, s8, 31
	s_add_u32 s0, s6, s0
	s_addc_u32 s1, s7, s1
	s_load_dwordx2 s[0:1], s[0:1], 0x0
	s_mov_b32 s2, s8
	s_lshl_b64 s[2:3], s[2:3], 4
	v_mov_b32_e32 v31, 0
	s_mov_b32 s6, s9
	s_waitcnt lgkmcnt(0)
	s_add_u32 s0, s0, s2
	s_addc_u32 s1, s1, s3
	s_add_i32 s2, s9, s9
	v_add_u32_e32 v10, s2, v0
	v_add_u32_e32 v18, s9, v10
	;; [unrolled: 1-line block ×3, first 2 shown]
	s_ashr_i32 s7, s9, 31
	v_lshl_add_u64 v[16:17], s[0:1], 0, v[30:31]
	v_ashrrev_i32_e32 v11, 31, v10
	v_add_u32_e32 v26, s9, v22
	global_load_dwordx4 v[2:5], v30, s[0:1]
	v_lshl_add_u64 v[14:15], s[6:7], 4, v[16:17]
	global_load_dwordx4 v[6:9], v[14:15], off
	v_lshl_add_u64 v[20:21], v[10:11], 4, s[0:1]
	v_ashrrev_i32_e32 v19, 31, v18
	v_add_u32_e32 v28, s9, v26
	v_ashrrev_i32_e32 v23, 31, v22
	global_load_dwordx4 v[10:13], v[20:21], off
	v_lshl_add_u64 v[18:19], v[18:19], 4, s[0:1]
	global_load_dwordx4 v[48:51], v[18:19], off
	v_lshl_add_u64 v[24:25], v[22:23], 4, s[0:1]
	v_ashrrev_i32_e32 v27, 31, v26
	v_add_u32_e32 v32, s9, v28
	v_ashrrev_i32_e32 v29, 31, v28
	global_load_dwordx4 v[52:55], v[24:25], off
	v_lshl_add_u64 v[22:23], v[26:27], 4, s[0:1]
	global_load_dwordx4 v[56:59], v[22:23], off
	v_lshl_add_u64 v[26:27], v[28:29], 4, s[0:1]
	v_ashrrev_i32_e32 v33, 31, v32
	global_load_dwordx4 v[60:63], v[26:27], off
	v_lshl_add_u64 v[28:29], v[32:33], 4, s[0:1]
	global_load_dwordx4 v[64:67], v[28:29], off
	v_add_u32_e32 v32, s9, v32
	v_add_u32_e32 v34, s9, v32
	;; [unrolled: 1-line block ×12, first 2 shown]
	v_ashrrev_i32_e32 v33, 31, v32
	v_ashrrev_i32_e32 v35, 31, v34
	;; [unrolled: 1-line block ×3, first 2 shown]
	v_lshl_add_u64 v[32:33], v[32:33], 4, s[0:1]
	v_lshl_add_u64 v[34:35], v[34:35], 4, s[0:1]
	v_ashrrev_i32_e32 v37, 31, v36
	v_ashrrev_i32_e32 v39, 31, v38
	v_lshl_add_u64 v[42:43], v[42:43], 4, s[0:1]
	global_load_dwordx4 v[68:71], v[32:33], off
	v_lshl_add_u64 v[36:37], v[36:37], 4, s[0:1]
	global_load_dwordx4 v[72:75], v[34:35], off
	global_load_dwordx4 v[76:79], v[36:37], off
	v_lshl_add_u64 v[38:39], v[38:39], 4, s[0:1]
	v_ashrrev_i32_e32 v41, 31, v40
	v_ashrrev_i32_e32 v45, 31, v44
	global_load_dwordx4 v[80:83], v[42:43], off
	v_lshl_add_u64 v[40:41], v[40:41], 4, s[0:1]
	v_lshl_add_u64 v[44:45], v[44:45], 4, s[0:1]
	v_ashrrev_i32_e32 v47, 31, v46
	v_ashrrev_i32_e32 v93, 31, v92
	v_lshl_add_u64 v[46:47], v[46:47], 4, s[0:1]
	v_ashrrev_i32_e32 v95, 31, v94
	v_ashrrev_i32_e32 v97, 31, v96
	;; [unrolled: 1-line block ×3, first 2 shown]
	s_cmpk_lg_i32 s5, 0x84
	s_cselect_b64 s[6:7], -1, 0
	s_cmpk_eq_i32 s5, 0x84
	s_waitcnt vmcnt(11)
	scratch_store_dwordx4 off, v[2:5], off
	s_waitcnt vmcnt(11)
	scratch_store_dwordx4 off, v[6:9], off offset:16
	global_load_dwordx4 v[2:5], v[38:39], off
	s_nop 0
	global_load_dwordx4 v[6:9], v[40:41], off
	s_waitcnt vmcnt(13)
	scratch_store_dwordx4 off, v[10:13], off offset:32
	s_waitcnt vmcnt(13)
	scratch_store_dwordx4 off, v[48:51], off offset:48
	global_load_dwordx4 v[84:87], v[44:45], off
	global_load_dwordx4 v[88:91], v[46:47], off
	v_lshl_add_u64 v[48:49], v[92:93], 4, s[0:1]
	s_waitcnt vmcnt(15)
	scratch_store_dwordx4 off, v[52:55], off offset:64
	s_waitcnt vmcnt(15)
	scratch_store_dwordx4 off, v[56:59], off offset:80
	v_lshl_add_u64 v[50:51], v[94:95], 4, s[0:1]
	global_load_dwordx4 v[56:59], v[48:49], off
	global_load_dwordx4 v[92:95], v[50:51], off
	v_lshl_add_u64 v[52:53], v[96:97], 4, s[0:1]
	s_waitcnt vmcnt(17)
	scratch_store_dwordx4 off, v[60:63], off offset:96
	s_waitcnt vmcnt(17)
	scratch_store_dwordx4 off, v[64:67], off offset:112
	v_lshl_add_u64 v[54:55], v[98:99], 4, s[0:1]
	global_load_dwordx4 v[60:63], v[52:53], off
	global_load_dwordx4 v[64:67], v[54:55], off
	v_mov_b32_e32 v12, 0
	s_waitcnt vmcnt(19)
	scratch_store_dwordx4 off, v[68:71], off offset:128
	s_waitcnt vmcnt(19)
	scratch_store_dwordx4 off, v[72:75], off offset:144
	;; [unrolled: 2-line block ×11, first 2 shown]
	scratch_store_dwordx4 off, v[80:83], off offset:304
	s_cbranch_scc1 .LBB83_7
; %bb.2:
	scratch_load_dwordx4 v[2:5], v30, off
                                        ; implicit-def: $vgpr10_vgpr11
	s_waitcnt vmcnt(0)
	v_xor_b32_e32 v1, 0x80000000, v3
	v_cmp_gt_f64_e32 vcc, 0, v[2:3]
	v_xor_b32_e32 v8, 0x80000000, v5
	v_mov_b32_e32 v6, v2
	v_cndmask_b32_e32 v7, v3, v1, vcc
	v_cmp_gt_f64_e32 vcc, 0, v[4:5]
	s_nop 1
	v_cndmask_b32_e32 v9, v5, v8, vcc
	v_mov_b32_e32 v8, v4
	v_cmp_ngt_f64_e32 vcc, v[6:7], v[8:9]
                                        ; implicit-def: $vgpr6_vgpr7
	s_and_saveexec_b64 s[0:1], vcc
	s_xor_b64 s[0:1], exec, s[0:1]
	s_cbranch_execz .LBB83_4
; %bb.3:
	v_div_scale_f64 v[6:7], s[2:3], v[4:5], v[4:5], v[2:3]
	v_rcp_f64_e32 v[8:9], v[6:7]
	v_div_scale_f64 v[10:11], vcc, v[2:3], v[4:5], v[2:3]
	v_fma_f64 v[56:57], -v[6:7], v[8:9], 1.0
	v_fmac_f64_e32 v[8:9], v[8:9], v[56:57]
	v_fma_f64 v[56:57], -v[6:7], v[8:9], 1.0
	v_fmac_f64_e32 v[8:9], v[8:9], v[56:57]
	v_mul_f64 v[56:57], v[10:11], v[8:9]
	v_fma_f64 v[6:7], -v[6:7], v[56:57], v[10:11]
	v_div_fmas_f64 v[6:7], v[6:7], v[8:9], v[56:57]
	v_div_fixup_f64 v[6:7], v[6:7], v[4:5], v[2:3]
	v_fmac_f64_e32 v[4:5], v[2:3], v[6:7]
	v_div_scale_f64 v[2:3], s[2:3], v[4:5], v[4:5], 1.0
	v_rcp_f64_e32 v[8:9], v[2:3]
	s_nop 0
	v_fma_f64 v[10:11], -v[2:3], v[8:9], 1.0
	v_fmac_f64_e32 v[8:9], v[8:9], v[10:11]
	v_fma_f64 v[10:11], -v[2:3], v[8:9], 1.0
	v_fmac_f64_e32 v[8:9], v[8:9], v[10:11]
	v_div_scale_f64 v[10:11], vcc, 1.0, v[4:5], 1.0
	v_mul_f64 v[56:57], v[10:11], v[8:9]
	v_fma_f64 v[2:3], -v[2:3], v[56:57], v[10:11]
	s_nop 1
	v_div_fmas_f64 v[2:3], v[2:3], v[8:9], v[56:57]
	v_div_fixup_f64 v[8:9], v[2:3], v[4:5], 1.0
	v_mul_f64 v[6:7], v[6:7], v[8:9]
	v_xor_b32_e32 v9, 0x80000000, v9
	v_xor_b32_e32 v11, 0x80000000, v7
	v_mov_b32_e32 v10, v6
                                        ; implicit-def: $vgpr2_vgpr3
.LBB83_4:
	s_or_saveexec_b64 s[0:1], s[0:1]
	v_add_u32_e32 v1, 0, v30
	s_xor_b64 exec, exec, s[0:1]
	s_cbranch_execz .LBB83_6
; %bb.5:
	v_div_scale_f64 v[6:7], s[2:3], v[2:3], v[2:3], v[4:5]
	v_rcp_f64_e32 v[8:9], v[6:7]
	v_div_scale_f64 v[10:11], vcc, v[4:5], v[2:3], v[4:5]
	v_fma_f64 v[56:57], -v[6:7], v[8:9], 1.0
	v_fmac_f64_e32 v[8:9], v[8:9], v[56:57]
	v_fma_f64 v[56:57], -v[6:7], v[8:9], 1.0
	v_fmac_f64_e32 v[8:9], v[8:9], v[56:57]
	v_mul_f64 v[56:57], v[10:11], v[8:9]
	v_fma_f64 v[6:7], -v[6:7], v[56:57], v[10:11]
	v_div_fmas_f64 v[6:7], v[6:7], v[8:9], v[56:57]
	v_div_fixup_f64 v[8:9], v[6:7], v[2:3], v[4:5]
	v_fmac_f64_e32 v[2:3], v[4:5], v[8:9]
	v_div_scale_f64 v[4:5], s[2:3], v[2:3], v[2:3], 1.0
	v_rcp_f64_e32 v[6:7], v[4:5]
	s_nop 0
	v_fma_f64 v[10:11], -v[4:5], v[6:7], 1.0
	v_fmac_f64_e32 v[6:7], v[6:7], v[10:11]
	v_fma_f64 v[10:11], -v[4:5], v[6:7], 1.0
	v_fmac_f64_e32 v[6:7], v[6:7], v[10:11]
	v_div_scale_f64 v[10:11], vcc, 1.0, v[2:3], 1.0
	v_mul_f64 v[56:57], v[10:11], v[6:7]
	v_fma_f64 v[4:5], -v[4:5], v[56:57], v[10:11]
	s_nop 1
	v_div_fmas_f64 v[4:5], v[4:5], v[6:7], v[56:57]
	v_div_fixup_f64 v[6:7], v[4:5], v[2:3], 1.0
	v_xor_b32_e32 v11, 0x80000000, v7
	v_mov_b32_e32 v10, v6
	v_mul_f64 v[8:9], v[8:9], -v[6:7]
.LBB83_6:
	s_or_b64 exec, exec, s[0:1]
	scratch_store_dwordx4 v1, v[6:9], off
	s_nop 1
	v_xor_b32_e32 v9, 0x80000000, v9
	s_branch .LBB83_8
.LBB83_7:
	v_mov_b64_e32 v[8:9], 0
	v_mov_b64_e32 v[10:11], -1.0
.LBB83_8:
	v_add_u32_e32 v68, 16, v12
	v_add_u32_e32 v65, 32, v12
	;; [unrolled: 1-line block ×19, first 2 shown]
	v_mov_b32_e32 v12, v8
	v_mov_b32_e32 v13, v9
	s_cmpk_eq_i32 s4, 0x79
	v_add_u32_e32 v9, 0x140, v30
	v_add_u32_e32 v8, 0, v30
	ds_write_b128 v30, v[10:13]
	s_cbranch_scc1 .LBB83_156
; %bb.9:
	scratch_load_dwordx4 v[2:5], v1, off
	v_cmp_eq_u32_e64 s[0:1], 19, v0
	s_waitcnt vmcnt(0)
	ds_write_b128 v9, v[2:5]
	s_waitcnt lgkmcnt(0)
	; wave barrier
	s_waitcnt lgkmcnt(0)
	s_and_saveexec_b64 s[2:3], s[0:1]
	s_cbranch_execz .LBB83_13
; %bb.10:
	ds_read_b128 v[2:5], v9
	s_andn2_b64 vcc, exec, s[6:7]
	s_cbranch_vccnz .LBB83_12
; %bb.11:
	scratch_load_dwordx4 v[10:13], v8, off
	s_waitcnt vmcnt(0) lgkmcnt(0)
	v_mul_f64 v[6:7], v[4:5], v[12:13]
	v_mul_f64 v[12:13], v[2:3], v[12:13]
	v_fmac_f64_e32 v[12:13], v[4:5], v[10:11]
	v_fma_f64 v[2:3], v[2:3], v[10:11], -v[6:7]
	v_mov_b64_e32 v[4:5], v[12:13]
.LBB83_12:
	v_mov_b32_e32 v6, 0
	ds_read_b128 v[10:13], v6 offset:288
	s_waitcnt lgkmcnt(0)
	v_mul_f64 v[6:7], v[4:5], v[12:13]
	v_mul_f64 v[76:77], v[2:3], v[12:13]
	v_fma_f64 v[74:75], v[2:3], v[10:11], -v[6:7]
	v_fmac_f64_e32 v[76:77], v[4:5], v[10:11]
	scratch_store_dwordx4 off, v[74:77], off offset:288
.LBB83_13:
	s_or_b64 exec, exec, s[2:3]
	scratch_load_dwordx4 v[2:5], v57, off
	v_cmp_lt_u32_e64 s[2:3], 17, v0
	s_waitcnt vmcnt(0)
	ds_write_b128 v9, v[2:5]
	s_waitcnt lgkmcnt(0)
	; wave barrier
	s_waitcnt lgkmcnt(0)
	s_and_saveexec_b64 s[4:5], s[2:3]
	s_cbranch_execz .LBB83_19
; %bb.14:
	ds_read_b128 v[2:5], v9
	s_andn2_b64 vcc, exec, s[6:7]
	s_cbranch_vccnz .LBB83_16
; %bb.15:
	scratch_load_dwordx4 v[10:13], v8, off
	s_waitcnt vmcnt(0) lgkmcnt(0)
	v_mul_f64 v[6:7], v[4:5], v[12:13]
	v_mul_f64 v[12:13], v[2:3], v[12:13]
	v_fmac_f64_e32 v[12:13], v[4:5], v[10:11]
	v_fma_f64 v[2:3], v[2:3], v[10:11], -v[6:7]
	v_mov_b64_e32 v[4:5], v[12:13]
.LBB83_16:
	s_and_saveexec_b64 s[8:9], s[0:1]
	s_cbranch_execz .LBB83_18
; %bb.17:
	scratch_load_dwordx4 v[10:13], off, off offset:288
	v_mov_b32_e32 v6, 0
	ds_read_b128 v[74:77], v6 offset:608
	s_waitcnt vmcnt(0) lgkmcnt(0)
	v_mul_f64 v[6:7], v[74:75], v[12:13]
	v_mul_f64 v[12:13], v[76:77], v[12:13]
	v_fmac_f64_e32 v[6:7], v[76:77], v[10:11]
	v_fma_f64 v[10:11], v[74:75], v[10:11], -v[12:13]
	v_add_f64 v[4:5], v[4:5], v[6:7]
	v_add_f64 v[2:3], v[2:3], v[10:11]
.LBB83_18:
	s_or_b64 exec, exec, s[8:9]
	v_mov_b32_e32 v6, 0
	ds_read_b128 v[10:13], v6 offset:272
	s_waitcnt lgkmcnt(0)
	v_mul_f64 v[6:7], v[4:5], v[12:13]
	v_mul_f64 v[76:77], v[2:3], v[12:13]
	v_fma_f64 v[74:75], v[2:3], v[10:11], -v[6:7]
	v_fmac_f64_e32 v[76:77], v[4:5], v[10:11]
	scratch_store_dwordx4 off, v[74:77], off offset:272
.LBB83_19:
	s_or_b64 exec, exec, s[4:5]
	scratch_load_dwordx4 v[2:5], v56, off
	v_cmp_lt_u32_e64 s[0:1], 16, v0
	s_waitcnt vmcnt(0)
	ds_write_b128 v9, v[2:5]
	s_waitcnt lgkmcnt(0)
	; wave barrier
	s_waitcnt lgkmcnt(0)
	s_and_saveexec_b64 s[4:5], s[0:1]
	s_cbranch_execz .LBB83_27
; %bb.20:
	ds_read_b128 v[2:5], v9
	s_andn2_b64 vcc, exec, s[6:7]
	s_cbranch_vccnz .LBB83_22
; %bb.21:
	scratch_load_dwordx4 v[10:13], v8, off
	s_waitcnt vmcnt(0) lgkmcnt(0)
	v_mul_f64 v[6:7], v[4:5], v[12:13]
	v_mul_f64 v[12:13], v[2:3], v[12:13]
	v_fmac_f64_e32 v[12:13], v[4:5], v[10:11]
	v_fma_f64 v[2:3], v[2:3], v[10:11], -v[6:7]
	v_mov_b64_e32 v[4:5], v[12:13]
.LBB83_22:
	s_and_saveexec_b64 s[8:9], s[2:3]
	s_cbranch_execz .LBB83_26
; %bb.23:
	v_mov_b32_e32 v7, 0
	v_subrev_u32_e32 v6, 17, v0
	v_add_u32_e32 v7, 0x118, v7
	s_movk_i32 s10, 0x250
	s_mov_b64 s[2:3], 0
.LBB83_24:                              ; =>This Inner Loop Header: Depth=1
	v_add_u32_e32 v10, -8, v7
	scratch_load_dwordx4 v[10:13], v10, off
	v_mov_b32_e32 v73, s10
	ds_read_b128 v[74:77], v73
	v_add_u32_e32 v6, -1, v6
	s_add_i32 s10, s10, 16
	v_cmp_eq_u32_e32 vcc, 0, v6
	v_add_u32_e32 v7, 16, v7
	s_or_b64 s[2:3], vcc, s[2:3]
	s_waitcnt vmcnt(0) lgkmcnt(0)
	v_mul_f64 v[78:79], v[76:77], v[12:13]
	v_mul_f64 v[12:13], v[74:75], v[12:13]
	v_fma_f64 v[74:75], v[74:75], v[10:11], -v[78:79]
	v_fmac_f64_e32 v[12:13], v[76:77], v[10:11]
	v_add_f64 v[2:3], v[2:3], v[74:75]
	v_add_f64 v[4:5], v[4:5], v[12:13]
	s_andn2_b64 exec, exec, s[2:3]
	s_cbranch_execnz .LBB83_24
; %bb.25:
	s_or_b64 exec, exec, s[2:3]
.LBB83_26:
	s_or_b64 exec, exec, s[8:9]
	v_mov_b32_e32 v6, 0
	ds_read_b128 v[10:13], v6 offset:256
	s_waitcnt lgkmcnt(0)
	v_mul_f64 v[6:7], v[4:5], v[12:13]
	v_mul_f64 v[76:77], v[2:3], v[12:13]
	v_fma_f64 v[74:75], v[2:3], v[10:11], -v[6:7]
	v_fmac_f64_e32 v[76:77], v[4:5], v[10:11]
	scratch_store_dwordx4 off, v[74:77], off offset:256
.LBB83_27:
	s_or_b64 exec, exec, s[4:5]
	scratch_load_dwordx4 v[2:5], v59, off
	v_cmp_lt_u32_e64 s[2:3], 15, v0
	s_waitcnt vmcnt(0)
	ds_write_b128 v9, v[2:5]
	s_waitcnt lgkmcnt(0)
	; wave barrier
	s_waitcnt lgkmcnt(0)
	s_and_saveexec_b64 s[4:5], s[2:3]
	s_cbranch_execz .LBB83_35
; %bb.28:
	ds_read_b128 v[2:5], v9
	s_andn2_b64 vcc, exec, s[6:7]
	s_cbranch_vccnz .LBB83_30
; %bb.29:
	scratch_load_dwordx4 v[10:13], v8, off
	s_waitcnt vmcnt(0) lgkmcnt(0)
	v_mul_f64 v[6:7], v[4:5], v[12:13]
	v_mul_f64 v[12:13], v[2:3], v[12:13]
	v_fmac_f64_e32 v[12:13], v[4:5], v[10:11]
	v_fma_f64 v[2:3], v[2:3], v[10:11], -v[6:7]
	v_mov_b64_e32 v[4:5], v[12:13]
.LBB83_30:
	s_and_saveexec_b64 s[8:9], s[0:1]
	s_cbranch_execz .LBB83_34
; %bb.31:
	v_mov_b32_e32 v7, 0
	v_add_u32_e32 v6, -16, v0
	v_add_u32_e32 v7, 0x108, v7
	s_movk_i32 s10, 0x240
	s_mov_b64 s[0:1], 0
.LBB83_32:                              ; =>This Inner Loop Header: Depth=1
	v_add_u32_e32 v10, -8, v7
	scratch_load_dwordx4 v[10:13], v10, off
	v_mov_b32_e32 v73, s10
	ds_read_b128 v[74:77], v73
	v_add_u32_e32 v6, -1, v6
	s_add_i32 s10, s10, 16
	v_cmp_eq_u32_e32 vcc, 0, v6
	v_add_u32_e32 v7, 16, v7
	s_or_b64 s[0:1], vcc, s[0:1]
	s_waitcnt vmcnt(0) lgkmcnt(0)
	v_mul_f64 v[78:79], v[76:77], v[12:13]
	v_mul_f64 v[12:13], v[74:75], v[12:13]
	v_fma_f64 v[74:75], v[74:75], v[10:11], -v[78:79]
	v_fmac_f64_e32 v[12:13], v[76:77], v[10:11]
	v_add_f64 v[2:3], v[2:3], v[74:75]
	v_add_f64 v[4:5], v[4:5], v[12:13]
	s_andn2_b64 exec, exec, s[0:1]
	s_cbranch_execnz .LBB83_32
; %bb.33:
	s_or_b64 exec, exec, s[0:1]
.LBB83_34:
	s_or_b64 exec, exec, s[8:9]
	v_mov_b32_e32 v6, 0
	ds_read_b128 v[10:13], v6 offset:240
	s_waitcnt lgkmcnt(0)
	v_mul_f64 v[6:7], v[4:5], v[12:13]
	v_mul_f64 v[76:77], v[2:3], v[12:13]
	v_fma_f64 v[74:75], v[2:3], v[10:11], -v[6:7]
	v_fmac_f64_e32 v[76:77], v[4:5], v[10:11]
	scratch_store_dwordx4 off, v[74:77], off offset:240
.LBB83_35:
	s_or_b64 exec, exec, s[4:5]
	scratch_load_dwordx4 v[2:5], v58, off
	v_cmp_lt_u32_e64 s[0:1], 14, v0
	s_waitcnt vmcnt(0)
	ds_write_b128 v9, v[2:5]
	s_waitcnt lgkmcnt(0)
	; wave barrier
	s_waitcnt lgkmcnt(0)
	s_and_saveexec_b64 s[4:5], s[0:1]
	s_cbranch_execz .LBB83_43
; %bb.36:
	ds_read_b128 v[2:5], v9
	s_andn2_b64 vcc, exec, s[6:7]
	s_cbranch_vccnz .LBB83_38
; %bb.37:
	scratch_load_dwordx4 v[10:13], v8, off
	s_waitcnt vmcnt(0) lgkmcnt(0)
	v_mul_f64 v[6:7], v[4:5], v[12:13]
	v_mul_f64 v[12:13], v[2:3], v[12:13]
	v_fmac_f64_e32 v[12:13], v[4:5], v[10:11]
	v_fma_f64 v[2:3], v[2:3], v[10:11], -v[6:7]
	v_mov_b64_e32 v[4:5], v[12:13]
.LBB83_38:
	s_and_saveexec_b64 s[8:9], s[2:3]
	s_cbranch_execz .LBB83_42
; %bb.39:
	v_mov_b32_e32 v7, 0
	v_add_u32_e32 v6, -15, v0
	v_add_u32_e32 v7, 0xf8, v7
	s_movk_i32 s10, 0x230
	s_mov_b64 s[2:3], 0
.LBB83_40:                              ; =>This Inner Loop Header: Depth=1
	v_add_u32_e32 v10, -8, v7
	scratch_load_dwordx4 v[10:13], v10, off
	v_mov_b32_e32 v73, s10
	ds_read_b128 v[74:77], v73
	v_add_u32_e32 v6, -1, v6
	s_add_i32 s10, s10, 16
	v_cmp_eq_u32_e32 vcc, 0, v6
	v_add_u32_e32 v7, 16, v7
	s_or_b64 s[2:3], vcc, s[2:3]
	s_waitcnt vmcnt(0) lgkmcnt(0)
	v_mul_f64 v[78:79], v[76:77], v[12:13]
	v_mul_f64 v[12:13], v[74:75], v[12:13]
	v_fma_f64 v[74:75], v[74:75], v[10:11], -v[78:79]
	v_fmac_f64_e32 v[12:13], v[76:77], v[10:11]
	v_add_f64 v[2:3], v[2:3], v[74:75]
	v_add_f64 v[4:5], v[4:5], v[12:13]
	s_andn2_b64 exec, exec, s[2:3]
	s_cbranch_execnz .LBB83_40
; %bb.41:
	s_or_b64 exec, exec, s[2:3]
.LBB83_42:
	s_or_b64 exec, exec, s[8:9]
	v_mov_b32_e32 v6, 0
	ds_read_b128 v[10:13], v6 offset:224
	s_waitcnt lgkmcnt(0)
	v_mul_f64 v[6:7], v[4:5], v[12:13]
	v_mul_f64 v[76:77], v[2:3], v[12:13]
	v_fma_f64 v[74:75], v[2:3], v[10:11], -v[6:7]
	v_fmac_f64_e32 v[76:77], v[4:5], v[10:11]
	scratch_store_dwordx4 off, v[74:77], off offset:224
.LBB83_43:
	;; [unrolled: 63-line block ×9, first 2 shown]
	s_or_b64 exec, exec, s[4:5]
	scratch_load_dwordx4 v[2:5], v66, off
	v_cmp_lt_u32_e64 s[0:1], 6, v0
	s_waitcnt vmcnt(0)
	ds_write_b128 v9, v[2:5]
	s_waitcnt lgkmcnt(0)
	; wave barrier
	s_waitcnt lgkmcnt(0)
	s_and_saveexec_b64 s[4:5], s[0:1]
	s_cbranch_execz .LBB83_107
; %bb.100:
	ds_read_b128 v[2:5], v9
	s_andn2_b64 vcc, exec, s[6:7]
	s_cbranch_vccnz .LBB83_102
; %bb.101:
	scratch_load_dwordx4 v[10:13], v8, off
	s_waitcnt vmcnt(0) lgkmcnt(0)
	v_mul_f64 v[6:7], v[4:5], v[12:13]
	v_mul_f64 v[12:13], v[2:3], v[12:13]
	v_fmac_f64_e32 v[12:13], v[4:5], v[10:11]
	v_fma_f64 v[2:3], v[2:3], v[10:11], -v[6:7]
	v_mov_b64_e32 v[4:5], v[12:13]
.LBB83_102:
	s_and_saveexec_b64 s[8:9], s[2:3]
	s_cbranch_execz .LBB83_106
; %bb.103:
	v_mov_b32_e32 v7, 0
	v_add_u32_e32 v6, -7, v0
	v_add_u32_e32 v7, 0x78, v7
	s_movk_i32 s10, 0x1b0
	s_mov_b64 s[2:3], 0
.LBB83_104:                             ; =>This Inner Loop Header: Depth=1
	v_add_u32_e32 v10, -8, v7
	scratch_load_dwordx4 v[10:13], v10, off
	v_mov_b32_e32 v73, s10
	ds_read_b128 v[74:77], v73
	v_add_u32_e32 v6, -1, v6
	s_add_i32 s10, s10, 16
	v_cmp_eq_u32_e32 vcc, 0, v6
	v_add_u32_e32 v7, 16, v7
	s_or_b64 s[2:3], vcc, s[2:3]
	s_waitcnt vmcnt(0) lgkmcnt(0)
	v_mul_f64 v[78:79], v[76:77], v[12:13]
	v_mul_f64 v[12:13], v[74:75], v[12:13]
	v_fma_f64 v[74:75], v[74:75], v[10:11], -v[78:79]
	v_fmac_f64_e32 v[12:13], v[76:77], v[10:11]
	v_add_f64 v[2:3], v[2:3], v[74:75]
	v_add_f64 v[4:5], v[4:5], v[12:13]
	s_andn2_b64 exec, exec, s[2:3]
	s_cbranch_execnz .LBB83_104
; %bb.105:
	s_or_b64 exec, exec, s[2:3]
.LBB83_106:
	s_or_b64 exec, exec, s[8:9]
	v_mov_b32_e32 v6, 0
	ds_read_b128 v[10:13], v6 offset:96
	s_waitcnt lgkmcnt(0)
	v_mul_f64 v[6:7], v[4:5], v[12:13]
	v_mul_f64 v[76:77], v[2:3], v[12:13]
	v_fma_f64 v[74:75], v[2:3], v[10:11], -v[6:7]
	v_fmac_f64_e32 v[76:77], v[4:5], v[10:11]
	scratch_store_dwordx4 off, v[74:77], off offset:96
.LBB83_107:
	s_or_b64 exec, exec, s[4:5]
	scratch_load_dwordx4 v[2:5], v69, off
	v_cmp_lt_u32_e64 s[2:3], 5, v0
	s_waitcnt vmcnt(0)
	ds_write_b128 v9, v[2:5]
	s_waitcnt lgkmcnt(0)
	; wave barrier
	s_waitcnt lgkmcnt(0)
	s_and_saveexec_b64 s[4:5], s[2:3]
	s_cbranch_execz .LBB83_115
; %bb.108:
	ds_read_b128 v[2:5], v9
	s_andn2_b64 vcc, exec, s[6:7]
	s_cbranch_vccnz .LBB83_110
; %bb.109:
	scratch_load_dwordx4 v[10:13], v8, off
	s_waitcnt vmcnt(0) lgkmcnt(0)
	v_mul_f64 v[6:7], v[4:5], v[12:13]
	v_mul_f64 v[12:13], v[2:3], v[12:13]
	v_fmac_f64_e32 v[12:13], v[4:5], v[10:11]
	v_fma_f64 v[2:3], v[2:3], v[10:11], -v[6:7]
	v_mov_b64_e32 v[4:5], v[12:13]
.LBB83_110:
	s_and_saveexec_b64 s[8:9], s[0:1]
	s_cbranch_execz .LBB83_114
; %bb.111:
	v_mov_b32_e32 v7, 0
	v_add_u32_e32 v6, -6, v0
	v_add_u32_e32 v7, 0x68, v7
	s_movk_i32 s10, 0x1a0
	s_mov_b64 s[0:1], 0
.LBB83_112:                             ; =>This Inner Loop Header: Depth=1
	v_add_u32_e32 v10, -8, v7
	scratch_load_dwordx4 v[10:13], v10, off
	v_mov_b32_e32 v73, s10
	ds_read_b128 v[74:77], v73
	v_add_u32_e32 v6, -1, v6
	s_add_i32 s10, s10, 16
	v_cmp_eq_u32_e32 vcc, 0, v6
	v_add_u32_e32 v7, 16, v7
	s_or_b64 s[0:1], vcc, s[0:1]
	s_waitcnt vmcnt(0) lgkmcnt(0)
	v_mul_f64 v[78:79], v[76:77], v[12:13]
	v_mul_f64 v[12:13], v[74:75], v[12:13]
	v_fma_f64 v[74:75], v[74:75], v[10:11], -v[78:79]
	v_fmac_f64_e32 v[12:13], v[76:77], v[10:11]
	v_add_f64 v[2:3], v[2:3], v[74:75]
	v_add_f64 v[4:5], v[4:5], v[12:13]
	s_andn2_b64 exec, exec, s[0:1]
	s_cbranch_execnz .LBB83_112
; %bb.113:
	s_or_b64 exec, exec, s[0:1]
.LBB83_114:
	s_or_b64 exec, exec, s[8:9]
	v_mov_b32_e32 v6, 0
	ds_read_b128 v[10:13], v6 offset:80
	s_waitcnt lgkmcnt(0)
	v_mul_f64 v[6:7], v[4:5], v[12:13]
	v_mul_f64 v[76:77], v[2:3], v[12:13]
	v_fma_f64 v[74:75], v[2:3], v[10:11], -v[6:7]
	v_fmac_f64_e32 v[76:77], v[4:5], v[10:11]
	scratch_store_dwordx4 off, v[74:77], off offset:80
.LBB83_115:
	;; [unrolled: 63-line block ×6, first 2 shown]
	s_or_b64 exec, exec, s[2:3]
	scratch_load_dwordx4 v[2:5], off, off
	v_cmp_ne_u32_e32 vcc, 0, v0
	s_mov_b64 s[2:3], 0
	s_mov_b64 s[4:5], 0
                                        ; implicit-def: $vgpr6_vgpr7
                                        ; implicit-def: $vgpr10
	s_waitcnt vmcnt(0)
	ds_write_b128 v9, v[2:5]
	s_waitcnt lgkmcnt(0)
	; wave barrier
	s_waitcnt lgkmcnt(0)
	s_and_saveexec_b64 s[8:9], vcc
	s_cbranch_execz .LBB83_155
; %bb.148:
	ds_read_b128 v[2:5], v9
	s_andn2_b64 vcc, exec, s[6:7]
	s_cbranch_vccnz .LBB83_150
; %bb.149:
	scratch_load_dwordx4 v[10:13], v8, off
	s_waitcnt vmcnt(0) lgkmcnt(0)
	v_mul_f64 v[6:7], v[4:5], v[12:13]
	v_mul_f64 v[12:13], v[2:3], v[12:13]
	v_fmac_f64_e32 v[12:13], v[4:5], v[10:11]
	v_fma_f64 v[2:3], v[2:3], v[10:11], -v[6:7]
	v_mov_b64_e32 v[4:5], v[12:13]
.LBB83_150:
	s_and_saveexec_b64 s[4:5], s[0:1]
	s_cbranch_execz .LBB83_154
; %bb.151:
	v_mov_b32_e32 v7, 0
	v_add_u32_e32 v6, -1, v0
	v_add_u32_e32 v7, 24, v7
	s_movk_i32 s10, 0x150
	s_mov_b64 s[0:1], 0
.LBB83_152:                             ; =>This Inner Loop Header: Depth=1
	v_add_u32_e32 v10, -8, v7
	scratch_load_dwordx4 v[10:13], v10, off
	v_mov_b32_e32 v73, s10
	ds_read_b128 v[74:77], v73
	v_add_u32_e32 v6, -1, v6
	s_add_i32 s10, s10, 16
	v_cmp_eq_u32_e32 vcc, 0, v6
	v_add_u32_e32 v7, 16, v7
	s_or_b64 s[0:1], vcc, s[0:1]
	s_waitcnt vmcnt(0) lgkmcnt(0)
	v_mul_f64 v[78:79], v[76:77], v[12:13]
	v_mul_f64 v[12:13], v[74:75], v[12:13]
	v_fma_f64 v[74:75], v[74:75], v[10:11], -v[78:79]
	v_fmac_f64_e32 v[12:13], v[76:77], v[10:11]
	v_add_f64 v[2:3], v[2:3], v[74:75]
	v_add_f64 v[4:5], v[4:5], v[12:13]
	s_andn2_b64 exec, exec, s[0:1]
	s_cbranch_execnz .LBB83_152
; %bb.153:
	s_or_b64 exec, exec, s[0:1]
.LBB83_154:
	s_or_b64 exec, exec, s[4:5]
	v_mov_b32_e32 v6, 0
	ds_read_b128 v[74:77], v6
	v_mov_b32_e32 v6, 0
	v_or_b32_e32 v10, 8, v6
	s_mov_b64 s[4:5], exec
	s_waitcnt lgkmcnt(0)
	v_mul_f64 v[12:13], v[4:5], v[76:77]
	v_mul_f64 v[6:7], v[2:3], v[76:77]
	v_fma_f64 v[2:3], v[2:3], v[74:75], -v[12:13]
	v_fmac_f64_e32 v[6:7], v[4:5], v[74:75]
	scratch_store_dwordx2 off, v[2:3], off
.LBB83_155:
	s_or_b64 exec, exec, s[8:9]
	s_and_b64 vcc, exec, s[2:3]
	s_cbranch_vccnz .LBB83_157
	s_branch .LBB83_304
.LBB83_156:
	s_mov_b64 s[4:5], 0
                                        ; implicit-def: $vgpr6_vgpr7
                                        ; implicit-def: $vgpr10
	s_cbranch_execz .LBB83_304
.LBB83_157:
	scratch_load_dwordx4 v[2:5], v68, off
	v_cndmask_b32_e64 v6, 0, 1, s[6:7]
	v_cmp_eq_u32_e64 s[2:3], 0, v0
	v_cmp_ne_u32_e64 s[0:1], 1, v6
	s_waitcnt vmcnt(0)
	ds_write_b128 v9, v[2:5]
	s_waitcnt lgkmcnt(0)
	; wave barrier
	s_waitcnt lgkmcnt(0)
	s_and_saveexec_b64 s[6:7], s[2:3]
	s_cbranch_execz .LBB83_161
; %bb.158:
	ds_read_b128 v[2:5], v9
	s_and_b64 vcc, exec, s[0:1]
	s_cbranch_vccnz .LBB83_160
; %bb.159:
	scratch_load_dwordx4 v[10:13], v8, off
	s_waitcnt vmcnt(0) lgkmcnt(0)
	v_mul_f64 v[6:7], v[4:5], v[12:13]
	v_mul_f64 v[12:13], v[2:3], v[12:13]
	v_fmac_f64_e32 v[12:13], v[4:5], v[10:11]
	v_fma_f64 v[2:3], v[2:3], v[10:11], -v[6:7]
	v_mov_b64_e32 v[4:5], v[12:13]
.LBB83_160:
	v_mov_b32_e32 v6, 0
	ds_read_b128 v[10:13], v6 offset:16
	s_waitcnt lgkmcnt(0)
	v_mul_f64 v[6:7], v[4:5], v[12:13]
	v_mul_f64 v[76:77], v[2:3], v[12:13]
	v_fma_f64 v[74:75], v[2:3], v[10:11], -v[6:7]
	v_fmac_f64_e32 v[76:77], v[4:5], v[10:11]
	scratch_store_dwordx4 off, v[74:77], off offset:16
.LBB83_161:
	s_or_b64 exec, exec, s[6:7]
	scratch_load_dwordx4 v[2:5], v65, off
	v_cmp_gt_u32_e32 vcc, 2, v0
	s_waitcnt vmcnt(0)
	ds_write_b128 v9, v[2:5]
	s_waitcnt lgkmcnt(0)
	; wave barrier
	s_waitcnt lgkmcnt(0)
	s_and_saveexec_b64 s[6:7], vcc
	s_cbranch_execz .LBB83_167
; %bb.162:
	ds_read_b128 v[2:5], v9
	s_and_b64 vcc, exec, s[0:1]
	s_cbranch_vccnz .LBB83_164
; %bb.163:
	scratch_load_dwordx4 v[10:13], v8, off
	s_waitcnt vmcnt(0) lgkmcnt(0)
	v_mul_f64 v[6:7], v[4:5], v[12:13]
	v_mul_f64 v[12:13], v[2:3], v[12:13]
	v_fmac_f64_e32 v[12:13], v[4:5], v[10:11]
	v_fma_f64 v[2:3], v[2:3], v[10:11], -v[6:7]
	v_mov_b64_e32 v[4:5], v[12:13]
.LBB83_164:
	s_and_saveexec_b64 s[8:9], s[2:3]
	s_cbranch_execz .LBB83_166
; %bb.165:
	scratch_load_dwordx4 v[10:13], v8, off offset:16
	ds_read_b128 v[74:77], v9 offset:16
	s_waitcnt vmcnt(0) lgkmcnt(0)
	v_mul_f64 v[6:7], v[76:77], v[12:13]
	v_mul_f64 v[12:13], v[74:75], v[12:13]
	v_fma_f64 v[6:7], v[74:75], v[10:11], -v[6:7]
	v_fmac_f64_e32 v[12:13], v[76:77], v[10:11]
	v_add_f64 v[2:3], v[2:3], v[6:7]
	v_add_f64 v[4:5], v[4:5], v[12:13]
.LBB83_166:
	s_or_b64 exec, exec, s[8:9]
	v_mov_b32_e32 v6, 0
	ds_read_b128 v[10:13], v6 offset:32
	s_waitcnt lgkmcnt(0)
	v_mul_f64 v[6:7], v[4:5], v[12:13]
	v_mul_f64 v[76:77], v[2:3], v[12:13]
	v_fma_f64 v[74:75], v[2:3], v[10:11], -v[6:7]
	v_fmac_f64_e32 v[76:77], v[4:5], v[10:11]
	scratch_store_dwordx4 off, v[74:77], off offset:32
.LBB83_167:
	s_or_b64 exec, exec, s[6:7]
	scratch_load_dwordx4 v[2:5], v67, off
	v_cmp_gt_u32_e32 vcc, 3, v0
	s_waitcnt vmcnt(0)
	ds_write_b128 v9, v[2:5]
	s_waitcnt lgkmcnt(0)
	; wave barrier
	s_waitcnt lgkmcnt(0)
	s_and_saveexec_b64 s[6:7], vcc
	s_cbranch_execz .LBB83_175
; %bb.168:
	ds_read_b128 v[2:5], v9
	s_and_b64 vcc, exec, s[0:1]
	s_cbranch_vccnz .LBB83_170
; %bb.169:
	scratch_load_dwordx4 v[10:13], v8, off
	s_waitcnt vmcnt(0) lgkmcnt(0)
	v_mul_f64 v[6:7], v[4:5], v[12:13]
	v_mul_f64 v[12:13], v[2:3], v[12:13]
	v_fmac_f64_e32 v[12:13], v[4:5], v[10:11]
	v_fma_f64 v[2:3], v[2:3], v[10:11], -v[6:7]
	v_mov_b64_e32 v[4:5], v[12:13]
.LBB83_170:
	v_cmp_ne_u32_e32 vcc, 2, v0
	s_and_saveexec_b64 s[8:9], vcc
	s_cbranch_execz .LBB83_174
; %bb.171:
	scratch_load_dwordx4 v[10:13], v8, off offset:16
	ds_read_b128 v[74:77], v9 offset:16
	s_waitcnt vmcnt(0) lgkmcnt(0)
	v_mul_f64 v[6:7], v[76:77], v[12:13]
	v_mul_f64 v[12:13], v[74:75], v[12:13]
	v_fma_f64 v[6:7], v[74:75], v[10:11], -v[6:7]
	v_fmac_f64_e32 v[12:13], v[76:77], v[10:11]
	v_add_f64 v[2:3], v[2:3], v[6:7]
	v_add_f64 v[4:5], v[4:5], v[12:13]
	s_and_saveexec_b64 s[10:11], s[2:3]
	s_cbranch_execz .LBB83_173
; %bb.172:
	scratch_load_dwordx4 v[10:13], off, off offset:32
	v_mov_b32_e32 v6, 0
	ds_read_b128 v[74:77], v6 offset:352
	s_waitcnt vmcnt(0) lgkmcnt(0)
	v_mul_f64 v[6:7], v[74:75], v[12:13]
	v_mul_f64 v[12:13], v[76:77], v[12:13]
	v_fmac_f64_e32 v[6:7], v[76:77], v[10:11]
	v_fma_f64 v[10:11], v[74:75], v[10:11], -v[12:13]
	v_add_f64 v[4:5], v[4:5], v[6:7]
	v_add_f64 v[2:3], v[2:3], v[10:11]
.LBB83_173:
	s_or_b64 exec, exec, s[10:11]
.LBB83_174:
	s_or_b64 exec, exec, s[8:9]
	v_mov_b32_e32 v6, 0
	ds_read_b128 v[10:13], v6 offset:48
	s_waitcnt lgkmcnt(0)
	v_mul_f64 v[6:7], v[4:5], v[12:13]
	v_mul_f64 v[76:77], v[2:3], v[12:13]
	v_fma_f64 v[74:75], v[2:3], v[10:11], -v[6:7]
	v_fmac_f64_e32 v[76:77], v[4:5], v[10:11]
	scratch_store_dwordx4 off, v[74:77], off offset:48
.LBB83_175:
	s_or_b64 exec, exec, s[6:7]
	scratch_load_dwordx4 v[2:5], v64, off
	v_cmp_gt_u32_e32 vcc, 4, v0
	s_waitcnt vmcnt(0)
	ds_write_b128 v9, v[2:5]
	s_waitcnt lgkmcnt(0)
	; wave barrier
	s_waitcnt lgkmcnt(0)
	s_and_saveexec_b64 s[2:3], vcc
	s_cbranch_execz .LBB83_183
; %bb.176:
	ds_read_b128 v[2:5], v9
	s_and_b64 vcc, exec, s[0:1]
	s_cbranch_vccnz .LBB83_178
; %bb.177:
	scratch_load_dwordx4 v[10:13], v8, off
	s_waitcnt vmcnt(0) lgkmcnt(0)
	v_mul_f64 v[6:7], v[4:5], v[12:13]
	v_mul_f64 v[12:13], v[2:3], v[12:13]
	v_fmac_f64_e32 v[12:13], v[4:5], v[10:11]
	v_fma_f64 v[2:3], v[2:3], v[10:11], -v[6:7]
	v_mov_b64_e32 v[4:5], v[12:13]
.LBB83_178:
	v_cmp_ne_u32_e32 vcc, 3, v0
	s_and_saveexec_b64 s[6:7], vcc
	s_cbranch_execz .LBB83_182
; %bb.179:
	v_mov_b32_e32 v7, 0
	v_add_u32_e32 v6, 0x150, v30
	v_add3_u32 v7, v30, v7, 24
	s_mov_b64 s[8:9], 0
	v_mov_b32_e32 v10, v0
.LBB83_180:                             ; =>This Inner Loop Header: Depth=1
	v_add_u32_e32 v11, -8, v7
	scratch_load_dwordx4 v[74:77], v11, off
	ds_read_b128 v[78:81], v6
	v_add_u32_e32 v10, 1, v10
	v_cmp_lt_u32_e32 vcc, 2, v10
	v_add_u32_e32 v6, 16, v6
	v_add_u32_e32 v7, 16, v7
	s_or_b64 s[8:9], vcc, s[8:9]
	s_waitcnt vmcnt(0) lgkmcnt(0)
	v_mul_f64 v[12:13], v[80:81], v[76:77]
	v_mul_f64 v[76:77], v[78:79], v[76:77]
	v_fma_f64 v[12:13], v[78:79], v[74:75], -v[12:13]
	v_fmac_f64_e32 v[76:77], v[80:81], v[74:75]
	v_add_f64 v[2:3], v[2:3], v[12:13]
	v_add_f64 v[4:5], v[4:5], v[76:77]
	s_andn2_b64 exec, exec, s[8:9]
	s_cbranch_execnz .LBB83_180
; %bb.181:
	s_or_b64 exec, exec, s[8:9]
.LBB83_182:
	s_or_b64 exec, exec, s[6:7]
	v_mov_b32_e32 v6, 0
	ds_read_b128 v[10:13], v6 offset:64
	s_waitcnt lgkmcnt(0)
	v_mul_f64 v[6:7], v[4:5], v[12:13]
	v_mul_f64 v[76:77], v[2:3], v[12:13]
	v_fma_f64 v[74:75], v[2:3], v[10:11], -v[6:7]
	v_fmac_f64_e32 v[76:77], v[4:5], v[10:11]
	scratch_store_dwordx4 off, v[74:77], off offset:64
.LBB83_183:
	s_or_b64 exec, exec, s[2:3]
	scratch_load_dwordx4 v[2:5], v69, off
	v_cmp_gt_u32_e32 vcc, 5, v0
	s_waitcnt vmcnt(0)
	ds_write_b128 v9, v[2:5]
	s_waitcnt lgkmcnt(0)
	; wave barrier
	s_waitcnt lgkmcnt(0)
	s_and_saveexec_b64 s[2:3], vcc
	s_cbranch_execz .LBB83_191
; %bb.184:
	ds_read_b128 v[2:5], v9
	s_and_b64 vcc, exec, s[0:1]
	s_cbranch_vccnz .LBB83_186
; %bb.185:
	scratch_load_dwordx4 v[10:13], v8, off
	s_waitcnt vmcnt(0) lgkmcnt(0)
	v_mul_f64 v[6:7], v[4:5], v[12:13]
	v_mul_f64 v[12:13], v[2:3], v[12:13]
	v_fmac_f64_e32 v[12:13], v[4:5], v[10:11]
	v_fma_f64 v[2:3], v[2:3], v[10:11], -v[6:7]
	v_mov_b64_e32 v[4:5], v[12:13]
.LBB83_186:
	v_cmp_ne_u32_e32 vcc, 4, v0
	s_and_saveexec_b64 s[6:7], vcc
	s_cbranch_execz .LBB83_190
; %bb.187:
	v_mov_b32_e32 v7, 0
	v_add_u32_e32 v6, 0x150, v30
	v_add3_u32 v7, v30, v7, 24
	s_mov_b64 s[8:9], 0
	v_mov_b32_e32 v10, v0
.LBB83_188:                             ; =>This Inner Loop Header: Depth=1
	v_add_u32_e32 v11, -8, v7
	scratch_load_dwordx4 v[74:77], v11, off
	ds_read_b128 v[78:81], v6
	v_add_u32_e32 v10, 1, v10
	v_cmp_lt_u32_e32 vcc, 3, v10
	v_add_u32_e32 v6, 16, v6
	v_add_u32_e32 v7, 16, v7
	s_or_b64 s[8:9], vcc, s[8:9]
	s_waitcnt vmcnt(0) lgkmcnt(0)
	v_mul_f64 v[12:13], v[80:81], v[76:77]
	v_mul_f64 v[76:77], v[78:79], v[76:77]
	v_fma_f64 v[12:13], v[78:79], v[74:75], -v[12:13]
	v_fmac_f64_e32 v[76:77], v[80:81], v[74:75]
	v_add_f64 v[2:3], v[2:3], v[12:13]
	v_add_f64 v[4:5], v[4:5], v[76:77]
	s_andn2_b64 exec, exec, s[8:9]
	s_cbranch_execnz .LBB83_188
; %bb.189:
	s_or_b64 exec, exec, s[8:9]
.LBB83_190:
	s_or_b64 exec, exec, s[6:7]
	v_mov_b32_e32 v6, 0
	ds_read_b128 v[10:13], v6 offset:80
	s_waitcnt lgkmcnt(0)
	v_mul_f64 v[6:7], v[4:5], v[12:13]
	v_mul_f64 v[76:77], v[2:3], v[12:13]
	v_fma_f64 v[74:75], v[2:3], v[10:11], -v[6:7]
	v_fmac_f64_e32 v[76:77], v[4:5], v[10:11]
	scratch_store_dwordx4 off, v[74:77], off offset:80
.LBB83_191:
	;; [unrolled: 63-line block ×14, first 2 shown]
	s_or_b64 exec, exec, s[2:3]
	scratch_load_dwordx4 v[2:5], v1, off
	v_cmp_gt_u32_e64 s[2:3], 18, v0
	s_waitcnt vmcnt(0)
	ds_write_b128 v9, v[2:5]
	s_waitcnt lgkmcnt(0)
	; wave barrier
	s_waitcnt lgkmcnt(0)
	s_and_saveexec_b64 s[6:7], s[2:3]
	s_cbranch_execz .LBB83_295
; %bb.288:
	ds_read_b128 v[2:5], v9
	s_and_b64 vcc, exec, s[0:1]
	s_cbranch_vccnz .LBB83_290
; %bb.289:
	scratch_load_dwordx4 v[10:13], v8, off
	s_waitcnt vmcnt(0) lgkmcnt(0)
	v_mul_f64 v[6:7], v[4:5], v[12:13]
	v_mul_f64 v[12:13], v[2:3], v[12:13]
	v_fmac_f64_e32 v[12:13], v[4:5], v[10:11]
	v_fma_f64 v[2:3], v[2:3], v[10:11], -v[6:7]
	v_mov_b64_e32 v[4:5], v[12:13]
.LBB83_290:
	v_cmp_ne_u32_e32 vcc, 17, v0
	s_and_saveexec_b64 s[8:9], vcc
	s_cbranch_execz .LBB83_294
; %bb.291:
	v_mov_b32_e32 v7, 0
	v_add_u32_e32 v6, 0x150, v30
	v_add3_u32 v7, v30, v7, 24
	s_mov_b64 s[10:11], 0
	v_mov_b32_e32 v10, v0
.LBB83_292:                             ; =>This Inner Loop Header: Depth=1
	v_add_u32_e32 v11, -8, v7
	scratch_load_dwordx4 v[74:77], v11, off
	ds_read_b128 v[78:81], v6
	v_add_u32_e32 v10, 1, v10
	v_cmp_lt_u32_e32 vcc, 16, v10
	v_add_u32_e32 v6, 16, v6
	v_add_u32_e32 v7, 16, v7
	s_or_b64 s[10:11], vcc, s[10:11]
	s_waitcnt vmcnt(0) lgkmcnt(0)
	v_mul_f64 v[12:13], v[80:81], v[76:77]
	v_mul_f64 v[76:77], v[78:79], v[76:77]
	v_fma_f64 v[12:13], v[78:79], v[74:75], -v[12:13]
	v_fmac_f64_e32 v[76:77], v[80:81], v[74:75]
	v_add_f64 v[2:3], v[2:3], v[12:13]
	v_add_f64 v[4:5], v[4:5], v[76:77]
	s_andn2_b64 exec, exec, s[10:11]
	s_cbranch_execnz .LBB83_292
; %bb.293:
	s_or_b64 exec, exec, s[10:11]
.LBB83_294:
	s_or_b64 exec, exec, s[8:9]
	v_mov_b32_e32 v6, 0
	ds_read_b128 v[10:13], v6 offset:288
	s_waitcnt lgkmcnt(0)
	v_mul_f64 v[6:7], v[4:5], v[12:13]
	v_mul_f64 v[76:77], v[2:3], v[12:13]
	v_fma_f64 v[74:75], v[2:3], v[10:11], -v[6:7]
	v_fmac_f64_e32 v[76:77], v[4:5], v[10:11]
	scratch_store_dwordx4 off, v[74:77], off offset:288
.LBB83_295:
	s_or_b64 exec, exec, s[6:7]
	scratch_load_dwordx4 v[2:5], v31, off
	v_cmp_ne_u32_e32 vcc, 19, v0
                                        ; implicit-def: $vgpr6_vgpr7
                                        ; implicit-def: $vgpr10
	s_waitcnt vmcnt(0)
	ds_write_b128 v9, v[2:5]
	s_waitcnt lgkmcnt(0)
	; wave barrier
	s_waitcnt lgkmcnt(0)
	s_and_saveexec_b64 s[6:7], vcc
	s_cbranch_execz .LBB83_303
; %bb.296:
	ds_read_b128 v[2:5], v9
	s_and_b64 vcc, exec, s[0:1]
	s_cbranch_vccnz .LBB83_298
; %bb.297:
	scratch_load_dwordx4 v[6:9], v8, off
	s_waitcnt vmcnt(0) lgkmcnt(0)
	v_mul_f64 v[10:11], v[4:5], v[8:9]
	v_mul_f64 v[8:9], v[2:3], v[8:9]
	v_fmac_f64_e32 v[8:9], v[4:5], v[6:7]
	v_fma_f64 v[2:3], v[2:3], v[6:7], -v[10:11]
	v_mov_b64_e32 v[4:5], v[8:9]
.LBB83_298:
	s_and_saveexec_b64 s[0:1], s[2:3]
	s_cbranch_execz .LBB83_302
; %bb.299:
	v_mov_b32_e32 v7, 0
	v_add_u32_e32 v6, 0x150, v30
	v_add3_u32 v7, v30, v7, 24
	s_mov_b64 s[2:3], 0
.LBB83_300:                             ; =>This Inner Loop Header: Depth=1
	v_add_u32_e32 v8, -8, v7
	scratch_load_dwordx4 v[8:11], v8, off
	ds_read_b128 v[74:77], v6
	v_add_u32_e32 v0, 1, v0
	v_cmp_lt_u32_e32 vcc, 17, v0
	v_add_u32_e32 v6, 16, v6
	v_add_u32_e32 v7, 16, v7
	s_or_b64 s[2:3], vcc, s[2:3]
	s_waitcnt vmcnt(0) lgkmcnt(0)
	v_mul_f64 v[12:13], v[76:77], v[10:11]
	v_mul_f64 v[10:11], v[74:75], v[10:11]
	v_fma_f64 v[12:13], v[74:75], v[8:9], -v[12:13]
	v_fmac_f64_e32 v[10:11], v[76:77], v[8:9]
	v_add_f64 v[2:3], v[2:3], v[12:13]
	v_add_f64 v[4:5], v[4:5], v[10:11]
	s_andn2_b64 exec, exec, s[2:3]
	s_cbranch_execnz .LBB83_300
; %bb.301:
	s_or_b64 exec, exec, s[2:3]
.LBB83_302:
	s_or_b64 exec, exec, s[0:1]
	v_mov_b32_e32 v0, 0
	ds_read_b128 v[74:77], v0 offset:304
	v_mov_b32_e32 v0, 0
	v_add_u32_e32 v10, 0x138, v0
	s_or_b64 s[4:5], s[4:5], exec
	s_waitcnt lgkmcnt(0)
	v_mul_f64 v[8:9], v[4:5], v[76:77]
	v_mul_f64 v[6:7], v[2:3], v[76:77]
	v_fma_f64 v[2:3], v[2:3], v[74:75], -v[8:9]
	v_fmac_f64_e32 v[6:7], v[4:5], v[74:75]
	scratch_store_dwordx2 off, v[2:3], off offset:304
.LBB83_303:
	s_or_b64 exec, exec, s[6:7]
.LBB83_304:
	s_and_saveexec_b64 s[0:1], s[4:5]
	s_cbranch_execz .LBB83_306
; %bb.305:
	scratch_store_dwordx2 v10, v[6:7], off
.LBB83_306:
	s_or_b64 exec, exec, s[0:1]
	scratch_load_dwordx4 v[2:5], off, off
	scratch_load_dwordx4 v[6:9], v68, off
	scratch_load_dwordx4 v[10:13], v65, off
	;; [unrolled: 1-line block ×9, first 2 shown]
	s_waitcnt vmcnt(9)
	global_store_dwordx4 v[16:17], v[2:5], off
	scratch_load_dwordx4 v[2:5], v63, off
	s_nop 0
	scratch_load_dwordx4 v[64:67], v62, off
	s_waitcnt vmcnt(11)
	global_store_dwordx4 v[14:15], v[6:9], off
	scratch_load_dwordx4 v[6:9], v61, off
	s_nop 0
	scratch_load_dwordx4 v[14:17], v60, off
	;; [unrolled: 5-line block ×4, first 2 shown]
	s_waitcnt vmcnt(17)
	global_store_dwordx4 v[24:25], v[78:81], off
	scratch_load_dwordx4 v[56:59], v1, off
	scratch_load_dwordx4 v[72:75], v31, off
	s_waitcnt vmcnt(19)
	global_store_dwordx4 v[22:23], v[82:85], off
	s_waitcnt vmcnt(19)
	global_store_dwordx4 v[26:27], v[86:89], off
	;; [unrolled: 2-line block ×15, first 2 shown]
.LBB83_307:
	s_endpgm
	.section	.rodata,"a",@progbits
	.p2align	6, 0x0
	.amdhsa_kernel _ZN9rocsolver6v33100L18trti2_kernel_smallILi20E19rocblas_complex_numIdEPKPS3_EEv13rocblas_fill_17rocblas_diagonal_T1_iil
		.amdhsa_group_segment_fixed_size 640
		.amdhsa_private_segment_fixed_size 336
		.amdhsa_kernarg_size 32
		.amdhsa_user_sgpr_count 2
		.amdhsa_user_sgpr_dispatch_ptr 0
		.amdhsa_user_sgpr_queue_ptr 0
		.amdhsa_user_sgpr_kernarg_segment_ptr 1
		.amdhsa_user_sgpr_dispatch_id 0
		.amdhsa_user_sgpr_kernarg_preload_length 0
		.amdhsa_user_sgpr_kernarg_preload_offset 0
		.amdhsa_user_sgpr_private_segment_size 0
		.amdhsa_uses_dynamic_stack 0
		.amdhsa_enable_private_segment 1
		.amdhsa_system_sgpr_workgroup_id_x 1
		.amdhsa_system_sgpr_workgroup_id_y 0
		.amdhsa_system_sgpr_workgroup_id_z 0
		.amdhsa_system_sgpr_workgroup_info 0
		.amdhsa_system_vgpr_workitem_id 0
		.amdhsa_next_free_vgpr 102
		.amdhsa_next_free_sgpr 12
		.amdhsa_accum_offset 104
		.amdhsa_reserve_vcc 1
		.amdhsa_float_round_mode_32 0
		.amdhsa_float_round_mode_16_64 0
		.amdhsa_float_denorm_mode_32 3
		.amdhsa_float_denorm_mode_16_64 3
		.amdhsa_dx10_clamp 1
		.amdhsa_ieee_mode 1
		.amdhsa_fp16_overflow 0
		.amdhsa_tg_split 0
		.amdhsa_exception_fp_ieee_invalid_op 0
		.amdhsa_exception_fp_denorm_src 0
		.amdhsa_exception_fp_ieee_div_zero 0
		.amdhsa_exception_fp_ieee_overflow 0
		.amdhsa_exception_fp_ieee_underflow 0
		.amdhsa_exception_fp_ieee_inexact 0
		.amdhsa_exception_int_div_zero 0
	.end_amdhsa_kernel
	.section	.text._ZN9rocsolver6v33100L18trti2_kernel_smallILi20E19rocblas_complex_numIdEPKPS3_EEv13rocblas_fill_17rocblas_diagonal_T1_iil,"axG",@progbits,_ZN9rocsolver6v33100L18trti2_kernel_smallILi20E19rocblas_complex_numIdEPKPS3_EEv13rocblas_fill_17rocblas_diagonal_T1_iil,comdat
.Lfunc_end83:
	.size	_ZN9rocsolver6v33100L18trti2_kernel_smallILi20E19rocblas_complex_numIdEPKPS3_EEv13rocblas_fill_17rocblas_diagonal_T1_iil, .Lfunc_end83-_ZN9rocsolver6v33100L18trti2_kernel_smallILi20E19rocblas_complex_numIdEPKPS3_EEv13rocblas_fill_17rocblas_diagonal_T1_iil
                                        ; -- End function
	.section	.AMDGPU.csdata,"",@progbits
; Kernel info:
; codeLenInByte = 12996
; NumSgprs: 18
; NumVgprs: 102
; NumAgprs: 0
; TotalNumVgprs: 102
; ScratchSize: 336
; MemoryBound: 0
; FloatMode: 240
; IeeeMode: 1
; LDSByteSize: 640 bytes/workgroup (compile time only)
; SGPRBlocks: 2
; VGPRBlocks: 12
; NumSGPRsForWavesPerEU: 18
; NumVGPRsForWavesPerEU: 102
; AccumOffset: 104
; Occupancy: 4
; WaveLimiterHint : 1
; COMPUTE_PGM_RSRC2:SCRATCH_EN: 1
; COMPUTE_PGM_RSRC2:USER_SGPR: 2
; COMPUTE_PGM_RSRC2:TRAP_HANDLER: 0
; COMPUTE_PGM_RSRC2:TGID_X_EN: 1
; COMPUTE_PGM_RSRC2:TGID_Y_EN: 0
; COMPUTE_PGM_RSRC2:TGID_Z_EN: 0
; COMPUTE_PGM_RSRC2:TIDIG_COMP_CNT: 0
; COMPUTE_PGM_RSRC3_GFX90A:ACCUM_OFFSET: 25
; COMPUTE_PGM_RSRC3_GFX90A:TG_SPLIT: 0
	.section	.text._ZN9rocsolver6v33100L18trti2_kernel_smallILi21E19rocblas_complex_numIdEPKPS3_EEv13rocblas_fill_17rocblas_diagonal_T1_iil,"axG",@progbits,_ZN9rocsolver6v33100L18trti2_kernel_smallILi21E19rocblas_complex_numIdEPKPS3_EEv13rocblas_fill_17rocblas_diagonal_T1_iil,comdat
	.globl	_ZN9rocsolver6v33100L18trti2_kernel_smallILi21E19rocblas_complex_numIdEPKPS3_EEv13rocblas_fill_17rocblas_diagonal_T1_iil ; -- Begin function _ZN9rocsolver6v33100L18trti2_kernel_smallILi21E19rocblas_complex_numIdEPKPS3_EEv13rocblas_fill_17rocblas_diagonal_T1_iil
	.p2align	8
	.type	_ZN9rocsolver6v33100L18trti2_kernel_smallILi21E19rocblas_complex_numIdEPKPS3_EEv13rocblas_fill_17rocblas_diagonal_T1_iil,@function
_ZN9rocsolver6v33100L18trti2_kernel_smallILi21E19rocblas_complex_numIdEPKPS3_EEv13rocblas_fill_17rocblas_diagonal_T1_iil: ; @_ZN9rocsolver6v33100L18trti2_kernel_smallILi21E19rocblas_complex_numIdEPKPS3_EEv13rocblas_fill_17rocblas_diagonal_T1_iil
; %bb.0:
	v_cmp_gt_u32_e32 vcc, 21, v0
	s_and_saveexec_b64 s[4:5], vcc
	s_cbranch_execz .LBB84_323
; %bb.1:
	s_load_dwordx2 s[8:9], s[0:1], 0x10
	s_load_dwordx4 s[4:7], s[0:1], 0x0
	s_ashr_i32 s3, s2, 31
	s_lshl_b64 s[0:1], s[2:3], 3
	v_lshlrev_b32_e32 v52, 4, v0
	s_waitcnt lgkmcnt(0)
	s_ashr_i32 s3, s8, 31
	s_add_u32 s0, s6, s0
	s_addc_u32 s1, s7, s1
	s_load_dwordx2 s[0:1], s[0:1], 0x0
	s_mov_b32 s2, s8
	s_lshl_b64 s[2:3], s[2:3], 4
	v_mov_b32_e32 v53, 0
	s_waitcnt lgkmcnt(0)
	s_add_u32 s0, s0, s2
	s_addc_u32 s1, s1, s3
	v_lshl_add_u64 v[16:17], s[0:1], 0, v[52:53]
	s_ashr_i32 s3, s9, 31
	s_mov_b32 s2, s9
	v_lshl_add_u64 v[14:15], s[2:3], 4, v[16:17]
	s_add_i32 s2, s9, s9
	v_add_u32_e32 v20, s2, v0
	v_add_u32_e32 v22, s9, v20
	;; [unrolled: 1-line block ×3, first 2 shown]
	v_ashrrev_i32_e32 v21, 31, v20
	v_ashrrev_i32_e32 v23, 31, v22
	v_add_u32_e32 v26, s9, v24
	global_load_dwordx4 v[2:5], v52, s[0:1]
	global_load_dwordx4 v[6:9], v[14:15], off
	v_lshl_add_u64 v[18:19], v[20:21], 4, s[0:1]
	v_lshl_add_u64 v[20:21], v[22:23], 4, s[0:1]
	v_ashrrev_i32_e32 v25, 31, v24
	v_add_u32_e32 v28, s9, v26
	global_load_dwordx4 v[10:13], v[18:19], off
	v_lshl_add_u64 v[22:23], v[24:25], 4, s[0:1]
	global_load_dwordx4 v[48:51], v[20:21], off
	global_load_dwordx4 v[54:57], v[22:23], off
	v_add_u32_e32 v30, s9, v28
	v_ashrrev_i32_e32 v27, 31, v26
	v_add_u32_e32 v32, s9, v30
	v_lshl_add_u64 v[24:25], v[26:27], 4, s[0:1]
	v_ashrrev_i32_e32 v29, 31, v28
	v_ashrrev_i32_e32 v31, 31, v30
	;; [unrolled: 1-line block ×3, first 2 shown]
	v_lshl_add_u64 v[26:27], v[28:29], 4, s[0:1]
	global_load_dwordx4 v[58:61], v[24:25], off
	global_load_dwordx4 v[62:65], v[26:27], off
	v_lshl_add_u64 v[28:29], v[30:31], 4, s[0:1]
	v_lshl_add_u64 v[30:31], v[32:33], 4, s[0:1]
	global_load_dwordx4 v[66:69], v[28:29], off
	global_load_dwordx4 v[70:73], v[30:31], off
	v_add_u32_e32 v34, s9, v32
	v_ashrrev_i32_e32 v35, 31, v34
	v_lshl_add_u64 v[32:33], v[34:35], 4, s[0:1]
	v_add_u32_e32 v34, s9, v34
	v_add_u32_e32 v36, s9, v34
	;; [unrolled: 1-line block ×6, first 2 shown]
	v_ashrrev_i32_e32 v35, 31, v34
	v_ashrrev_i32_e32 v37, 31, v36
	v_add_u32_e32 v46, s9, v44
	v_lshl_add_u64 v[34:35], v[34:35], 4, s[0:1]
	v_lshl_add_u64 v[36:37], v[36:37], 4, s[0:1]
	v_ashrrev_i32_e32 v39, 31, v38
	v_ashrrev_i32_e32 v41, 31, v40
	v_add_u32_e32 v94, s9, v46
	global_load_dwordx4 v[74:77], v[32:33], off
	global_load_dwordx4 v[78:81], v[34:35], off
	v_lshl_add_u64 v[38:39], v[38:39], 4, s[0:1]
	global_load_dwordx4 v[82:85], v[36:37], off
	global_load_dwordx4 v[86:89], v[38:39], off
	v_lshl_add_u64 v[40:41], v[40:41], 4, s[0:1]
	v_ashrrev_i32_e32 v43, 31, v42
	v_add_u32_e32 v96, s9, v94
	v_lshl_add_u64 v[42:43], v[42:43], 4, s[0:1]
	v_ashrrev_i32_e32 v45, 31, v44
	v_lshl_add_u64 v[44:45], v[44:45], 4, s[0:1]
	v_ashrrev_i32_e32 v47, 31, v46
	v_ashrrev_i32_e32 v95, 31, v94
	v_lshl_add_u64 v[46:47], v[46:47], 4, s[0:1]
	v_ashrrev_i32_e32 v97, 31, v96
	s_cmpk_lg_i32 s5, 0x84
	s_cselect_b64 s[6:7], -1, 0
	s_cmpk_eq_i32 s5, 0x84
	s_waitcnt vmcnt(12)
	scratch_store_dwordx4 off, v[2:5], off
	s_waitcnt vmcnt(12)
	scratch_store_dwordx4 off, v[6:9], off offset:16
	global_load_dwordx4 v[2:5], v[40:41], off
	s_nop 0
	global_load_dwordx4 v[6:9], v[42:43], off
	s_waitcnt vmcnt(14)
	scratch_store_dwordx4 off, v[10:13], off offset:32
	s_waitcnt vmcnt(14)
	scratch_store_dwordx4 off, v[48:51], off offset:48
	;; [unrolled: 2-line block ×3, first 2 shown]
	global_load_dwordx4 v[10:13], v[44:45], off
	global_load_dwordx4 v[90:93], v[46:47], off
	v_add_u32_e32 v54, s9, v96
	v_add_u32_e32 v56, s9, v54
	v_ashrrev_i32_e32 v55, 31, v54
	v_ashrrev_i32_e32 v57, 31, v56
	v_lshl_add_u64 v[48:49], v[94:95], 4, s[0:1]
	v_lshl_add_u64 v[54:55], v[54:55], 4, s[0:1]
	s_waitcnt vmcnt(16)
	scratch_store_dwordx4 off, v[58:61], off offset:80
	s_waitcnt vmcnt(16)
	scratch_store_dwordx4 off, v[62:65], off offset:96
	;; [unrolled: 2-line block ×3, first 2 shown]
	v_lshl_add_u64 v[56:57], v[56:57], 4, s[0:1]
	v_lshl_add_u64 v[50:51], v[96:97], 4, s[0:1]
	global_load_dwordx4 v[58:61], v[48:49], off
	global_load_dwordx4 v[62:65], v[50:51], off
	;; [unrolled: 1-line block ×3, first 2 shown]
	s_waitcnt vmcnt(19)
	scratch_store_dwordx4 off, v[70:73], off offset:128
	global_load_dwordx4 v[70:73], v[56:57], off
	s_waitcnt vmcnt(20)
	scratch_store_dwordx4 off, v[74:77], off offset:144
	s_waitcnt vmcnt(20)
	scratch_store_dwordx4 off, v[78:81], off offset:160
	s_waitcnt vmcnt(20)
	scratch_store_dwordx4 off, v[82:85], off offset:176
	s_waitcnt vmcnt(20)
	scratch_store_dwordx4 off, v[86:89], off offset:192
	s_waitcnt vmcnt(18)
	scratch_store_dwordx4 off, v[2:5], off offset:208
	s_waitcnt vmcnt(18)
	scratch_store_dwordx4 off, v[6:9], off offset:224
	s_waitcnt vmcnt(15)
	scratch_store_dwordx4 off, v[10:13], off offset:240
	s_waitcnt vmcnt(15)
	scratch_store_dwordx4 off, v[90:93], off offset:256
	s_waitcnt vmcnt(12)
	scratch_store_dwordx4 off, v[58:61], off offset:272
	v_mov_b32_e32 v12, 0
	s_waitcnt vmcnt(12)
	scratch_store_dwordx4 off, v[62:65], off offset:288
	s_waitcnt vmcnt(12)
	scratch_store_dwordx4 off, v[66:69], off offset:304
	;; [unrolled: 2-line block ×3, first 2 shown]
	s_cbranch_scc1 .LBB84_7
; %bb.2:
	scratch_load_dwordx4 v[2:5], v52, off
                                        ; implicit-def: $vgpr10_vgpr11
	s_waitcnt vmcnt(0)
	v_xor_b32_e32 v1, 0x80000000, v3
	v_cmp_gt_f64_e32 vcc, 0, v[2:3]
	v_xor_b32_e32 v8, 0x80000000, v5
	v_mov_b32_e32 v6, v2
	v_cndmask_b32_e32 v7, v3, v1, vcc
	v_cmp_gt_f64_e32 vcc, 0, v[4:5]
	s_nop 1
	v_cndmask_b32_e32 v9, v5, v8, vcc
	v_mov_b32_e32 v8, v4
	v_cmp_ngt_f64_e32 vcc, v[6:7], v[8:9]
                                        ; implicit-def: $vgpr6_vgpr7
	s_and_saveexec_b64 s[0:1], vcc
	s_xor_b64 s[0:1], exec, s[0:1]
	s_cbranch_execz .LBB84_4
; %bb.3:
	v_div_scale_f64 v[6:7], s[2:3], v[4:5], v[4:5], v[2:3]
	v_rcp_f64_e32 v[8:9], v[6:7]
	v_div_scale_f64 v[10:11], vcc, v[2:3], v[4:5], v[2:3]
	v_fma_f64 v[58:59], -v[6:7], v[8:9], 1.0
	v_fmac_f64_e32 v[8:9], v[8:9], v[58:59]
	v_fma_f64 v[58:59], -v[6:7], v[8:9], 1.0
	v_fmac_f64_e32 v[8:9], v[8:9], v[58:59]
	v_mul_f64 v[58:59], v[10:11], v[8:9]
	v_fma_f64 v[6:7], -v[6:7], v[58:59], v[10:11]
	v_div_fmas_f64 v[6:7], v[6:7], v[8:9], v[58:59]
	v_div_fixup_f64 v[6:7], v[6:7], v[4:5], v[2:3]
	v_fmac_f64_e32 v[4:5], v[2:3], v[6:7]
	v_div_scale_f64 v[2:3], s[2:3], v[4:5], v[4:5], 1.0
	v_rcp_f64_e32 v[8:9], v[2:3]
	s_nop 0
	v_fma_f64 v[10:11], -v[2:3], v[8:9], 1.0
	v_fmac_f64_e32 v[8:9], v[8:9], v[10:11]
	v_fma_f64 v[10:11], -v[2:3], v[8:9], 1.0
	v_fmac_f64_e32 v[8:9], v[8:9], v[10:11]
	v_div_scale_f64 v[10:11], vcc, 1.0, v[4:5], 1.0
	v_mul_f64 v[58:59], v[10:11], v[8:9]
	v_fma_f64 v[2:3], -v[2:3], v[58:59], v[10:11]
	s_nop 1
	v_div_fmas_f64 v[2:3], v[2:3], v[8:9], v[58:59]
	v_div_fixup_f64 v[8:9], v[2:3], v[4:5], 1.0
	v_mul_f64 v[6:7], v[6:7], v[8:9]
	v_xor_b32_e32 v9, 0x80000000, v9
	v_xor_b32_e32 v11, 0x80000000, v7
	v_mov_b32_e32 v10, v6
                                        ; implicit-def: $vgpr2_vgpr3
.LBB84_4:
	s_or_saveexec_b64 s[0:1], s[0:1]
	v_add_u32_e32 v1, 0, v52
	s_xor_b64 exec, exec, s[0:1]
	s_cbranch_execz .LBB84_6
; %bb.5:
	v_div_scale_f64 v[6:7], s[2:3], v[2:3], v[2:3], v[4:5]
	v_rcp_f64_e32 v[8:9], v[6:7]
	v_div_scale_f64 v[10:11], vcc, v[4:5], v[2:3], v[4:5]
	v_fma_f64 v[58:59], -v[6:7], v[8:9], 1.0
	v_fmac_f64_e32 v[8:9], v[8:9], v[58:59]
	v_fma_f64 v[58:59], -v[6:7], v[8:9], 1.0
	v_fmac_f64_e32 v[8:9], v[8:9], v[58:59]
	v_mul_f64 v[58:59], v[10:11], v[8:9]
	v_fma_f64 v[6:7], -v[6:7], v[58:59], v[10:11]
	v_div_fmas_f64 v[6:7], v[6:7], v[8:9], v[58:59]
	v_div_fixup_f64 v[8:9], v[6:7], v[2:3], v[4:5]
	v_fmac_f64_e32 v[2:3], v[4:5], v[8:9]
	v_div_scale_f64 v[4:5], s[2:3], v[2:3], v[2:3], 1.0
	v_rcp_f64_e32 v[6:7], v[4:5]
	s_nop 0
	v_fma_f64 v[10:11], -v[4:5], v[6:7], 1.0
	v_fmac_f64_e32 v[6:7], v[6:7], v[10:11]
	v_fma_f64 v[10:11], -v[4:5], v[6:7], 1.0
	v_fmac_f64_e32 v[6:7], v[6:7], v[10:11]
	v_div_scale_f64 v[10:11], vcc, 1.0, v[2:3], 1.0
	v_mul_f64 v[58:59], v[10:11], v[6:7]
	v_fma_f64 v[4:5], -v[4:5], v[58:59], v[10:11]
	s_nop 1
	v_div_fmas_f64 v[4:5], v[4:5], v[6:7], v[58:59]
	v_div_fixup_f64 v[6:7], v[4:5], v[2:3], 1.0
	v_xor_b32_e32 v11, 0x80000000, v7
	v_mov_b32_e32 v10, v6
	v_mul_f64 v[8:9], v[8:9], -v[6:7]
.LBB84_6:
	s_or_b64 exec, exec, s[0:1]
	scratch_store_dwordx4 v1, v[6:9], off
	s_nop 1
	v_xor_b32_e32 v9, 0x80000000, v9
	s_branch .LBB84_8
.LBB84_7:
	v_mov_b64_e32 v[8:9], 0
	v_mov_b64_e32 v[10:11], -1.0
.LBB84_8:
	v_add_u32_e32 v70, 16, v12
	v_add_u32_e32 v66, 32, v12
	;; [unrolled: 1-line block ×20, first 2 shown]
	v_mov_b32_e32 v12, v8
	v_mov_b32_e32 v13, v9
	s_cmpk_eq_i32 s4, 0x79
	v_add_u32_e32 v9, 0x150, v52
	v_add_u32_e32 v8, 0, v52
	ds_write_b128 v52, v[10:13]
	s_cbranch_scc1 .LBB84_164
; %bb.9:
	scratch_load_dwordx4 v[2:5], v1, off
	v_cmp_eq_u32_e64 s[0:1], 20, v0
	s_waitcnt vmcnt(0)
	ds_write_b128 v9, v[2:5]
	s_waitcnt lgkmcnt(0)
	; wave barrier
	s_waitcnt lgkmcnt(0)
	s_and_saveexec_b64 s[2:3], s[0:1]
	s_cbranch_execz .LBB84_13
; %bb.10:
	ds_read_b128 v[2:5], v9
	s_andn2_b64 vcc, exec, s[6:7]
	s_cbranch_vccnz .LBB84_12
; %bb.11:
	scratch_load_dwordx4 v[10:13], v8, off
	s_waitcnt vmcnt(0) lgkmcnt(0)
	v_mul_f64 v[6:7], v[4:5], v[12:13]
	v_mul_f64 v[12:13], v[2:3], v[12:13]
	v_fmac_f64_e32 v[12:13], v[4:5], v[10:11]
	v_fma_f64 v[2:3], v[2:3], v[10:11], -v[6:7]
	v_mov_b64_e32 v[4:5], v[12:13]
.LBB84_12:
	v_mov_b32_e32 v6, 0
	ds_read_b128 v[10:13], v6 offset:304
	s_waitcnt lgkmcnt(0)
	v_mul_f64 v[6:7], v[4:5], v[12:13]
	v_mul_f64 v[78:79], v[2:3], v[12:13]
	v_fma_f64 v[76:77], v[2:3], v[10:11], -v[6:7]
	v_fmac_f64_e32 v[78:79], v[4:5], v[10:11]
	scratch_store_dwordx4 off, v[76:79], off offset:304
.LBB84_13:
	s_or_b64 exec, exec, s[2:3]
	scratch_load_dwordx4 v[2:5], v59, off
	v_cmp_lt_u32_e64 s[2:3], 18, v0
	s_waitcnt vmcnt(0)
	ds_write_b128 v9, v[2:5]
	s_waitcnt lgkmcnt(0)
	; wave barrier
	s_waitcnt lgkmcnt(0)
	s_and_saveexec_b64 s[4:5], s[2:3]
	s_cbranch_execz .LBB84_19
; %bb.14:
	ds_read_b128 v[2:5], v9
	s_andn2_b64 vcc, exec, s[6:7]
	s_cbranch_vccnz .LBB84_16
; %bb.15:
	scratch_load_dwordx4 v[10:13], v8, off
	s_waitcnt vmcnt(0) lgkmcnt(0)
	v_mul_f64 v[6:7], v[4:5], v[12:13]
	v_mul_f64 v[12:13], v[2:3], v[12:13]
	v_fmac_f64_e32 v[12:13], v[4:5], v[10:11]
	v_fma_f64 v[2:3], v[2:3], v[10:11], -v[6:7]
	v_mov_b64_e32 v[4:5], v[12:13]
.LBB84_16:
	s_and_saveexec_b64 s[8:9], s[0:1]
	s_cbranch_execz .LBB84_18
; %bb.17:
	scratch_load_dwordx4 v[10:13], off, off offset:304
	v_mov_b32_e32 v6, 0
	ds_read_b128 v[76:79], v6 offset:640
	s_waitcnt vmcnt(0) lgkmcnt(0)
	v_mul_f64 v[6:7], v[76:77], v[12:13]
	v_mul_f64 v[12:13], v[78:79], v[12:13]
	v_fmac_f64_e32 v[6:7], v[78:79], v[10:11]
	v_fma_f64 v[10:11], v[76:77], v[10:11], -v[12:13]
	v_add_f64 v[4:5], v[4:5], v[6:7]
	v_add_f64 v[2:3], v[2:3], v[10:11]
.LBB84_18:
	s_or_b64 exec, exec, s[8:9]
	v_mov_b32_e32 v6, 0
	ds_read_b128 v[10:13], v6 offset:288
	s_waitcnt lgkmcnt(0)
	v_mul_f64 v[6:7], v[4:5], v[12:13]
	v_mul_f64 v[78:79], v[2:3], v[12:13]
	v_fma_f64 v[76:77], v[2:3], v[10:11], -v[6:7]
	v_fmac_f64_e32 v[78:79], v[4:5], v[10:11]
	scratch_store_dwordx4 off, v[76:79], off offset:288
.LBB84_19:
	s_or_b64 exec, exec, s[4:5]
	scratch_load_dwordx4 v[2:5], v58, off
	v_cmp_lt_u32_e64 s[0:1], 17, v0
	s_waitcnt vmcnt(0)
	ds_write_b128 v9, v[2:5]
	s_waitcnt lgkmcnt(0)
	; wave barrier
	s_waitcnt lgkmcnt(0)
	s_and_saveexec_b64 s[4:5], s[0:1]
	s_cbranch_execz .LBB84_27
; %bb.20:
	ds_read_b128 v[2:5], v9
	s_andn2_b64 vcc, exec, s[6:7]
	s_cbranch_vccnz .LBB84_22
; %bb.21:
	scratch_load_dwordx4 v[10:13], v8, off
	s_waitcnt vmcnt(0) lgkmcnt(0)
	v_mul_f64 v[6:7], v[4:5], v[12:13]
	v_mul_f64 v[12:13], v[2:3], v[12:13]
	v_fmac_f64_e32 v[12:13], v[4:5], v[10:11]
	v_fma_f64 v[2:3], v[2:3], v[10:11], -v[6:7]
	v_mov_b64_e32 v[4:5], v[12:13]
.LBB84_22:
	s_and_saveexec_b64 s[8:9], s[2:3]
	s_cbranch_execz .LBB84_26
; %bb.23:
	v_mov_b32_e32 v7, 0
	v_subrev_u32_e32 v6, 18, v0
	v_add_u32_e32 v7, 0x128, v7
	s_movk_i32 s10, 0x270
	s_mov_b64 s[2:3], 0
.LBB84_24:                              ; =>This Inner Loop Header: Depth=1
	v_add_u32_e32 v10, -8, v7
	scratch_load_dwordx4 v[10:13], v10, off
	v_mov_b32_e32 v76, s10
	ds_read_b128 v[76:79], v76
	v_add_u32_e32 v6, -1, v6
	s_add_i32 s10, s10, 16
	v_cmp_eq_u32_e32 vcc, 0, v6
	v_add_u32_e32 v7, 16, v7
	s_or_b64 s[2:3], vcc, s[2:3]
	s_waitcnt vmcnt(0) lgkmcnt(0)
	v_mul_f64 v[80:81], v[78:79], v[12:13]
	v_mul_f64 v[12:13], v[76:77], v[12:13]
	v_fma_f64 v[76:77], v[76:77], v[10:11], -v[80:81]
	v_fmac_f64_e32 v[12:13], v[78:79], v[10:11]
	v_add_f64 v[2:3], v[2:3], v[76:77]
	v_add_f64 v[4:5], v[4:5], v[12:13]
	s_andn2_b64 exec, exec, s[2:3]
	s_cbranch_execnz .LBB84_24
; %bb.25:
	s_or_b64 exec, exec, s[2:3]
.LBB84_26:
	s_or_b64 exec, exec, s[8:9]
	v_mov_b32_e32 v6, 0
	ds_read_b128 v[10:13], v6 offset:272
	s_waitcnt lgkmcnt(0)
	v_mul_f64 v[6:7], v[4:5], v[12:13]
	v_mul_f64 v[78:79], v[2:3], v[12:13]
	v_fma_f64 v[76:77], v[2:3], v[10:11], -v[6:7]
	v_fmac_f64_e32 v[78:79], v[4:5], v[10:11]
	scratch_store_dwordx4 off, v[76:79], off offset:272
.LBB84_27:
	s_or_b64 exec, exec, s[4:5]
	scratch_load_dwordx4 v[2:5], v61, off
	v_cmp_lt_u32_e64 s[2:3], 16, v0
	s_waitcnt vmcnt(0)
	ds_write_b128 v9, v[2:5]
	s_waitcnt lgkmcnt(0)
	; wave barrier
	s_waitcnt lgkmcnt(0)
	s_and_saveexec_b64 s[4:5], s[2:3]
	s_cbranch_execz .LBB84_35
; %bb.28:
	ds_read_b128 v[2:5], v9
	s_andn2_b64 vcc, exec, s[6:7]
	s_cbranch_vccnz .LBB84_30
; %bb.29:
	scratch_load_dwordx4 v[10:13], v8, off
	s_waitcnt vmcnt(0) lgkmcnt(0)
	v_mul_f64 v[6:7], v[4:5], v[12:13]
	v_mul_f64 v[12:13], v[2:3], v[12:13]
	v_fmac_f64_e32 v[12:13], v[4:5], v[10:11]
	v_fma_f64 v[2:3], v[2:3], v[10:11], -v[6:7]
	v_mov_b64_e32 v[4:5], v[12:13]
.LBB84_30:
	s_and_saveexec_b64 s[8:9], s[0:1]
	s_cbranch_execz .LBB84_34
; %bb.31:
	v_mov_b32_e32 v7, 0
	v_subrev_u32_e32 v6, 17, v0
	v_add_u32_e32 v7, 0x118, v7
	s_movk_i32 s10, 0x260
	s_mov_b64 s[0:1], 0
.LBB84_32:                              ; =>This Inner Loop Header: Depth=1
	v_add_u32_e32 v10, -8, v7
	scratch_load_dwordx4 v[10:13], v10, off
	v_mov_b32_e32 v76, s10
	ds_read_b128 v[76:79], v76
	v_add_u32_e32 v6, -1, v6
	s_add_i32 s10, s10, 16
	v_cmp_eq_u32_e32 vcc, 0, v6
	v_add_u32_e32 v7, 16, v7
	s_or_b64 s[0:1], vcc, s[0:1]
	s_waitcnt vmcnt(0) lgkmcnt(0)
	v_mul_f64 v[80:81], v[78:79], v[12:13]
	v_mul_f64 v[12:13], v[76:77], v[12:13]
	v_fma_f64 v[76:77], v[76:77], v[10:11], -v[80:81]
	v_fmac_f64_e32 v[12:13], v[78:79], v[10:11]
	v_add_f64 v[2:3], v[2:3], v[76:77]
	v_add_f64 v[4:5], v[4:5], v[12:13]
	s_andn2_b64 exec, exec, s[0:1]
	s_cbranch_execnz .LBB84_32
; %bb.33:
	s_or_b64 exec, exec, s[0:1]
.LBB84_34:
	s_or_b64 exec, exec, s[8:9]
	v_mov_b32_e32 v6, 0
	ds_read_b128 v[10:13], v6 offset:256
	s_waitcnt lgkmcnt(0)
	v_mul_f64 v[6:7], v[4:5], v[12:13]
	v_mul_f64 v[78:79], v[2:3], v[12:13]
	v_fma_f64 v[76:77], v[2:3], v[10:11], -v[6:7]
	v_fmac_f64_e32 v[78:79], v[4:5], v[10:11]
	scratch_store_dwordx4 off, v[76:79], off offset:256
.LBB84_35:
	s_or_b64 exec, exec, s[4:5]
	scratch_load_dwordx4 v[2:5], v60, off
	v_cmp_lt_u32_e64 s[0:1], 15, v0
	s_waitcnt vmcnt(0)
	ds_write_b128 v9, v[2:5]
	s_waitcnt lgkmcnt(0)
	; wave barrier
	s_waitcnt lgkmcnt(0)
	s_and_saveexec_b64 s[4:5], s[0:1]
	s_cbranch_execz .LBB84_43
; %bb.36:
	ds_read_b128 v[2:5], v9
	s_andn2_b64 vcc, exec, s[6:7]
	s_cbranch_vccnz .LBB84_38
; %bb.37:
	scratch_load_dwordx4 v[10:13], v8, off
	s_waitcnt vmcnt(0) lgkmcnt(0)
	v_mul_f64 v[6:7], v[4:5], v[12:13]
	v_mul_f64 v[12:13], v[2:3], v[12:13]
	v_fmac_f64_e32 v[12:13], v[4:5], v[10:11]
	v_fma_f64 v[2:3], v[2:3], v[10:11], -v[6:7]
	v_mov_b64_e32 v[4:5], v[12:13]
.LBB84_38:
	s_and_saveexec_b64 s[8:9], s[2:3]
	s_cbranch_execz .LBB84_42
; %bb.39:
	v_mov_b32_e32 v7, 0
	v_add_u32_e32 v6, -16, v0
	v_add_u32_e32 v7, 0x108, v7
	s_movk_i32 s10, 0x250
	s_mov_b64 s[2:3], 0
.LBB84_40:                              ; =>This Inner Loop Header: Depth=1
	v_add_u32_e32 v10, -8, v7
	scratch_load_dwordx4 v[10:13], v10, off
	v_mov_b32_e32 v76, s10
	ds_read_b128 v[76:79], v76
	v_add_u32_e32 v6, -1, v6
	s_add_i32 s10, s10, 16
	v_cmp_eq_u32_e32 vcc, 0, v6
	v_add_u32_e32 v7, 16, v7
	s_or_b64 s[2:3], vcc, s[2:3]
	s_waitcnt vmcnt(0) lgkmcnt(0)
	v_mul_f64 v[80:81], v[78:79], v[12:13]
	v_mul_f64 v[12:13], v[76:77], v[12:13]
	v_fma_f64 v[76:77], v[76:77], v[10:11], -v[80:81]
	v_fmac_f64_e32 v[12:13], v[78:79], v[10:11]
	v_add_f64 v[2:3], v[2:3], v[76:77]
	v_add_f64 v[4:5], v[4:5], v[12:13]
	s_andn2_b64 exec, exec, s[2:3]
	s_cbranch_execnz .LBB84_40
; %bb.41:
	s_or_b64 exec, exec, s[2:3]
.LBB84_42:
	s_or_b64 exec, exec, s[8:9]
	v_mov_b32_e32 v6, 0
	ds_read_b128 v[10:13], v6 offset:240
	s_waitcnt lgkmcnt(0)
	v_mul_f64 v[6:7], v[4:5], v[12:13]
	v_mul_f64 v[78:79], v[2:3], v[12:13]
	v_fma_f64 v[76:77], v[2:3], v[10:11], -v[6:7]
	v_fmac_f64_e32 v[78:79], v[4:5], v[10:11]
	scratch_store_dwordx4 off, v[76:79], off offset:240
.LBB84_43:
	s_or_b64 exec, exec, s[4:5]
	scratch_load_dwordx4 v[2:5], v62, off
	v_cmp_lt_u32_e64 s[2:3], 14, v0
	s_waitcnt vmcnt(0)
	ds_write_b128 v9, v[2:5]
	s_waitcnt lgkmcnt(0)
	; wave barrier
	s_waitcnt lgkmcnt(0)
	s_and_saveexec_b64 s[4:5], s[2:3]
	s_cbranch_execz .LBB84_51
; %bb.44:
	ds_read_b128 v[2:5], v9
	s_andn2_b64 vcc, exec, s[6:7]
	s_cbranch_vccnz .LBB84_46
; %bb.45:
	scratch_load_dwordx4 v[10:13], v8, off
	s_waitcnt vmcnt(0) lgkmcnt(0)
	v_mul_f64 v[6:7], v[4:5], v[12:13]
	v_mul_f64 v[12:13], v[2:3], v[12:13]
	v_fmac_f64_e32 v[12:13], v[4:5], v[10:11]
	v_fma_f64 v[2:3], v[2:3], v[10:11], -v[6:7]
	v_mov_b64_e32 v[4:5], v[12:13]
.LBB84_46:
	s_and_saveexec_b64 s[8:9], s[0:1]
	s_cbranch_execz .LBB84_50
; %bb.47:
	v_mov_b32_e32 v7, 0
	v_add_u32_e32 v6, -15, v0
	v_add_u32_e32 v7, 0xf8, v7
	s_movk_i32 s10, 0x240
	s_mov_b64 s[0:1], 0
.LBB84_48:                              ; =>This Inner Loop Header: Depth=1
	v_add_u32_e32 v10, -8, v7
	scratch_load_dwordx4 v[10:13], v10, off
	v_mov_b32_e32 v76, s10
	ds_read_b128 v[76:79], v76
	v_add_u32_e32 v6, -1, v6
	s_add_i32 s10, s10, 16
	v_cmp_eq_u32_e32 vcc, 0, v6
	v_add_u32_e32 v7, 16, v7
	s_or_b64 s[0:1], vcc, s[0:1]
	s_waitcnt vmcnt(0) lgkmcnt(0)
	v_mul_f64 v[80:81], v[78:79], v[12:13]
	v_mul_f64 v[12:13], v[76:77], v[12:13]
	v_fma_f64 v[76:77], v[76:77], v[10:11], -v[80:81]
	v_fmac_f64_e32 v[12:13], v[78:79], v[10:11]
	v_add_f64 v[2:3], v[2:3], v[76:77]
	v_add_f64 v[4:5], v[4:5], v[12:13]
	s_andn2_b64 exec, exec, s[0:1]
	s_cbranch_execnz .LBB84_48
; %bb.49:
	s_or_b64 exec, exec, s[0:1]
.LBB84_50:
	s_or_b64 exec, exec, s[8:9]
	v_mov_b32_e32 v6, 0
	ds_read_b128 v[10:13], v6 offset:224
	s_waitcnt lgkmcnt(0)
	v_mul_f64 v[6:7], v[4:5], v[12:13]
	v_mul_f64 v[78:79], v[2:3], v[12:13]
	v_fma_f64 v[76:77], v[2:3], v[10:11], -v[6:7]
	v_fmac_f64_e32 v[78:79], v[4:5], v[10:11]
	scratch_store_dwordx4 off, v[76:79], off offset:224
.LBB84_51:
	;; [unrolled: 63-line block ×8, first 2 shown]
	s_or_b64 exec, exec, s[4:5]
	scratch_load_dwordx4 v[2:5], v72, off
	v_cmp_lt_u32_e64 s[0:1], 7, v0
	s_waitcnt vmcnt(0)
	ds_write_b128 v9, v[2:5]
	s_waitcnt lgkmcnt(0)
	; wave barrier
	s_waitcnt lgkmcnt(0)
	s_and_saveexec_b64 s[4:5], s[0:1]
	s_cbranch_execz .LBB84_107
; %bb.100:
	ds_read_b128 v[2:5], v9
	s_andn2_b64 vcc, exec, s[6:7]
	s_cbranch_vccnz .LBB84_102
; %bb.101:
	scratch_load_dwordx4 v[10:13], v8, off
	s_waitcnt vmcnt(0) lgkmcnt(0)
	v_mul_f64 v[6:7], v[4:5], v[12:13]
	v_mul_f64 v[12:13], v[2:3], v[12:13]
	v_fmac_f64_e32 v[12:13], v[4:5], v[10:11]
	v_fma_f64 v[2:3], v[2:3], v[10:11], -v[6:7]
	v_mov_b64_e32 v[4:5], v[12:13]
.LBB84_102:
	s_and_saveexec_b64 s[8:9], s[2:3]
	s_cbranch_execz .LBB84_106
; %bb.103:
	v_mov_b32_e32 v7, 0
	v_add_u32_e32 v6, -8, v0
	v_add_u32_e32 v7, 0x88, v7
	s_movk_i32 s10, 0x1d0
	s_mov_b64 s[2:3], 0
.LBB84_104:                             ; =>This Inner Loop Header: Depth=1
	v_add_u32_e32 v10, -8, v7
	scratch_load_dwordx4 v[10:13], v10, off
	v_mov_b32_e32 v76, s10
	ds_read_b128 v[76:79], v76
	v_add_u32_e32 v6, -1, v6
	s_add_i32 s10, s10, 16
	v_cmp_eq_u32_e32 vcc, 0, v6
	v_add_u32_e32 v7, 16, v7
	s_or_b64 s[2:3], vcc, s[2:3]
	s_waitcnt vmcnt(0) lgkmcnt(0)
	v_mul_f64 v[80:81], v[78:79], v[12:13]
	v_mul_f64 v[12:13], v[76:77], v[12:13]
	v_fma_f64 v[76:77], v[76:77], v[10:11], -v[80:81]
	v_fmac_f64_e32 v[12:13], v[78:79], v[10:11]
	v_add_f64 v[2:3], v[2:3], v[76:77]
	v_add_f64 v[4:5], v[4:5], v[12:13]
	s_andn2_b64 exec, exec, s[2:3]
	s_cbranch_execnz .LBB84_104
; %bb.105:
	s_or_b64 exec, exec, s[2:3]
.LBB84_106:
	s_or_b64 exec, exec, s[8:9]
	v_mov_b32_e32 v6, 0
	ds_read_b128 v[10:13], v6 offset:112
	s_waitcnt lgkmcnt(0)
	v_mul_f64 v[6:7], v[4:5], v[12:13]
	v_mul_f64 v[78:79], v[2:3], v[12:13]
	v_fma_f64 v[76:77], v[2:3], v[10:11], -v[6:7]
	v_fmac_f64_e32 v[78:79], v[4:5], v[10:11]
	scratch_store_dwordx4 off, v[76:79], off offset:112
.LBB84_107:
	s_or_b64 exec, exec, s[4:5]
	scratch_load_dwordx4 v[2:5], v75, off
	v_cmp_lt_u32_e64 s[2:3], 6, v0
	s_waitcnt vmcnt(0)
	ds_write_b128 v9, v[2:5]
	s_waitcnt lgkmcnt(0)
	; wave barrier
	s_waitcnt lgkmcnt(0)
	s_and_saveexec_b64 s[4:5], s[2:3]
	s_cbranch_execz .LBB84_115
; %bb.108:
	ds_read_b128 v[2:5], v9
	s_andn2_b64 vcc, exec, s[6:7]
	s_cbranch_vccnz .LBB84_110
; %bb.109:
	scratch_load_dwordx4 v[10:13], v8, off
	s_waitcnt vmcnt(0) lgkmcnt(0)
	v_mul_f64 v[6:7], v[4:5], v[12:13]
	v_mul_f64 v[12:13], v[2:3], v[12:13]
	v_fmac_f64_e32 v[12:13], v[4:5], v[10:11]
	v_fma_f64 v[2:3], v[2:3], v[10:11], -v[6:7]
	v_mov_b64_e32 v[4:5], v[12:13]
.LBB84_110:
	s_and_saveexec_b64 s[8:9], s[0:1]
	s_cbranch_execz .LBB84_114
; %bb.111:
	v_mov_b32_e32 v7, 0
	v_add_u32_e32 v6, -7, v0
	v_add_u32_e32 v7, 0x78, v7
	s_movk_i32 s10, 0x1c0
	s_mov_b64 s[0:1], 0
.LBB84_112:                             ; =>This Inner Loop Header: Depth=1
	v_add_u32_e32 v10, -8, v7
	scratch_load_dwordx4 v[10:13], v10, off
	v_mov_b32_e32 v76, s10
	ds_read_b128 v[76:79], v76
	v_add_u32_e32 v6, -1, v6
	s_add_i32 s10, s10, 16
	v_cmp_eq_u32_e32 vcc, 0, v6
	v_add_u32_e32 v7, 16, v7
	s_or_b64 s[0:1], vcc, s[0:1]
	s_waitcnt vmcnt(0) lgkmcnt(0)
	v_mul_f64 v[80:81], v[78:79], v[12:13]
	v_mul_f64 v[12:13], v[76:77], v[12:13]
	v_fma_f64 v[76:77], v[76:77], v[10:11], -v[80:81]
	v_fmac_f64_e32 v[12:13], v[78:79], v[10:11]
	v_add_f64 v[2:3], v[2:3], v[76:77]
	v_add_f64 v[4:5], v[4:5], v[12:13]
	s_andn2_b64 exec, exec, s[0:1]
	s_cbranch_execnz .LBB84_112
; %bb.113:
	s_or_b64 exec, exec, s[0:1]
.LBB84_114:
	s_or_b64 exec, exec, s[8:9]
	v_mov_b32_e32 v6, 0
	ds_read_b128 v[10:13], v6 offset:96
	s_waitcnt lgkmcnt(0)
	v_mul_f64 v[6:7], v[4:5], v[12:13]
	v_mul_f64 v[78:79], v[2:3], v[12:13]
	v_fma_f64 v[76:77], v[2:3], v[10:11], -v[6:7]
	v_fmac_f64_e32 v[78:79], v[4:5], v[10:11]
	scratch_store_dwordx4 off, v[76:79], off offset:96
.LBB84_115:
	;; [unrolled: 63-line block ×7, first 2 shown]
	s_or_b64 exec, exec, s[4:5]
	scratch_load_dwordx4 v[2:5], off, off
	v_cmp_ne_u32_e32 vcc, 0, v0
	s_mov_b64 s[2:3], 0
	s_mov_b64 s[4:5], 0
                                        ; implicit-def: $vgpr6_vgpr7
                                        ; implicit-def: $vgpr10
	s_waitcnt vmcnt(0)
	ds_write_b128 v9, v[2:5]
	s_waitcnt lgkmcnt(0)
	; wave barrier
	s_waitcnt lgkmcnt(0)
	s_and_saveexec_b64 s[8:9], vcc
	s_cbranch_execz .LBB84_163
; %bb.156:
	ds_read_b128 v[2:5], v9
	s_andn2_b64 vcc, exec, s[6:7]
	s_cbranch_vccnz .LBB84_158
; %bb.157:
	scratch_load_dwordx4 v[10:13], v8, off
	s_waitcnt vmcnt(0) lgkmcnt(0)
	v_mul_f64 v[6:7], v[4:5], v[12:13]
	v_mul_f64 v[12:13], v[2:3], v[12:13]
	v_fmac_f64_e32 v[12:13], v[4:5], v[10:11]
	v_fma_f64 v[2:3], v[2:3], v[10:11], -v[6:7]
	v_mov_b64_e32 v[4:5], v[12:13]
.LBB84_158:
	s_and_saveexec_b64 s[4:5], s[0:1]
	s_cbranch_execz .LBB84_162
; %bb.159:
	v_mov_b32_e32 v7, 0
	v_add_u32_e32 v6, -1, v0
	v_add_u32_e32 v7, 24, v7
	s_movk_i32 s10, 0x160
	s_mov_b64 s[0:1], 0
.LBB84_160:                             ; =>This Inner Loop Header: Depth=1
	v_add_u32_e32 v10, -8, v7
	scratch_load_dwordx4 v[10:13], v10, off
	v_mov_b32_e32 v76, s10
	ds_read_b128 v[76:79], v76
	v_add_u32_e32 v6, -1, v6
	s_add_i32 s10, s10, 16
	v_cmp_eq_u32_e32 vcc, 0, v6
	v_add_u32_e32 v7, 16, v7
	s_or_b64 s[0:1], vcc, s[0:1]
	s_waitcnt vmcnt(0) lgkmcnt(0)
	v_mul_f64 v[80:81], v[78:79], v[12:13]
	v_mul_f64 v[12:13], v[76:77], v[12:13]
	v_fma_f64 v[76:77], v[76:77], v[10:11], -v[80:81]
	v_fmac_f64_e32 v[12:13], v[78:79], v[10:11]
	v_add_f64 v[2:3], v[2:3], v[76:77]
	v_add_f64 v[4:5], v[4:5], v[12:13]
	s_andn2_b64 exec, exec, s[0:1]
	s_cbranch_execnz .LBB84_160
; %bb.161:
	s_or_b64 exec, exec, s[0:1]
.LBB84_162:
	s_or_b64 exec, exec, s[4:5]
	v_mov_b32_e32 v6, 0
	ds_read_b128 v[76:79], v6
	v_mov_b32_e32 v6, 0
	v_or_b32_e32 v10, 8, v6
	s_mov_b64 s[4:5], exec
	s_waitcnt lgkmcnt(0)
	v_mul_f64 v[12:13], v[4:5], v[78:79]
	v_mul_f64 v[6:7], v[2:3], v[78:79]
	v_fma_f64 v[2:3], v[2:3], v[76:77], -v[12:13]
	v_fmac_f64_e32 v[6:7], v[4:5], v[76:77]
	scratch_store_dwordx2 off, v[2:3], off
.LBB84_163:
	s_or_b64 exec, exec, s[8:9]
	s_and_b64 vcc, exec, s[2:3]
	s_cbranch_vccnz .LBB84_165
	s_branch .LBB84_320
.LBB84_164:
	s_mov_b64 s[4:5], 0
                                        ; implicit-def: $vgpr6_vgpr7
                                        ; implicit-def: $vgpr10
	s_cbranch_execz .LBB84_320
.LBB84_165:
	scratch_load_dwordx4 v[2:5], v70, off
	v_cndmask_b32_e64 v6, 0, 1, s[6:7]
	v_cmp_eq_u32_e64 s[2:3], 0, v0
	v_cmp_ne_u32_e64 s[0:1], 1, v6
	s_waitcnt vmcnt(0)
	ds_write_b128 v9, v[2:5]
	s_waitcnt lgkmcnt(0)
	; wave barrier
	s_waitcnt lgkmcnt(0)
	s_and_saveexec_b64 s[6:7], s[2:3]
	s_cbranch_execz .LBB84_169
; %bb.166:
	ds_read_b128 v[2:5], v9
	s_and_b64 vcc, exec, s[0:1]
	s_cbranch_vccnz .LBB84_168
; %bb.167:
	scratch_load_dwordx4 v[10:13], v8, off
	s_waitcnt vmcnt(0) lgkmcnt(0)
	v_mul_f64 v[6:7], v[4:5], v[12:13]
	v_mul_f64 v[12:13], v[2:3], v[12:13]
	v_fmac_f64_e32 v[12:13], v[4:5], v[10:11]
	v_fma_f64 v[2:3], v[2:3], v[10:11], -v[6:7]
	v_mov_b64_e32 v[4:5], v[12:13]
.LBB84_168:
	v_mov_b32_e32 v6, 0
	ds_read_b128 v[10:13], v6 offset:16
	s_waitcnt lgkmcnt(0)
	v_mul_f64 v[6:7], v[4:5], v[12:13]
	v_mul_f64 v[78:79], v[2:3], v[12:13]
	v_fma_f64 v[76:77], v[2:3], v[10:11], -v[6:7]
	v_fmac_f64_e32 v[78:79], v[4:5], v[10:11]
	scratch_store_dwordx4 off, v[76:79], off offset:16
.LBB84_169:
	s_or_b64 exec, exec, s[6:7]
	scratch_load_dwordx4 v[2:5], v66, off
	v_cmp_gt_u32_e32 vcc, 2, v0
	s_waitcnt vmcnt(0)
	ds_write_b128 v9, v[2:5]
	s_waitcnt lgkmcnt(0)
	; wave barrier
	s_waitcnt lgkmcnt(0)
	s_and_saveexec_b64 s[6:7], vcc
	s_cbranch_execz .LBB84_175
; %bb.170:
	ds_read_b128 v[2:5], v9
	s_and_b64 vcc, exec, s[0:1]
	s_cbranch_vccnz .LBB84_172
; %bb.171:
	scratch_load_dwordx4 v[10:13], v8, off
	s_waitcnt vmcnt(0) lgkmcnt(0)
	v_mul_f64 v[6:7], v[4:5], v[12:13]
	v_mul_f64 v[12:13], v[2:3], v[12:13]
	v_fmac_f64_e32 v[12:13], v[4:5], v[10:11]
	v_fma_f64 v[2:3], v[2:3], v[10:11], -v[6:7]
	v_mov_b64_e32 v[4:5], v[12:13]
.LBB84_172:
	s_and_saveexec_b64 s[8:9], s[2:3]
	s_cbranch_execz .LBB84_174
; %bb.173:
	scratch_load_dwordx4 v[10:13], v8, off offset:16
	ds_read_b128 v[76:79], v9 offset:16
	s_waitcnt vmcnt(0) lgkmcnt(0)
	v_mul_f64 v[6:7], v[78:79], v[12:13]
	v_mul_f64 v[12:13], v[76:77], v[12:13]
	v_fma_f64 v[6:7], v[76:77], v[10:11], -v[6:7]
	v_fmac_f64_e32 v[12:13], v[78:79], v[10:11]
	v_add_f64 v[2:3], v[2:3], v[6:7]
	v_add_f64 v[4:5], v[4:5], v[12:13]
.LBB84_174:
	s_or_b64 exec, exec, s[8:9]
	v_mov_b32_e32 v6, 0
	ds_read_b128 v[10:13], v6 offset:32
	s_waitcnt lgkmcnt(0)
	v_mul_f64 v[6:7], v[4:5], v[12:13]
	v_mul_f64 v[78:79], v[2:3], v[12:13]
	v_fma_f64 v[76:77], v[2:3], v[10:11], -v[6:7]
	v_fmac_f64_e32 v[78:79], v[4:5], v[10:11]
	scratch_store_dwordx4 off, v[76:79], off offset:32
.LBB84_175:
	s_or_b64 exec, exec, s[6:7]
	scratch_load_dwordx4 v[2:5], v69, off
	v_cmp_gt_u32_e32 vcc, 3, v0
	s_waitcnt vmcnt(0)
	ds_write_b128 v9, v[2:5]
	s_waitcnt lgkmcnt(0)
	; wave barrier
	s_waitcnt lgkmcnt(0)
	s_and_saveexec_b64 s[6:7], vcc
	s_cbranch_execz .LBB84_183
; %bb.176:
	ds_read_b128 v[2:5], v9
	s_and_b64 vcc, exec, s[0:1]
	s_cbranch_vccnz .LBB84_178
; %bb.177:
	scratch_load_dwordx4 v[10:13], v8, off
	s_waitcnt vmcnt(0) lgkmcnt(0)
	v_mul_f64 v[6:7], v[4:5], v[12:13]
	v_mul_f64 v[12:13], v[2:3], v[12:13]
	v_fmac_f64_e32 v[12:13], v[4:5], v[10:11]
	v_fma_f64 v[2:3], v[2:3], v[10:11], -v[6:7]
	v_mov_b64_e32 v[4:5], v[12:13]
.LBB84_178:
	v_cmp_ne_u32_e32 vcc, 2, v0
	s_and_saveexec_b64 s[8:9], vcc
	s_cbranch_execz .LBB84_182
; %bb.179:
	scratch_load_dwordx4 v[10:13], v8, off offset:16
	ds_read_b128 v[76:79], v9 offset:16
	s_waitcnt vmcnt(0) lgkmcnt(0)
	v_mul_f64 v[6:7], v[78:79], v[12:13]
	v_mul_f64 v[12:13], v[76:77], v[12:13]
	v_fma_f64 v[6:7], v[76:77], v[10:11], -v[6:7]
	v_fmac_f64_e32 v[12:13], v[78:79], v[10:11]
	v_add_f64 v[2:3], v[2:3], v[6:7]
	v_add_f64 v[4:5], v[4:5], v[12:13]
	s_and_saveexec_b64 s[10:11], s[2:3]
	s_cbranch_execz .LBB84_181
; %bb.180:
	scratch_load_dwordx4 v[10:13], off, off offset:32
	v_mov_b32_e32 v6, 0
	ds_read_b128 v[76:79], v6 offset:368
	s_waitcnt vmcnt(0) lgkmcnt(0)
	v_mul_f64 v[6:7], v[76:77], v[12:13]
	v_mul_f64 v[12:13], v[78:79], v[12:13]
	v_fmac_f64_e32 v[6:7], v[78:79], v[10:11]
	v_fma_f64 v[10:11], v[76:77], v[10:11], -v[12:13]
	v_add_f64 v[4:5], v[4:5], v[6:7]
	v_add_f64 v[2:3], v[2:3], v[10:11]
.LBB84_181:
	s_or_b64 exec, exec, s[10:11]
.LBB84_182:
	s_or_b64 exec, exec, s[8:9]
	v_mov_b32_e32 v6, 0
	ds_read_b128 v[10:13], v6 offset:48
	s_waitcnt lgkmcnt(0)
	v_mul_f64 v[6:7], v[4:5], v[12:13]
	v_mul_f64 v[78:79], v[2:3], v[12:13]
	v_fma_f64 v[76:77], v[2:3], v[10:11], -v[6:7]
	v_fmac_f64_e32 v[78:79], v[4:5], v[10:11]
	scratch_store_dwordx4 off, v[76:79], off offset:48
.LBB84_183:
	s_or_b64 exec, exec, s[6:7]
	scratch_load_dwordx4 v[2:5], v73, off
	v_cmp_gt_u32_e32 vcc, 4, v0
	s_waitcnt vmcnt(0)
	ds_write_b128 v9, v[2:5]
	s_waitcnt lgkmcnt(0)
	; wave barrier
	s_waitcnt lgkmcnt(0)
	s_and_saveexec_b64 s[2:3], vcc
	s_cbranch_execz .LBB84_191
; %bb.184:
	ds_read_b128 v[2:5], v9
	s_and_b64 vcc, exec, s[0:1]
	s_cbranch_vccnz .LBB84_186
; %bb.185:
	scratch_load_dwordx4 v[10:13], v8, off
	s_waitcnt vmcnt(0) lgkmcnt(0)
	v_mul_f64 v[6:7], v[4:5], v[12:13]
	v_mul_f64 v[12:13], v[2:3], v[12:13]
	v_fmac_f64_e32 v[12:13], v[4:5], v[10:11]
	v_fma_f64 v[2:3], v[2:3], v[10:11], -v[6:7]
	v_mov_b64_e32 v[4:5], v[12:13]
.LBB84_186:
	v_cmp_ne_u32_e32 vcc, 3, v0
	s_and_saveexec_b64 s[6:7], vcc
	s_cbranch_execz .LBB84_190
; %bb.187:
	v_mov_b32_e32 v7, 0
	v_add_u32_e32 v6, 0x160, v52
	v_add3_u32 v7, v52, v7, 24
	s_mov_b64 s[8:9], 0
	v_mov_b32_e32 v10, v0
.LBB84_188:                             ; =>This Inner Loop Header: Depth=1
	v_add_u32_e32 v11, -8, v7
	scratch_load_dwordx4 v[76:79], v11, off
	ds_read_b128 v[80:83], v6
	v_add_u32_e32 v10, 1, v10
	v_cmp_lt_u32_e32 vcc, 2, v10
	v_add_u32_e32 v6, 16, v6
	v_add_u32_e32 v7, 16, v7
	s_or_b64 s[8:9], vcc, s[8:9]
	s_waitcnt vmcnt(0) lgkmcnt(0)
	v_mul_f64 v[12:13], v[82:83], v[78:79]
	v_mul_f64 v[78:79], v[80:81], v[78:79]
	v_fma_f64 v[12:13], v[80:81], v[76:77], -v[12:13]
	v_fmac_f64_e32 v[78:79], v[82:83], v[76:77]
	v_add_f64 v[2:3], v[2:3], v[12:13]
	v_add_f64 v[4:5], v[4:5], v[78:79]
	s_andn2_b64 exec, exec, s[8:9]
	s_cbranch_execnz .LBB84_188
; %bb.189:
	s_or_b64 exec, exec, s[8:9]
.LBB84_190:
	s_or_b64 exec, exec, s[6:7]
	v_mov_b32_e32 v6, 0
	ds_read_b128 v[10:13], v6 offset:64
	s_waitcnt lgkmcnt(0)
	v_mul_f64 v[6:7], v[4:5], v[12:13]
	v_mul_f64 v[78:79], v[2:3], v[12:13]
	v_fma_f64 v[76:77], v[2:3], v[10:11], -v[6:7]
	v_fmac_f64_e32 v[78:79], v[4:5], v[10:11]
	scratch_store_dwordx4 off, v[76:79], off offset:64
.LBB84_191:
	s_or_b64 exec, exec, s[2:3]
	scratch_load_dwordx4 v[2:5], v71, off
	v_cmp_gt_u32_e32 vcc, 5, v0
	s_waitcnt vmcnt(0)
	ds_write_b128 v9, v[2:5]
	s_waitcnt lgkmcnt(0)
	; wave barrier
	s_waitcnt lgkmcnt(0)
	s_and_saveexec_b64 s[2:3], vcc
	s_cbranch_execz .LBB84_199
; %bb.192:
	ds_read_b128 v[2:5], v9
	s_and_b64 vcc, exec, s[0:1]
	s_cbranch_vccnz .LBB84_194
; %bb.193:
	scratch_load_dwordx4 v[10:13], v8, off
	s_waitcnt vmcnt(0) lgkmcnt(0)
	v_mul_f64 v[6:7], v[4:5], v[12:13]
	v_mul_f64 v[12:13], v[2:3], v[12:13]
	v_fmac_f64_e32 v[12:13], v[4:5], v[10:11]
	v_fma_f64 v[2:3], v[2:3], v[10:11], -v[6:7]
	v_mov_b64_e32 v[4:5], v[12:13]
.LBB84_194:
	v_cmp_ne_u32_e32 vcc, 4, v0
	s_and_saveexec_b64 s[6:7], vcc
	s_cbranch_execz .LBB84_198
; %bb.195:
	v_mov_b32_e32 v7, 0
	v_add_u32_e32 v6, 0x160, v52
	v_add3_u32 v7, v52, v7, 24
	s_mov_b64 s[8:9], 0
	v_mov_b32_e32 v10, v0
.LBB84_196:                             ; =>This Inner Loop Header: Depth=1
	v_add_u32_e32 v11, -8, v7
	scratch_load_dwordx4 v[76:79], v11, off
	ds_read_b128 v[80:83], v6
	v_add_u32_e32 v10, 1, v10
	v_cmp_lt_u32_e32 vcc, 3, v10
	v_add_u32_e32 v6, 16, v6
	v_add_u32_e32 v7, 16, v7
	s_or_b64 s[8:9], vcc, s[8:9]
	s_waitcnt vmcnt(0) lgkmcnt(0)
	v_mul_f64 v[12:13], v[82:83], v[78:79]
	v_mul_f64 v[78:79], v[80:81], v[78:79]
	v_fma_f64 v[12:13], v[80:81], v[76:77], -v[12:13]
	v_fmac_f64_e32 v[78:79], v[82:83], v[76:77]
	v_add_f64 v[2:3], v[2:3], v[12:13]
	v_add_f64 v[4:5], v[4:5], v[78:79]
	s_andn2_b64 exec, exec, s[8:9]
	s_cbranch_execnz .LBB84_196
; %bb.197:
	s_or_b64 exec, exec, s[8:9]
.LBB84_198:
	s_or_b64 exec, exec, s[6:7]
	v_mov_b32_e32 v6, 0
	ds_read_b128 v[10:13], v6 offset:80
	s_waitcnt lgkmcnt(0)
	v_mul_f64 v[6:7], v[4:5], v[12:13]
	v_mul_f64 v[78:79], v[2:3], v[12:13]
	v_fma_f64 v[76:77], v[2:3], v[10:11], -v[6:7]
	v_fmac_f64_e32 v[78:79], v[4:5], v[10:11]
	scratch_store_dwordx4 off, v[76:79], off offset:80
.LBB84_199:
	;; [unrolled: 63-line block ×15, first 2 shown]
	s_or_b64 exec, exec, s[2:3]
	scratch_load_dwordx4 v[2:5], v1, off
	v_cmp_gt_u32_e64 s[2:3], 19, v0
	s_waitcnt vmcnt(0)
	ds_write_b128 v9, v[2:5]
	s_waitcnt lgkmcnt(0)
	; wave barrier
	s_waitcnt lgkmcnt(0)
	s_and_saveexec_b64 s[6:7], s[2:3]
	s_cbranch_execz .LBB84_311
; %bb.304:
	ds_read_b128 v[2:5], v9
	s_and_b64 vcc, exec, s[0:1]
	s_cbranch_vccnz .LBB84_306
; %bb.305:
	scratch_load_dwordx4 v[10:13], v8, off
	s_waitcnt vmcnt(0) lgkmcnt(0)
	v_mul_f64 v[6:7], v[4:5], v[12:13]
	v_mul_f64 v[12:13], v[2:3], v[12:13]
	v_fmac_f64_e32 v[12:13], v[4:5], v[10:11]
	v_fma_f64 v[2:3], v[2:3], v[10:11], -v[6:7]
	v_mov_b64_e32 v[4:5], v[12:13]
.LBB84_306:
	v_cmp_ne_u32_e32 vcc, 18, v0
	s_and_saveexec_b64 s[8:9], vcc
	s_cbranch_execz .LBB84_310
; %bb.307:
	v_mov_b32_e32 v7, 0
	v_add_u32_e32 v6, 0x160, v52
	v_add3_u32 v7, v52, v7, 24
	s_mov_b64 s[10:11], 0
	v_mov_b32_e32 v10, v0
.LBB84_308:                             ; =>This Inner Loop Header: Depth=1
	v_add_u32_e32 v11, -8, v7
	scratch_load_dwordx4 v[76:79], v11, off
	ds_read_b128 v[80:83], v6
	v_add_u32_e32 v10, 1, v10
	v_cmp_lt_u32_e32 vcc, 17, v10
	v_add_u32_e32 v6, 16, v6
	v_add_u32_e32 v7, 16, v7
	s_or_b64 s[10:11], vcc, s[10:11]
	s_waitcnt vmcnt(0) lgkmcnt(0)
	v_mul_f64 v[12:13], v[82:83], v[78:79]
	v_mul_f64 v[78:79], v[80:81], v[78:79]
	v_fma_f64 v[12:13], v[80:81], v[76:77], -v[12:13]
	v_fmac_f64_e32 v[78:79], v[82:83], v[76:77]
	v_add_f64 v[2:3], v[2:3], v[12:13]
	v_add_f64 v[4:5], v[4:5], v[78:79]
	s_andn2_b64 exec, exec, s[10:11]
	s_cbranch_execnz .LBB84_308
; %bb.309:
	s_or_b64 exec, exec, s[10:11]
.LBB84_310:
	s_or_b64 exec, exec, s[8:9]
	v_mov_b32_e32 v6, 0
	ds_read_b128 v[10:13], v6 offset:304
	s_waitcnt lgkmcnt(0)
	v_mul_f64 v[6:7], v[4:5], v[12:13]
	v_mul_f64 v[78:79], v[2:3], v[12:13]
	v_fma_f64 v[76:77], v[2:3], v[10:11], -v[6:7]
	v_fmac_f64_e32 v[78:79], v[4:5], v[10:11]
	scratch_store_dwordx4 off, v[76:79], off offset:304
.LBB84_311:
	s_or_b64 exec, exec, s[6:7]
	scratch_load_dwordx4 v[2:5], v53, off
	v_cmp_ne_u32_e32 vcc, 20, v0
                                        ; implicit-def: $vgpr6_vgpr7
                                        ; implicit-def: $vgpr10
	s_waitcnt vmcnt(0)
	ds_write_b128 v9, v[2:5]
	s_waitcnt lgkmcnt(0)
	; wave barrier
	s_waitcnt lgkmcnt(0)
	s_and_saveexec_b64 s[6:7], vcc
	s_cbranch_execz .LBB84_319
; %bb.312:
	ds_read_b128 v[2:5], v9
	s_and_b64 vcc, exec, s[0:1]
	s_cbranch_vccnz .LBB84_314
; %bb.313:
	scratch_load_dwordx4 v[6:9], v8, off
	s_waitcnt vmcnt(0) lgkmcnt(0)
	v_mul_f64 v[10:11], v[4:5], v[8:9]
	v_mul_f64 v[8:9], v[2:3], v[8:9]
	v_fmac_f64_e32 v[8:9], v[4:5], v[6:7]
	v_fma_f64 v[2:3], v[2:3], v[6:7], -v[10:11]
	v_mov_b64_e32 v[4:5], v[8:9]
.LBB84_314:
	s_and_saveexec_b64 s[0:1], s[2:3]
	s_cbranch_execz .LBB84_318
; %bb.315:
	v_mov_b32_e32 v7, 0
	v_add_u32_e32 v6, 0x160, v52
	v_add3_u32 v7, v52, v7, 24
	s_mov_b64 s[2:3], 0
.LBB84_316:                             ; =>This Inner Loop Header: Depth=1
	v_add_u32_e32 v8, -8, v7
	scratch_load_dwordx4 v[8:11], v8, off
	ds_read_b128 v[76:79], v6
	v_add_u32_e32 v0, 1, v0
	v_cmp_lt_u32_e32 vcc, 18, v0
	v_add_u32_e32 v6, 16, v6
	v_add_u32_e32 v7, 16, v7
	s_or_b64 s[2:3], vcc, s[2:3]
	s_waitcnt vmcnt(0) lgkmcnt(0)
	v_mul_f64 v[12:13], v[78:79], v[10:11]
	v_mul_f64 v[10:11], v[76:77], v[10:11]
	v_fma_f64 v[12:13], v[76:77], v[8:9], -v[12:13]
	v_fmac_f64_e32 v[10:11], v[78:79], v[8:9]
	v_add_f64 v[2:3], v[2:3], v[12:13]
	v_add_f64 v[4:5], v[4:5], v[10:11]
	s_andn2_b64 exec, exec, s[2:3]
	s_cbranch_execnz .LBB84_316
; %bb.317:
	s_or_b64 exec, exec, s[2:3]
.LBB84_318:
	s_or_b64 exec, exec, s[0:1]
	v_mov_b32_e32 v0, 0
	ds_read_b128 v[76:79], v0 offset:320
	v_mov_b32_e32 v0, 0
	v_add_u32_e32 v10, 0x148, v0
	s_or_b64 s[4:5], s[4:5], exec
	s_waitcnt lgkmcnt(0)
	v_mul_f64 v[8:9], v[4:5], v[78:79]
	v_mul_f64 v[6:7], v[2:3], v[78:79]
	v_fma_f64 v[2:3], v[2:3], v[76:77], -v[8:9]
	v_fmac_f64_e32 v[6:7], v[4:5], v[76:77]
	scratch_store_dwordx2 off, v[2:3], off offset:320
.LBB84_319:
	s_or_b64 exec, exec, s[6:7]
.LBB84_320:
	s_and_saveexec_b64 s[0:1], s[4:5]
	s_cbranch_execz .LBB84_322
; %bb.321:
	scratch_store_dwordx2 v10, v[6:7], off
.LBB84_322:
	s_or_b64 exec, exec, s[0:1]
	scratch_load_dwordx4 v[2:5], off, off
	scratch_load_dwordx4 v[6:9], v70, off
	scratch_load_dwordx4 v[10:13], v66, off
	scratch_load_dwordx4 v[76:79], v69, off
	scratch_load_dwordx4 v[80:83], v73, off
	scratch_load_dwordx4 v[84:87], v71, off
	scratch_load_dwordx4 v[88:91], v75, off
	scratch_load_dwordx4 v[92:95], v72, off
	scratch_load_dwordx4 v[96:99], v74, off
	s_waitcnt vmcnt(8)
	global_store_dwordx4 v[16:17], v[2:5], off
	scratch_load_dwordx4 v[2:5], v68, off
	s_nop 0
	scratch_load_dwordx4 v[70:73], v67, off
	s_waitcnt vmcnt(10)
	global_store_dwordx4 v[14:15], v[6:9], off
	scratch_load_dwordx4 v[6:9], v65, off
	s_nop 0
	scratch_load_dwordx4 v[14:17], v64, off
	;; [unrolled: 5-line block ×6, first 2 shown]
	s_waitcnt vmcnt(20)
	global_store_dwordx4 v[26:27], v[88:91], off
	s_waitcnt vmcnt(20)
	global_store_dwordx4 v[28:29], v[92:95], off
	;; [unrolled: 2-line block ×15, first 2 shown]
.LBB84_323:
	s_endpgm
	.section	.rodata,"a",@progbits
	.p2align	6, 0x0
	.amdhsa_kernel _ZN9rocsolver6v33100L18trti2_kernel_smallILi21E19rocblas_complex_numIdEPKPS3_EEv13rocblas_fill_17rocblas_diagonal_T1_iil
		.amdhsa_group_segment_fixed_size 672
		.amdhsa_private_segment_fixed_size 352
		.amdhsa_kernarg_size 32
		.amdhsa_user_sgpr_count 2
		.amdhsa_user_sgpr_dispatch_ptr 0
		.amdhsa_user_sgpr_queue_ptr 0
		.amdhsa_user_sgpr_kernarg_segment_ptr 1
		.amdhsa_user_sgpr_dispatch_id 0
		.amdhsa_user_sgpr_kernarg_preload_length 0
		.amdhsa_user_sgpr_kernarg_preload_offset 0
		.amdhsa_user_sgpr_private_segment_size 0
		.amdhsa_uses_dynamic_stack 0
		.amdhsa_enable_private_segment 1
		.amdhsa_system_sgpr_workgroup_id_x 1
		.amdhsa_system_sgpr_workgroup_id_y 0
		.amdhsa_system_sgpr_workgroup_id_z 0
		.amdhsa_system_sgpr_workgroup_info 0
		.amdhsa_system_vgpr_workitem_id 0
		.amdhsa_next_free_vgpr 100
		.amdhsa_next_free_sgpr 12
		.amdhsa_accum_offset 100
		.amdhsa_reserve_vcc 1
		.amdhsa_float_round_mode_32 0
		.amdhsa_float_round_mode_16_64 0
		.amdhsa_float_denorm_mode_32 3
		.amdhsa_float_denorm_mode_16_64 3
		.amdhsa_dx10_clamp 1
		.amdhsa_ieee_mode 1
		.amdhsa_fp16_overflow 0
		.amdhsa_tg_split 0
		.amdhsa_exception_fp_ieee_invalid_op 0
		.amdhsa_exception_fp_denorm_src 0
		.amdhsa_exception_fp_ieee_div_zero 0
		.amdhsa_exception_fp_ieee_overflow 0
		.amdhsa_exception_fp_ieee_underflow 0
		.amdhsa_exception_fp_ieee_inexact 0
		.amdhsa_exception_int_div_zero 0
	.end_amdhsa_kernel
	.section	.text._ZN9rocsolver6v33100L18trti2_kernel_smallILi21E19rocblas_complex_numIdEPKPS3_EEv13rocblas_fill_17rocblas_diagonal_T1_iil,"axG",@progbits,_ZN9rocsolver6v33100L18trti2_kernel_smallILi21E19rocblas_complex_numIdEPKPS3_EEv13rocblas_fill_17rocblas_diagonal_T1_iil,comdat
.Lfunc_end84:
	.size	_ZN9rocsolver6v33100L18trti2_kernel_smallILi21E19rocblas_complex_numIdEPKPS3_EEv13rocblas_fill_17rocblas_diagonal_T1_iil, .Lfunc_end84-_ZN9rocsolver6v33100L18trti2_kernel_smallILi21E19rocblas_complex_numIdEPKPS3_EEv13rocblas_fill_17rocblas_diagonal_T1_iil
                                        ; -- End function
	.section	.AMDGPU.csdata,"",@progbits
; Kernel info:
; codeLenInByte = 13672
; NumSgprs: 18
; NumVgprs: 100
; NumAgprs: 0
; TotalNumVgprs: 100
; ScratchSize: 352
; MemoryBound: 0
; FloatMode: 240
; IeeeMode: 1
; LDSByteSize: 672 bytes/workgroup (compile time only)
; SGPRBlocks: 2
; VGPRBlocks: 12
; NumSGPRsForWavesPerEU: 18
; NumVGPRsForWavesPerEU: 100
; AccumOffset: 100
; Occupancy: 4
; WaveLimiterHint : 1
; COMPUTE_PGM_RSRC2:SCRATCH_EN: 1
; COMPUTE_PGM_RSRC2:USER_SGPR: 2
; COMPUTE_PGM_RSRC2:TRAP_HANDLER: 0
; COMPUTE_PGM_RSRC2:TGID_X_EN: 1
; COMPUTE_PGM_RSRC2:TGID_Y_EN: 0
; COMPUTE_PGM_RSRC2:TGID_Z_EN: 0
; COMPUTE_PGM_RSRC2:TIDIG_COMP_CNT: 0
; COMPUTE_PGM_RSRC3_GFX90A:ACCUM_OFFSET: 24
; COMPUTE_PGM_RSRC3_GFX90A:TG_SPLIT: 0
	.section	.text._ZN9rocsolver6v33100L18trti2_kernel_smallILi22E19rocblas_complex_numIdEPKPS3_EEv13rocblas_fill_17rocblas_diagonal_T1_iil,"axG",@progbits,_ZN9rocsolver6v33100L18trti2_kernel_smallILi22E19rocblas_complex_numIdEPKPS3_EEv13rocblas_fill_17rocblas_diagonal_T1_iil,comdat
	.globl	_ZN9rocsolver6v33100L18trti2_kernel_smallILi22E19rocblas_complex_numIdEPKPS3_EEv13rocblas_fill_17rocblas_diagonal_T1_iil ; -- Begin function _ZN9rocsolver6v33100L18trti2_kernel_smallILi22E19rocblas_complex_numIdEPKPS3_EEv13rocblas_fill_17rocblas_diagonal_T1_iil
	.p2align	8
	.type	_ZN9rocsolver6v33100L18trti2_kernel_smallILi22E19rocblas_complex_numIdEPKPS3_EEv13rocblas_fill_17rocblas_diagonal_T1_iil,@function
_ZN9rocsolver6v33100L18trti2_kernel_smallILi22E19rocblas_complex_numIdEPKPS3_EEv13rocblas_fill_17rocblas_diagonal_T1_iil: ; @_ZN9rocsolver6v33100L18trti2_kernel_smallILi22E19rocblas_complex_numIdEPKPS3_EEv13rocblas_fill_17rocblas_diagonal_T1_iil
; %bb.0:
	v_cmp_gt_u32_e32 vcc, 22, v0
	s_and_saveexec_b64 s[4:5], vcc
	s_cbranch_execz .LBB85_339
; %bb.1:
	s_load_dwordx2 s[8:9], s[0:1], 0x10
	s_load_dwordx4 s[4:7], s[0:1], 0x0
	s_ashr_i32 s3, s2, 31
	s_lshl_b64 s[0:1], s[2:3], 3
	v_lshlrev_b32_e32 v32, 4, v0
	s_waitcnt lgkmcnt(0)
	s_ashr_i32 s3, s8, 31
	s_add_u32 s0, s6, s0
	s_addc_u32 s1, s7, s1
	s_load_dwordx2 s[0:1], s[0:1], 0x0
	s_mov_b32 s2, s8
	s_lshl_b64 s[2:3], s[2:3], 4
	v_mov_b32_e32 v33, 0
	s_waitcnt lgkmcnt(0)
	s_add_u32 s0, s0, s2
	s_addc_u32 s1, s1, s3
	global_load_dwordx4 v[2:5], v32, s[0:1]
	s_add_i32 s6, s9, s9
	v_add_u32_e32 v6, s6, v0
	v_add_u32_e32 v20, s9, v6
	;; [unrolled: 1-line block ×3, first 2 shown]
	v_ashrrev_i32_e32 v21, 31, v20
	v_add_u32_e32 v24, s9, v22
	v_lshl_add_u64 v[30:31], v[20:21], 4, s[0:1]
	v_add_u32_e32 v20, s9, v24
	v_add_u32_e32 v28, s9, v20
	;; [unrolled: 1-line block ×12, first 2 shown]
	s_mov_b32 s2, s9
	s_ashr_i32 s3, s9, 31
	v_lshl_add_u64 v[18:19], s[0:1], 0, v[32:33]
	v_add_u32_e32 v94, s9, v92
	v_lshl_add_u64 v[14:15], s[2:3], 4, v[18:19]
	v_ashrrev_i32_e32 v7, 31, v6
	v_add_u32_e32 v96, s9, v94
	v_lshl_add_u64 v[16:17], v[6:7], 4, s[0:1]
	global_load_dwordx4 v[6:9], v[14:15], off
	global_load_dwordx4 v[10:13], v[16:17], off
	v_ashrrev_i32_e32 v23, 31, v22
	v_ashrrev_i32_e32 v25, 31, v24
	;; [unrolled: 1-line block ×6, first 2 shown]
	v_add_u32_e32 v98, s9, v96
	v_lshl_add_u64 v[22:23], v[22:23], 4, s[0:1]
	global_load_dwordx4 v[48:51], v[30:31], off
	global_load_dwordx4 v[52:55], v[22:23], off
	v_lshl_add_u64 v[26:27], v[24:25], 4, s[0:1]
	v_ashrrev_i32_e32 v21, 31, v20
	v_lshl_add_u64 v[24:25], v[28:29], 4, s[0:1]
	v_lshl_add_u64 v[28:29], v[34:35], 4, s[0:1]
	;; [unrolled: 1-line block ×4, first 2 shown]
	v_add_u32_e32 v38, s9, v98
	v_lshl_add_u64 v[20:21], v[20:21], 4, s[0:1]
	global_load_dwordx4 v[56:59], v[26:27], off
	global_load_dwordx4 v[60:63], v[20:21], off
	v_ashrrev_i32_e32 v39, 31, v38
	global_load_dwordx4 v[64:67], v[24:25], off
	global_load_dwordx4 v[68:71], v[28:29], off
	v_lshl_add_u64 v[38:39], v[38:39], 4, s[0:1]
	global_load_dwordx4 v[72:75], v[38:39], off
	v_ashrrev_i32_e32 v41, 31, v40
	v_lshl_add_u64 v[40:41], v[40:41], 4, s[0:1]
	v_ashrrev_i32_e32 v43, 31, v42
	v_ashrrev_i32_e32 v45, 31, v44
	v_lshl_add_u64 v[42:43], v[42:43], 4, s[0:1]
	v_lshl_add_u64 v[44:45], v[44:45], 4, s[0:1]
	v_ashrrev_i32_e32 v47, 31, v46
	v_ashrrev_i32_e32 v89, 31, v88
	v_lshl_add_u64 v[46:47], v[46:47], 4, s[0:1]
	v_ashrrev_i32_e32 v91, 31, v90
	v_ashrrev_i32_e32 v93, 31, v92
	;; [unrolled: 1-line block ×5, first 2 shown]
	s_cmpk_lg_i32 s5, 0x84
	s_cselect_b64 s[6:7], -1, 0
	s_cmpk_eq_i32 s5, 0x84
	s_waitcnt vmcnt(9)
	scratch_store_dwordx4 off, v[2:5], off
	global_load_dwordx4 v[2:5], v[34:35], off
	s_nop 0
	global_load_dwordx4 v[76:79], v[36:37], off
	s_waitcnt vmcnt(11)
	scratch_store_dwordx4 off, v[6:9], off offset:16
	s_waitcnt vmcnt(11)
	scratch_store_dwordx4 off, v[10:13], off offset:32
	global_load_dwordx4 v[6:9], v[40:41], off
	s_nop 0
	global_load_dwordx4 v[10:13], v[42:43], off
	s_waitcnt vmcnt(13)
	scratch_store_dwordx4 off, v[48:51], off offset:48
	s_waitcnt vmcnt(13)
	scratch_store_dwordx4 off, v[52:55], off offset:64
	global_load_dwordx4 v[80:83], v[44:45], off
	global_load_dwordx4 v[84:87], v[46:47], off
	v_lshl_add_u64 v[48:49], v[88:89], 4, s[0:1]
	s_waitcnt vmcnt(15)
	scratch_store_dwordx4 off, v[56:59], off offset:80
	s_waitcnt vmcnt(15)
	scratch_store_dwordx4 off, v[60:63], off offset:96
	v_lshl_add_u64 v[50:51], v[90:91], 4, s[0:1]
	global_load_dwordx4 v[60:63], v[48:49], off
	global_load_dwordx4 v[88:91], v[50:51], off
	v_lshl_add_u64 v[52:53], v[92:93], 4, s[0:1]
	s_waitcnt vmcnt(17)
	scratch_store_dwordx4 off, v[64:67], off offset:112
	s_waitcnt vmcnt(17)
	scratch_store_dwordx4 off, v[68:71], off offset:128
	v_lshl_add_u64 v[54:55], v[94:95], 4, s[0:1]
	global_load_dwordx4 v[64:67], v[52:53], off
	global_load_dwordx4 v[68:71], v[54:55], off
	v_lshl_add_u64 v[56:57], v[96:97], 4, s[0:1]
	v_lshl_add_u64 v[58:59], v[98:99], 4, s[0:1]
	s_waitcnt vmcnt(17)
	scratch_store_dwordx4 off, v[2:5], off offset:144
	s_waitcnt vmcnt(17)
	scratch_store_dwordx4 off, v[76:79], off offset:160
	global_load_dwordx4 v[2:5], v[56:57], off
	s_nop 0
	global_load_dwordx4 v[76:79], v[58:59], off
	s_waitcnt vmcnt(17)
	scratch_store_dwordx4 off, v[6:9], off offset:176
	s_waitcnt vmcnt(17)
	scratch_store_dwordx4 off, v[10:13], off offset:192
	;; [unrolled: 2-line block ×8, first 2 shown]
	v_mov_b32_e32 v12, 0
	s_waitcnt vmcnt(9)
	scratch_store_dwordx4 off, v[2:5], off offset:304
	s_waitcnt vmcnt(9)
	scratch_store_dwordx4 off, v[76:79], off offset:320
	scratch_store_dwordx4 off, v[72:75], off offset:336
	s_cbranch_scc1 .LBB85_7
; %bb.2:
	scratch_load_dwordx4 v[2:5], v32, off
                                        ; implicit-def: $vgpr10_vgpr11
	s_waitcnt vmcnt(0)
	v_xor_b32_e32 v1, 0x80000000, v3
	v_cmp_gt_f64_e32 vcc, 0, v[2:3]
	v_xor_b32_e32 v8, 0x80000000, v5
	v_mov_b32_e32 v6, v2
	v_cndmask_b32_e32 v7, v3, v1, vcc
	v_cmp_gt_f64_e32 vcc, 0, v[4:5]
	s_nop 1
	v_cndmask_b32_e32 v9, v5, v8, vcc
	v_mov_b32_e32 v8, v4
	v_cmp_ngt_f64_e32 vcc, v[6:7], v[8:9]
                                        ; implicit-def: $vgpr6_vgpr7
	s_and_saveexec_b64 s[0:1], vcc
	s_xor_b64 s[0:1], exec, s[0:1]
	s_cbranch_execz .LBB85_4
; %bb.3:
	v_div_scale_f64 v[6:7], s[2:3], v[4:5], v[4:5], v[2:3]
	v_rcp_f64_e32 v[8:9], v[6:7]
	v_div_scale_f64 v[10:11], vcc, v[2:3], v[4:5], v[2:3]
	v_fma_f64 v[60:61], -v[6:7], v[8:9], 1.0
	v_fmac_f64_e32 v[8:9], v[8:9], v[60:61]
	v_fma_f64 v[60:61], -v[6:7], v[8:9], 1.0
	v_fmac_f64_e32 v[8:9], v[8:9], v[60:61]
	v_mul_f64 v[60:61], v[10:11], v[8:9]
	v_fma_f64 v[6:7], -v[6:7], v[60:61], v[10:11]
	v_div_fmas_f64 v[6:7], v[6:7], v[8:9], v[60:61]
	v_div_fixup_f64 v[6:7], v[6:7], v[4:5], v[2:3]
	v_fmac_f64_e32 v[4:5], v[2:3], v[6:7]
	v_div_scale_f64 v[2:3], s[2:3], v[4:5], v[4:5], 1.0
	v_rcp_f64_e32 v[8:9], v[2:3]
	s_nop 0
	v_fma_f64 v[10:11], -v[2:3], v[8:9], 1.0
	v_fmac_f64_e32 v[8:9], v[8:9], v[10:11]
	v_fma_f64 v[10:11], -v[2:3], v[8:9], 1.0
	v_fmac_f64_e32 v[8:9], v[8:9], v[10:11]
	v_div_scale_f64 v[10:11], vcc, 1.0, v[4:5], 1.0
	v_mul_f64 v[60:61], v[10:11], v[8:9]
	v_fma_f64 v[2:3], -v[2:3], v[60:61], v[10:11]
	s_nop 1
	v_div_fmas_f64 v[2:3], v[2:3], v[8:9], v[60:61]
	v_div_fixup_f64 v[8:9], v[2:3], v[4:5], 1.0
	v_mul_f64 v[6:7], v[6:7], v[8:9]
	v_xor_b32_e32 v9, 0x80000000, v9
	v_xor_b32_e32 v11, 0x80000000, v7
	v_mov_b32_e32 v10, v6
                                        ; implicit-def: $vgpr2_vgpr3
.LBB85_4:
	s_or_saveexec_b64 s[0:1], s[0:1]
	v_add_u32_e32 v1, 0, v32
	s_xor_b64 exec, exec, s[0:1]
	s_cbranch_execz .LBB85_6
; %bb.5:
	v_div_scale_f64 v[6:7], s[2:3], v[2:3], v[2:3], v[4:5]
	v_rcp_f64_e32 v[8:9], v[6:7]
	v_div_scale_f64 v[10:11], vcc, v[4:5], v[2:3], v[4:5]
	v_fma_f64 v[60:61], -v[6:7], v[8:9], 1.0
	v_fmac_f64_e32 v[8:9], v[8:9], v[60:61]
	v_fma_f64 v[60:61], -v[6:7], v[8:9], 1.0
	v_fmac_f64_e32 v[8:9], v[8:9], v[60:61]
	v_mul_f64 v[60:61], v[10:11], v[8:9]
	v_fma_f64 v[6:7], -v[6:7], v[60:61], v[10:11]
	v_div_fmas_f64 v[6:7], v[6:7], v[8:9], v[60:61]
	v_div_fixup_f64 v[8:9], v[6:7], v[2:3], v[4:5]
	v_fmac_f64_e32 v[2:3], v[4:5], v[8:9]
	v_div_scale_f64 v[4:5], s[2:3], v[2:3], v[2:3], 1.0
	v_rcp_f64_e32 v[6:7], v[4:5]
	s_nop 0
	v_fma_f64 v[10:11], -v[4:5], v[6:7], 1.0
	v_fmac_f64_e32 v[6:7], v[6:7], v[10:11]
	v_fma_f64 v[10:11], -v[4:5], v[6:7], 1.0
	v_fmac_f64_e32 v[6:7], v[6:7], v[10:11]
	v_div_scale_f64 v[10:11], vcc, 1.0, v[2:3], 1.0
	v_mul_f64 v[60:61], v[10:11], v[6:7]
	v_fma_f64 v[4:5], -v[4:5], v[60:61], v[10:11]
	s_nop 1
	v_div_fmas_f64 v[4:5], v[4:5], v[6:7], v[60:61]
	v_div_fixup_f64 v[6:7], v[4:5], v[2:3], 1.0
	v_xor_b32_e32 v11, 0x80000000, v7
	v_mov_b32_e32 v10, v6
	v_mul_f64 v[8:9], v[8:9], -v[6:7]
.LBB85_6:
	s_or_b64 exec, exec, s[0:1]
	scratch_store_dwordx4 v1, v[6:9], off
	s_nop 1
	v_xor_b32_e32 v9, 0x80000000, v9
	s_branch .LBB85_8
.LBB85_7:
	v_mov_b64_e32 v[8:9], 0
	v_mov_b64_e32 v[10:11], -1.0
.LBB85_8:
	v_add_u32_e32 v71, 16, v12
	v_add_u32_e32 v74, 32, v12
	;; [unrolled: 1-line block ×21, first 2 shown]
	v_mov_b32_e32 v12, v8
	v_mov_b32_e32 v13, v9
	s_cmpk_eq_i32 s4, 0x79
	v_add_u32_e32 v9, 0x160, v32
	v_add_u32_e32 v8, 0, v32
	ds_write_b128 v32, v[10:13]
	s_cbranch_scc1 .LBB85_172
; %bb.9:
	scratch_load_dwordx4 v[2:5], v1, off
	v_cmp_eq_u32_e64 s[0:1], 21, v0
	s_waitcnt vmcnt(0)
	ds_write_b128 v9, v[2:5]
	s_waitcnt lgkmcnt(0)
	; wave barrier
	s_waitcnt lgkmcnt(0)
	s_and_saveexec_b64 s[2:3], s[0:1]
	s_cbranch_execz .LBB85_13
; %bb.10:
	ds_read_b128 v[2:5], v9
	s_andn2_b64 vcc, exec, s[6:7]
	s_cbranch_vccnz .LBB85_12
; %bb.11:
	scratch_load_dwordx4 v[10:13], v8, off
	s_waitcnt vmcnt(0) lgkmcnt(0)
	v_mul_f64 v[6:7], v[4:5], v[12:13]
	v_mul_f64 v[12:13], v[2:3], v[12:13]
	v_fmac_f64_e32 v[12:13], v[4:5], v[10:11]
	v_fma_f64 v[2:3], v[2:3], v[10:11], -v[6:7]
	v_mov_b64_e32 v[4:5], v[12:13]
.LBB85_12:
	v_mov_b32_e32 v6, 0
	ds_read_b128 v[10:13], v6 offset:320
	s_waitcnt lgkmcnt(0)
	v_mul_f64 v[6:7], v[4:5], v[12:13]
	v_mul_f64 v[82:83], v[2:3], v[12:13]
	v_fma_f64 v[80:81], v[2:3], v[10:11], -v[6:7]
	v_fmac_f64_e32 v[82:83], v[4:5], v[10:11]
	scratch_store_dwordx4 off, v[80:83], off offset:320
.LBB85_13:
	s_or_b64 exec, exec, s[2:3]
	scratch_load_dwordx4 v[2:5], v61, off
	v_cmp_lt_u32_e64 s[2:3], 19, v0
	s_waitcnt vmcnt(0)
	ds_write_b128 v9, v[2:5]
	s_waitcnt lgkmcnt(0)
	; wave barrier
	s_waitcnt lgkmcnt(0)
	s_and_saveexec_b64 s[4:5], s[2:3]
	s_cbranch_execz .LBB85_19
; %bb.14:
	ds_read_b128 v[2:5], v9
	s_andn2_b64 vcc, exec, s[6:7]
	s_cbranch_vccnz .LBB85_16
; %bb.15:
	scratch_load_dwordx4 v[10:13], v8, off
	s_waitcnt vmcnt(0) lgkmcnt(0)
	v_mul_f64 v[6:7], v[4:5], v[12:13]
	v_mul_f64 v[12:13], v[2:3], v[12:13]
	v_fmac_f64_e32 v[12:13], v[4:5], v[10:11]
	v_fma_f64 v[2:3], v[2:3], v[10:11], -v[6:7]
	v_mov_b64_e32 v[4:5], v[12:13]
.LBB85_16:
	s_and_saveexec_b64 s[8:9], s[0:1]
	s_cbranch_execz .LBB85_18
; %bb.17:
	scratch_load_dwordx4 v[10:13], off, off offset:320
	v_mov_b32_e32 v6, 0
	ds_read_b128 v[80:83], v6 offset:672
	s_waitcnt vmcnt(0) lgkmcnt(0)
	v_mul_f64 v[6:7], v[80:81], v[12:13]
	v_mul_f64 v[12:13], v[82:83], v[12:13]
	v_fmac_f64_e32 v[6:7], v[82:83], v[10:11]
	v_fma_f64 v[10:11], v[80:81], v[10:11], -v[12:13]
	v_add_f64 v[4:5], v[4:5], v[6:7]
	v_add_f64 v[2:3], v[2:3], v[10:11]
.LBB85_18:
	s_or_b64 exec, exec, s[8:9]
	v_mov_b32_e32 v6, 0
	ds_read_b128 v[10:13], v6 offset:304
	s_waitcnt lgkmcnt(0)
	v_mul_f64 v[6:7], v[4:5], v[12:13]
	v_mul_f64 v[82:83], v[2:3], v[12:13]
	v_fma_f64 v[80:81], v[2:3], v[10:11], -v[6:7]
	v_fmac_f64_e32 v[82:83], v[4:5], v[10:11]
	scratch_store_dwordx4 off, v[80:83], off offset:304
.LBB85_19:
	s_or_b64 exec, exec, s[4:5]
	scratch_load_dwordx4 v[2:5], v60, off
	v_cmp_lt_u32_e64 s[0:1], 18, v0
	s_waitcnt vmcnt(0)
	ds_write_b128 v9, v[2:5]
	s_waitcnt lgkmcnt(0)
	; wave barrier
	s_waitcnt lgkmcnt(0)
	s_and_saveexec_b64 s[4:5], s[0:1]
	s_cbranch_execz .LBB85_27
; %bb.20:
	ds_read_b128 v[2:5], v9
	s_andn2_b64 vcc, exec, s[6:7]
	s_cbranch_vccnz .LBB85_22
; %bb.21:
	scratch_load_dwordx4 v[10:13], v8, off
	s_waitcnt vmcnt(0) lgkmcnt(0)
	v_mul_f64 v[6:7], v[4:5], v[12:13]
	v_mul_f64 v[12:13], v[2:3], v[12:13]
	v_fmac_f64_e32 v[12:13], v[4:5], v[10:11]
	v_fma_f64 v[2:3], v[2:3], v[10:11], -v[6:7]
	v_mov_b64_e32 v[4:5], v[12:13]
.LBB85_22:
	s_and_saveexec_b64 s[8:9], s[2:3]
	s_cbranch_execz .LBB85_26
; %bb.23:
	v_mov_b32_e32 v7, 0
	v_subrev_u32_e32 v6, 19, v0
	v_add_u32_e32 v7, 0x138, v7
	s_movk_i32 s10, 0x290
	s_mov_b64 s[2:3], 0
.LBB85_24:                              ; =>This Inner Loop Header: Depth=1
	v_add_u32_e32 v10, -8, v7
	scratch_load_dwordx4 v[10:13], v10, off
	v_mov_b32_e32 v79, s10
	ds_read_b128 v[80:83], v79
	v_add_u32_e32 v6, -1, v6
	s_add_i32 s10, s10, 16
	v_cmp_eq_u32_e32 vcc, 0, v6
	v_add_u32_e32 v7, 16, v7
	s_or_b64 s[2:3], vcc, s[2:3]
	s_waitcnt vmcnt(0) lgkmcnt(0)
	v_mul_f64 v[84:85], v[82:83], v[12:13]
	v_mul_f64 v[12:13], v[80:81], v[12:13]
	v_fma_f64 v[80:81], v[80:81], v[10:11], -v[84:85]
	v_fmac_f64_e32 v[12:13], v[82:83], v[10:11]
	v_add_f64 v[2:3], v[2:3], v[80:81]
	v_add_f64 v[4:5], v[4:5], v[12:13]
	s_andn2_b64 exec, exec, s[2:3]
	s_cbranch_execnz .LBB85_24
; %bb.25:
	s_or_b64 exec, exec, s[2:3]
.LBB85_26:
	s_or_b64 exec, exec, s[8:9]
	v_mov_b32_e32 v6, 0
	ds_read_b128 v[10:13], v6 offset:288
	s_waitcnt lgkmcnt(0)
	v_mul_f64 v[6:7], v[4:5], v[12:13]
	v_mul_f64 v[82:83], v[2:3], v[12:13]
	v_fma_f64 v[80:81], v[2:3], v[10:11], -v[6:7]
	v_fmac_f64_e32 v[82:83], v[4:5], v[10:11]
	scratch_store_dwordx4 off, v[80:83], off offset:288
.LBB85_27:
	s_or_b64 exec, exec, s[4:5]
	scratch_load_dwordx4 v[2:5], v62, off
	v_cmp_lt_u32_e64 s[2:3], 17, v0
	s_waitcnt vmcnt(0)
	ds_write_b128 v9, v[2:5]
	s_waitcnt lgkmcnt(0)
	; wave barrier
	s_waitcnt lgkmcnt(0)
	s_and_saveexec_b64 s[4:5], s[2:3]
	s_cbranch_execz .LBB85_35
; %bb.28:
	ds_read_b128 v[2:5], v9
	s_andn2_b64 vcc, exec, s[6:7]
	s_cbranch_vccnz .LBB85_30
; %bb.29:
	scratch_load_dwordx4 v[10:13], v8, off
	s_waitcnt vmcnt(0) lgkmcnt(0)
	v_mul_f64 v[6:7], v[4:5], v[12:13]
	v_mul_f64 v[12:13], v[2:3], v[12:13]
	v_fmac_f64_e32 v[12:13], v[4:5], v[10:11]
	v_fma_f64 v[2:3], v[2:3], v[10:11], -v[6:7]
	v_mov_b64_e32 v[4:5], v[12:13]
.LBB85_30:
	s_and_saveexec_b64 s[8:9], s[0:1]
	s_cbranch_execz .LBB85_34
; %bb.31:
	v_mov_b32_e32 v7, 0
	v_subrev_u32_e32 v6, 18, v0
	v_add_u32_e32 v7, 0x128, v7
	s_movk_i32 s10, 0x280
	s_mov_b64 s[0:1], 0
.LBB85_32:                              ; =>This Inner Loop Header: Depth=1
	v_add_u32_e32 v10, -8, v7
	scratch_load_dwordx4 v[10:13], v10, off
	v_mov_b32_e32 v79, s10
	ds_read_b128 v[80:83], v79
	v_add_u32_e32 v6, -1, v6
	s_add_i32 s10, s10, 16
	v_cmp_eq_u32_e32 vcc, 0, v6
	v_add_u32_e32 v7, 16, v7
	s_or_b64 s[0:1], vcc, s[0:1]
	s_waitcnt vmcnt(0) lgkmcnt(0)
	v_mul_f64 v[84:85], v[82:83], v[12:13]
	v_mul_f64 v[12:13], v[80:81], v[12:13]
	v_fma_f64 v[80:81], v[80:81], v[10:11], -v[84:85]
	v_fmac_f64_e32 v[12:13], v[82:83], v[10:11]
	v_add_f64 v[2:3], v[2:3], v[80:81]
	v_add_f64 v[4:5], v[4:5], v[12:13]
	s_andn2_b64 exec, exec, s[0:1]
	s_cbranch_execnz .LBB85_32
; %bb.33:
	s_or_b64 exec, exec, s[0:1]
.LBB85_34:
	s_or_b64 exec, exec, s[8:9]
	v_mov_b32_e32 v6, 0
	ds_read_b128 v[10:13], v6 offset:272
	s_waitcnt lgkmcnt(0)
	v_mul_f64 v[6:7], v[4:5], v[12:13]
	v_mul_f64 v[82:83], v[2:3], v[12:13]
	v_fma_f64 v[80:81], v[2:3], v[10:11], -v[6:7]
	v_fmac_f64_e32 v[82:83], v[4:5], v[10:11]
	scratch_store_dwordx4 off, v[80:83], off offset:272
.LBB85_35:
	;; [unrolled: 63-line block ×3, first 2 shown]
	s_or_b64 exec, exec, s[4:5]
	scratch_load_dwordx4 v[2:5], v64, off
	v_cmp_lt_u32_e64 s[2:3], 15, v0
	s_waitcnt vmcnt(0)
	ds_write_b128 v9, v[2:5]
	s_waitcnt lgkmcnt(0)
	; wave barrier
	s_waitcnt lgkmcnt(0)
	s_and_saveexec_b64 s[4:5], s[2:3]
	s_cbranch_execz .LBB85_51
; %bb.44:
	ds_read_b128 v[2:5], v9
	s_andn2_b64 vcc, exec, s[6:7]
	s_cbranch_vccnz .LBB85_46
; %bb.45:
	scratch_load_dwordx4 v[10:13], v8, off
	s_waitcnt vmcnt(0) lgkmcnt(0)
	v_mul_f64 v[6:7], v[4:5], v[12:13]
	v_mul_f64 v[12:13], v[2:3], v[12:13]
	v_fmac_f64_e32 v[12:13], v[4:5], v[10:11]
	v_fma_f64 v[2:3], v[2:3], v[10:11], -v[6:7]
	v_mov_b64_e32 v[4:5], v[12:13]
.LBB85_46:
	s_and_saveexec_b64 s[8:9], s[0:1]
	s_cbranch_execz .LBB85_50
; %bb.47:
	v_mov_b32_e32 v7, 0
	v_add_u32_e32 v6, -16, v0
	v_add_u32_e32 v7, 0x108, v7
	s_movk_i32 s10, 0x260
	s_mov_b64 s[0:1], 0
.LBB85_48:                              ; =>This Inner Loop Header: Depth=1
	v_add_u32_e32 v10, -8, v7
	scratch_load_dwordx4 v[10:13], v10, off
	v_mov_b32_e32 v79, s10
	ds_read_b128 v[80:83], v79
	v_add_u32_e32 v6, -1, v6
	s_add_i32 s10, s10, 16
	v_cmp_eq_u32_e32 vcc, 0, v6
	v_add_u32_e32 v7, 16, v7
	s_or_b64 s[0:1], vcc, s[0:1]
	s_waitcnt vmcnt(0) lgkmcnt(0)
	v_mul_f64 v[84:85], v[82:83], v[12:13]
	v_mul_f64 v[12:13], v[80:81], v[12:13]
	v_fma_f64 v[80:81], v[80:81], v[10:11], -v[84:85]
	v_fmac_f64_e32 v[12:13], v[82:83], v[10:11]
	v_add_f64 v[2:3], v[2:3], v[80:81]
	v_add_f64 v[4:5], v[4:5], v[12:13]
	s_andn2_b64 exec, exec, s[0:1]
	s_cbranch_execnz .LBB85_48
; %bb.49:
	s_or_b64 exec, exec, s[0:1]
.LBB85_50:
	s_or_b64 exec, exec, s[8:9]
	v_mov_b32_e32 v6, 0
	ds_read_b128 v[10:13], v6 offset:240
	s_waitcnt lgkmcnt(0)
	v_mul_f64 v[6:7], v[4:5], v[12:13]
	v_mul_f64 v[82:83], v[2:3], v[12:13]
	v_fma_f64 v[80:81], v[2:3], v[10:11], -v[6:7]
	v_fmac_f64_e32 v[82:83], v[4:5], v[10:11]
	scratch_store_dwordx4 off, v[80:83], off offset:240
.LBB85_51:
	s_or_b64 exec, exec, s[4:5]
	scratch_load_dwordx4 v[2:5], v65, off
	v_cmp_lt_u32_e64 s[0:1], 14, v0
	s_waitcnt vmcnt(0)
	ds_write_b128 v9, v[2:5]
	s_waitcnt lgkmcnt(0)
	; wave barrier
	s_waitcnt lgkmcnt(0)
	s_and_saveexec_b64 s[4:5], s[0:1]
	s_cbranch_execz .LBB85_59
; %bb.52:
	ds_read_b128 v[2:5], v9
	s_andn2_b64 vcc, exec, s[6:7]
	s_cbranch_vccnz .LBB85_54
; %bb.53:
	scratch_load_dwordx4 v[10:13], v8, off
	s_waitcnt vmcnt(0) lgkmcnt(0)
	v_mul_f64 v[6:7], v[4:5], v[12:13]
	v_mul_f64 v[12:13], v[2:3], v[12:13]
	v_fmac_f64_e32 v[12:13], v[4:5], v[10:11]
	v_fma_f64 v[2:3], v[2:3], v[10:11], -v[6:7]
	v_mov_b64_e32 v[4:5], v[12:13]
.LBB85_54:
	s_and_saveexec_b64 s[8:9], s[2:3]
	s_cbranch_execz .LBB85_58
; %bb.55:
	v_mov_b32_e32 v7, 0
	v_add_u32_e32 v6, -15, v0
	v_add_u32_e32 v7, 0xf8, v7
	s_movk_i32 s10, 0x250
	s_mov_b64 s[2:3], 0
.LBB85_56:                              ; =>This Inner Loop Header: Depth=1
	v_add_u32_e32 v10, -8, v7
	scratch_load_dwordx4 v[10:13], v10, off
	v_mov_b32_e32 v79, s10
	ds_read_b128 v[80:83], v79
	v_add_u32_e32 v6, -1, v6
	s_add_i32 s10, s10, 16
	v_cmp_eq_u32_e32 vcc, 0, v6
	v_add_u32_e32 v7, 16, v7
	s_or_b64 s[2:3], vcc, s[2:3]
	s_waitcnt vmcnt(0) lgkmcnt(0)
	v_mul_f64 v[84:85], v[82:83], v[12:13]
	v_mul_f64 v[12:13], v[80:81], v[12:13]
	v_fma_f64 v[80:81], v[80:81], v[10:11], -v[84:85]
	v_fmac_f64_e32 v[12:13], v[82:83], v[10:11]
	v_add_f64 v[2:3], v[2:3], v[80:81]
	v_add_f64 v[4:5], v[4:5], v[12:13]
	s_andn2_b64 exec, exec, s[2:3]
	s_cbranch_execnz .LBB85_56
; %bb.57:
	s_or_b64 exec, exec, s[2:3]
.LBB85_58:
	s_or_b64 exec, exec, s[8:9]
	v_mov_b32_e32 v6, 0
	ds_read_b128 v[10:13], v6 offset:224
	s_waitcnt lgkmcnt(0)
	v_mul_f64 v[6:7], v[4:5], v[12:13]
	v_mul_f64 v[82:83], v[2:3], v[12:13]
	v_fma_f64 v[80:81], v[2:3], v[10:11], -v[6:7]
	v_fmac_f64_e32 v[82:83], v[4:5], v[10:11]
	scratch_store_dwordx4 off, v[80:83], off offset:224
.LBB85_59:
	;; [unrolled: 63-line block ×7, first 2 shown]
	s_or_b64 exec, exec, s[4:5]
	scratch_load_dwordx4 v[2:5], v70, off
	v_cmp_lt_u32_e64 s[0:1], 8, v0
	s_waitcnt vmcnt(0)
	ds_write_b128 v9, v[2:5]
	s_waitcnt lgkmcnt(0)
	; wave barrier
	s_waitcnt lgkmcnt(0)
	s_and_saveexec_b64 s[4:5], s[0:1]
	s_cbranch_execz .LBB85_107
; %bb.100:
	ds_read_b128 v[2:5], v9
	s_andn2_b64 vcc, exec, s[6:7]
	s_cbranch_vccnz .LBB85_102
; %bb.101:
	scratch_load_dwordx4 v[10:13], v8, off
	s_waitcnt vmcnt(0) lgkmcnt(0)
	v_mul_f64 v[6:7], v[4:5], v[12:13]
	v_mul_f64 v[12:13], v[2:3], v[12:13]
	v_fmac_f64_e32 v[12:13], v[4:5], v[10:11]
	v_fma_f64 v[2:3], v[2:3], v[10:11], -v[6:7]
	v_mov_b64_e32 v[4:5], v[12:13]
.LBB85_102:
	s_and_saveexec_b64 s[8:9], s[2:3]
	s_cbranch_execz .LBB85_106
; %bb.103:
	v_mov_b32_e32 v7, 0
	v_add_u32_e32 v6, -9, v0
	v_add_u32_e32 v7, 0x98, v7
	s_movk_i32 s10, 0x1f0
	s_mov_b64 s[2:3], 0
.LBB85_104:                             ; =>This Inner Loop Header: Depth=1
	v_add_u32_e32 v10, -8, v7
	scratch_load_dwordx4 v[10:13], v10, off
	v_mov_b32_e32 v79, s10
	ds_read_b128 v[80:83], v79
	v_add_u32_e32 v6, -1, v6
	s_add_i32 s10, s10, 16
	v_cmp_eq_u32_e32 vcc, 0, v6
	v_add_u32_e32 v7, 16, v7
	s_or_b64 s[2:3], vcc, s[2:3]
	s_waitcnt vmcnt(0) lgkmcnt(0)
	v_mul_f64 v[84:85], v[82:83], v[12:13]
	v_mul_f64 v[12:13], v[80:81], v[12:13]
	v_fma_f64 v[80:81], v[80:81], v[10:11], -v[84:85]
	v_fmac_f64_e32 v[12:13], v[82:83], v[10:11]
	v_add_f64 v[2:3], v[2:3], v[80:81]
	v_add_f64 v[4:5], v[4:5], v[12:13]
	s_andn2_b64 exec, exec, s[2:3]
	s_cbranch_execnz .LBB85_104
; %bb.105:
	s_or_b64 exec, exec, s[2:3]
.LBB85_106:
	s_or_b64 exec, exec, s[8:9]
	v_mov_b32_e32 v6, 0
	ds_read_b128 v[10:13], v6 offset:128
	s_waitcnt lgkmcnt(0)
	v_mul_f64 v[6:7], v[4:5], v[12:13]
	v_mul_f64 v[82:83], v[2:3], v[12:13]
	v_fma_f64 v[80:81], v[2:3], v[10:11], -v[6:7]
	v_fmac_f64_e32 v[82:83], v[4:5], v[10:11]
	scratch_store_dwordx4 off, v[80:83], off offset:128
.LBB85_107:
	s_or_b64 exec, exec, s[4:5]
	scratch_load_dwordx4 v[2:5], v78, off
	v_cmp_lt_u32_e64 s[2:3], 7, v0
	s_waitcnt vmcnt(0)
	ds_write_b128 v9, v[2:5]
	s_waitcnt lgkmcnt(0)
	; wave barrier
	s_waitcnt lgkmcnt(0)
	s_and_saveexec_b64 s[4:5], s[2:3]
	s_cbranch_execz .LBB85_115
; %bb.108:
	ds_read_b128 v[2:5], v9
	s_andn2_b64 vcc, exec, s[6:7]
	s_cbranch_vccnz .LBB85_110
; %bb.109:
	scratch_load_dwordx4 v[10:13], v8, off
	s_waitcnt vmcnt(0) lgkmcnt(0)
	v_mul_f64 v[6:7], v[4:5], v[12:13]
	v_mul_f64 v[12:13], v[2:3], v[12:13]
	v_fmac_f64_e32 v[12:13], v[4:5], v[10:11]
	v_fma_f64 v[2:3], v[2:3], v[10:11], -v[6:7]
	v_mov_b64_e32 v[4:5], v[12:13]
.LBB85_110:
	s_and_saveexec_b64 s[8:9], s[0:1]
	s_cbranch_execz .LBB85_114
; %bb.111:
	v_mov_b32_e32 v7, 0
	v_add_u32_e32 v6, -8, v0
	v_add_u32_e32 v7, 0x88, v7
	s_movk_i32 s10, 0x1e0
	s_mov_b64 s[0:1], 0
.LBB85_112:                             ; =>This Inner Loop Header: Depth=1
	v_add_u32_e32 v10, -8, v7
	scratch_load_dwordx4 v[10:13], v10, off
	v_mov_b32_e32 v79, s10
	ds_read_b128 v[80:83], v79
	v_add_u32_e32 v6, -1, v6
	s_add_i32 s10, s10, 16
	v_cmp_eq_u32_e32 vcc, 0, v6
	v_add_u32_e32 v7, 16, v7
	s_or_b64 s[0:1], vcc, s[0:1]
	s_waitcnt vmcnt(0) lgkmcnt(0)
	v_mul_f64 v[84:85], v[82:83], v[12:13]
	v_mul_f64 v[12:13], v[80:81], v[12:13]
	v_fma_f64 v[80:81], v[80:81], v[10:11], -v[84:85]
	v_fmac_f64_e32 v[12:13], v[82:83], v[10:11]
	v_add_f64 v[2:3], v[2:3], v[80:81]
	v_add_f64 v[4:5], v[4:5], v[12:13]
	s_andn2_b64 exec, exec, s[0:1]
	s_cbranch_execnz .LBB85_112
; %bb.113:
	s_or_b64 exec, exec, s[0:1]
.LBB85_114:
	s_or_b64 exec, exec, s[8:9]
	v_mov_b32_e32 v6, 0
	ds_read_b128 v[10:13], v6 offset:112
	s_waitcnt lgkmcnt(0)
	v_mul_f64 v[6:7], v[4:5], v[12:13]
	v_mul_f64 v[82:83], v[2:3], v[12:13]
	v_fma_f64 v[80:81], v[2:3], v[10:11], -v[6:7]
	v_fmac_f64_e32 v[82:83], v[4:5], v[10:11]
	scratch_store_dwordx4 off, v[80:83], off offset:112
.LBB85_115:
	;; [unrolled: 63-line block ×8, first 2 shown]
	s_or_b64 exec, exec, s[2:3]
	scratch_load_dwordx4 v[2:5], off, off
	v_cmp_ne_u32_e32 vcc, 0, v0
	s_mov_b64 s[2:3], 0
	s_mov_b64 s[4:5], 0
                                        ; implicit-def: $vgpr6_vgpr7
                                        ; implicit-def: $vgpr10
	s_waitcnt vmcnt(0)
	ds_write_b128 v9, v[2:5]
	s_waitcnt lgkmcnt(0)
	; wave barrier
	s_waitcnt lgkmcnt(0)
	s_and_saveexec_b64 s[8:9], vcc
	s_cbranch_execz .LBB85_171
; %bb.164:
	ds_read_b128 v[2:5], v9
	s_andn2_b64 vcc, exec, s[6:7]
	s_cbranch_vccnz .LBB85_166
; %bb.165:
	scratch_load_dwordx4 v[10:13], v8, off
	s_waitcnt vmcnt(0) lgkmcnt(0)
	v_mul_f64 v[6:7], v[4:5], v[12:13]
	v_mul_f64 v[12:13], v[2:3], v[12:13]
	v_fmac_f64_e32 v[12:13], v[4:5], v[10:11]
	v_fma_f64 v[2:3], v[2:3], v[10:11], -v[6:7]
	v_mov_b64_e32 v[4:5], v[12:13]
.LBB85_166:
	s_and_saveexec_b64 s[4:5], s[0:1]
	s_cbranch_execz .LBB85_170
; %bb.167:
	v_mov_b32_e32 v7, 0
	v_add_u32_e32 v6, -1, v0
	v_add_u32_e32 v7, 24, v7
	s_movk_i32 s10, 0x170
	s_mov_b64 s[0:1], 0
.LBB85_168:                             ; =>This Inner Loop Header: Depth=1
	v_add_u32_e32 v10, -8, v7
	scratch_load_dwordx4 v[10:13], v10, off
	v_mov_b32_e32 v79, s10
	ds_read_b128 v[80:83], v79
	v_add_u32_e32 v6, -1, v6
	s_add_i32 s10, s10, 16
	v_cmp_eq_u32_e32 vcc, 0, v6
	v_add_u32_e32 v7, 16, v7
	s_or_b64 s[0:1], vcc, s[0:1]
	s_waitcnt vmcnt(0) lgkmcnt(0)
	v_mul_f64 v[84:85], v[82:83], v[12:13]
	v_mul_f64 v[12:13], v[80:81], v[12:13]
	v_fma_f64 v[80:81], v[80:81], v[10:11], -v[84:85]
	v_fmac_f64_e32 v[12:13], v[82:83], v[10:11]
	v_add_f64 v[2:3], v[2:3], v[80:81]
	v_add_f64 v[4:5], v[4:5], v[12:13]
	s_andn2_b64 exec, exec, s[0:1]
	s_cbranch_execnz .LBB85_168
; %bb.169:
	s_or_b64 exec, exec, s[0:1]
.LBB85_170:
	s_or_b64 exec, exec, s[4:5]
	v_mov_b32_e32 v6, 0
	ds_read_b128 v[80:83], v6
	v_mov_b32_e32 v6, 0
	v_or_b32_e32 v10, 8, v6
	s_mov_b64 s[4:5], exec
	s_waitcnt lgkmcnt(0)
	v_mul_f64 v[12:13], v[4:5], v[82:83]
	v_mul_f64 v[6:7], v[2:3], v[82:83]
	v_fma_f64 v[2:3], v[2:3], v[80:81], -v[12:13]
	v_fmac_f64_e32 v[6:7], v[4:5], v[80:81]
	scratch_store_dwordx2 off, v[2:3], off
.LBB85_171:
	s_or_b64 exec, exec, s[8:9]
	s_and_b64 vcc, exec, s[2:3]
	s_cbranch_vccnz .LBB85_173
	s_branch .LBB85_336
.LBB85_172:
	s_mov_b64 s[4:5], 0
                                        ; implicit-def: $vgpr6_vgpr7
                                        ; implicit-def: $vgpr10
	s_cbranch_execz .LBB85_336
.LBB85_173:
	scratch_load_dwordx4 v[2:5], v71, off
	v_cndmask_b32_e64 v6, 0, 1, s[6:7]
	v_cmp_eq_u32_e64 s[2:3], 0, v0
	v_cmp_ne_u32_e64 s[0:1], 1, v6
	s_waitcnt vmcnt(0)
	ds_write_b128 v9, v[2:5]
	s_waitcnt lgkmcnt(0)
	; wave barrier
	s_waitcnt lgkmcnt(0)
	s_and_saveexec_b64 s[6:7], s[2:3]
	s_cbranch_execz .LBB85_177
; %bb.174:
	ds_read_b128 v[2:5], v9
	s_and_b64 vcc, exec, s[0:1]
	s_cbranch_vccnz .LBB85_176
; %bb.175:
	scratch_load_dwordx4 v[10:13], v8, off
	s_waitcnt vmcnt(0) lgkmcnt(0)
	v_mul_f64 v[6:7], v[4:5], v[12:13]
	v_mul_f64 v[12:13], v[2:3], v[12:13]
	v_fmac_f64_e32 v[12:13], v[4:5], v[10:11]
	v_fma_f64 v[2:3], v[2:3], v[10:11], -v[6:7]
	v_mov_b64_e32 v[4:5], v[12:13]
.LBB85_176:
	v_mov_b32_e32 v6, 0
	ds_read_b128 v[10:13], v6 offset:16
	s_waitcnt lgkmcnt(0)
	v_mul_f64 v[6:7], v[4:5], v[12:13]
	v_mul_f64 v[82:83], v[2:3], v[12:13]
	v_fma_f64 v[80:81], v[2:3], v[10:11], -v[6:7]
	v_fmac_f64_e32 v[82:83], v[4:5], v[10:11]
	scratch_store_dwordx4 off, v[80:83], off offset:16
.LBB85_177:
	s_or_b64 exec, exec, s[6:7]
	scratch_load_dwordx4 v[2:5], v74, off
	v_cmp_gt_u32_e32 vcc, 2, v0
	s_waitcnt vmcnt(0)
	ds_write_b128 v9, v[2:5]
	s_waitcnt lgkmcnt(0)
	; wave barrier
	s_waitcnt lgkmcnt(0)
	s_and_saveexec_b64 s[6:7], vcc
	s_cbranch_execz .LBB85_183
; %bb.178:
	ds_read_b128 v[2:5], v9
	s_and_b64 vcc, exec, s[0:1]
	s_cbranch_vccnz .LBB85_180
; %bb.179:
	scratch_load_dwordx4 v[10:13], v8, off
	s_waitcnt vmcnt(0) lgkmcnt(0)
	v_mul_f64 v[6:7], v[4:5], v[12:13]
	v_mul_f64 v[12:13], v[2:3], v[12:13]
	v_fmac_f64_e32 v[12:13], v[4:5], v[10:11]
	v_fma_f64 v[2:3], v[2:3], v[10:11], -v[6:7]
	v_mov_b64_e32 v[4:5], v[12:13]
.LBB85_180:
	s_and_saveexec_b64 s[8:9], s[2:3]
	s_cbranch_execz .LBB85_182
; %bb.181:
	scratch_load_dwordx4 v[10:13], v8, off offset:16
	ds_read_b128 v[80:83], v9 offset:16
	s_waitcnt vmcnt(0) lgkmcnt(0)
	v_mul_f64 v[6:7], v[82:83], v[12:13]
	v_mul_f64 v[12:13], v[80:81], v[12:13]
	v_fma_f64 v[6:7], v[80:81], v[10:11], -v[6:7]
	v_fmac_f64_e32 v[12:13], v[82:83], v[10:11]
	v_add_f64 v[2:3], v[2:3], v[6:7]
	v_add_f64 v[4:5], v[4:5], v[12:13]
.LBB85_182:
	s_or_b64 exec, exec, s[8:9]
	v_mov_b32_e32 v6, 0
	ds_read_b128 v[10:13], v6 offset:32
	s_waitcnt lgkmcnt(0)
	v_mul_f64 v[6:7], v[4:5], v[12:13]
	v_mul_f64 v[82:83], v[2:3], v[12:13]
	v_fma_f64 v[80:81], v[2:3], v[10:11], -v[6:7]
	v_fmac_f64_e32 v[82:83], v[4:5], v[10:11]
	scratch_store_dwordx4 off, v[80:83], off offset:32
.LBB85_183:
	s_or_b64 exec, exec, s[6:7]
	scratch_load_dwordx4 v[2:5], v73, off
	v_cmp_gt_u32_e32 vcc, 3, v0
	s_waitcnt vmcnt(0)
	ds_write_b128 v9, v[2:5]
	s_waitcnt lgkmcnt(0)
	; wave barrier
	s_waitcnt lgkmcnt(0)
	s_and_saveexec_b64 s[6:7], vcc
	s_cbranch_execz .LBB85_191
; %bb.184:
	ds_read_b128 v[2:5], v9
	s_and_b64 vcc, exec, s[0:1]
	s_cbranch_vccnz .LBB85_186
; %bb.185:
	scratch_load_dwordx4 v[10:13], v8, off
	s_waitcnt vmcnt(0) lgkmcnt(0)
	v_mul_f64 v[6:7], v[4:5], v[12:13]
	v_mul_f64 v[12:13], v[2:3], v[12:13]
	v_fmac_f64_e32 v[12:13], v[4:5], v[10:11]
	v_fma_f64 v[2:3], v[2:3], v[10:11], -v[6:7]
	v_mov_b64_e32 v[4:5], v[12:13]
.LBB85_186:
	v_cmp_ne_u32_e32 vcc, 2, v0
	s_and_saveexec_b64 s[8:9], vcc
	s_cbranch_execz .LBB85_190
; %bb.187:
	scratch_load_dwordx4 v[10:13], v8, off offset:16
	ds_read_b128 v[80:83], v9 offset:16
	s_waitcnt vmcnt(0) lgkmcnt(0)
	v_mul_f64 v[6:7], v[82:83], v[12:13]
	v_mul_f64 v[12:13], v[80:81], v[12:13]
	v_fma_f64 v[6:7], v[80:81], v[10:11], -v[6:7]
	v_fmac_f64_e32 v[12:13], v[82:83], v[10:11]
	v_add_f64 v[2:3], v[2:3], v[6:7]
	v_add_f64 v[4:5], v[4:5], v[12:13]
	s_and_saveexec_b64 s[10:11], s[2:3]
	s_cbranch_execz .LBB85_189
; %bb.188:
	scratch_load_dwordx4 v[10:13], off, off offset:32
	v_mov_b32_e32 v6, 0
	ds_read_b128 v[80:83], v6 offset:384
	s_waitcnt vmcnt(0) lgkmcnt(0)
	v_mul_f64 v[6:7], v[80:81], v[12:13]
	v_mul_f64 v[12:13], v[82:83], v[12:13]
	v_fmac_f64_e32 v[6:7], v[82:83], v[10:11]
	v_fma_f64 v[10:11], v[80:81], v[10:11], -v[12:13]
	v_add_f64 v[4:5], v[4:5], v[6:7]
	v_add_f64 v[2:3], v[2:3], v[10:11]
.LBB85_189:
	s_or_b64 exec, exec, s[10:11]
.LBB85_190:
	s_or_b64 exec, exec, s[8:9]
	v_mov_b32_e32 v6, 0
	ds_read_b128 v[10:13], v6 offset:48
	s_waitcnt lgkmcnt(0)
	v_mul_f64 v[6:7], v[4:5], v[12:13]
	v_mul_f64 v[82:83], v[2:3], v[12:13]
	v_fma_f64 v[80:81], v[2:3], v[10:11], -v[6:7]
	v_fmac_f64_e32 v[82:83], v[4:5], v[10:11]
	scratch_store_dwordx4 off, v[80:83], off offset:48
.LBB85_191:
	s_or_b64 exec, exec, s[6:7]
	scratch_load_dwordx4 v[2:5], v75, off
	v_cmp_gt_u32_e32 vcc, 4, v0
	s_waitcnt vmcnt(0)
	ds_write_b128 v9, v[2:5]
	s_waitcnt lgkmcnt(0)
	; wave barrier
	s_waitcnt lgkmcnt(0)
	s_and_saveexec_b64 s[2:3], vcc
	s_cbranch_execz .LBB85_199
; %bb.192:
	ds_read_b128 v[2:5], v9
	s_and_b64 vcc, exec, s[0:1]
	s_cbranch_vccnz .LBB85_194
; %bb.193:
	scratch_load_dwordx4 v[10:13], v8, off
	s_waitcnt vmcnt(0) lgkmcnt(0)
	v_mul_f64 v[6:7], v[4:5], v[12:13]
	v_mul_f64 v[12:13], v[2:3], v[12:13]
	v_fmac_f64_e32 v[12:13], v[4:5], v[10:11]
	v_fma_f64 v[2:3], v[2:3], v[10:11], -v[6:7]
	v_mov_b64_e32 v[4:5], v[12:13]
.LBB85_194:
	v_cmp_ne_u32_e32 vcc, 3, v0
	s_and_saveexec_b64 s[6:7], vcc
	s_cbranch_execz .LBB85_198
; %bb.195:
	v_mov_b32_e32 v7, 0
	v_add_u32_e32 v6, 0x170, v32
	v_add3_u32 v7, v32, v7, 24
	s_mov_b64 s[8:9], 0
	v_mov_b32_e32 v10, v0
.LBB85_196:                             ; =>This Inner Loop Header: Depth=1
	v_add_u32_e32 v11, -8, v7
	scratch_load_dwordx4 v[80:83], v11, off
	ds_read_b128 v[84:87], v6
	v_add_u32_e32 v10, 1, v10
	v_cmp_lt_u32_e32 vcc, 2, v10
	v_add_u32_e32 v6, 16, v6
	v_add_u32_e32 v7, 16, v7
	s_or_b64 s[8:9], vcc, s[8:9]
	s_waitcnt vmcnt(0) lgkmcnt(0)
	v_mul_f64 v[12:13], v[86:87], v[82:83]
	v_mul_f64 v[82:83], v[84:85], v[82:83]
	v_fma_f64 v[12:13], v[84:85], v[80:81], -v[12:13]
	v_fmac_f64_e32 v[82:83], v[86:87], v[80:81]
	v_add_f64 v[2:3], v[2:3], v[12:13]
	v_add_f64 v[4:5], v[4:5], v[82:83]
	s_andn2_b64 exec, exec, s[8:9]
	s_cbranch_execnz .LBB85_196
; %bb.197:
	s_or_b64 exec, exec, s[8:9]
.LBB85_198:
	s_or_b64 exec, exec, s[6:7]
	v_mov_b32_e32 v6, 0
	ds_read_b128 v[10:13], v6 offset:64
	s_waitcnt lgkmcnt(0)
	v_mul_f64 v[6:7], v[4:5], v[12:13]
	v_mul_f64 v[82:83], v[2:3], v[12:13]
	v_fma_f64 v[80:81], v[2:3], v[10:11], -v[6:7]
	v_fmac_f64_e32 v[82:83], v[4:5], v[10:11]
	scratch_store_dwordx4 off, v[80:83], off offset:64
.LBB85_199:
	s_or_b64 exec, exec, s[2:3]
	scratch_load_dwordx4 v[2:5], v77, off
	v_cmp_gt_u32_e32 vcc, 5, v0
	s_waitcnt vmcnt(0)
	ds_write_b128 v9, v[2:5]
	s_waitcnt lgkmcnt(0)
	; wave barrier
	s_waitcnt lgkmcnt(0)
	s_and_saveexec_b64 s[2:3], vcc
	s_cbranch_execz .LBB85_207
; %bb.200:
	ds_read_b128 v[2:5], v9
	s_and_b64 vcc, exec, s[0:1]
	s_cbranch_vccnz .LBB85_202
; %bb.201:
	scratch_load_dwordx4 v[10:13], v8, off
	s_waitcnt vmcnt(0) lgkmcnt(0)
	v_mul_f64 v[6:7], v[4:5], v[12:13]
	v_mul_f64 v[12:13], v[2:3], v[12:13]
	v_fmac_f64_e32 v[12:13], v[4:5], v[10:11]
	v_fma_f64 v[2:3], v[2:3], v[10:11], -v[6:7]
	v_mov_b64_e32 v[4:5], v[12:13]
.LBB85_202:
	v_cmp_ne_u32_e32 vcc, 4, v0
	s_and_saveexec_b64 s[6:7], vcc
	s_cbranch_execz .LBB85_206
; %bb.203:
	v_mov_b32_e32 v7, 0
	v_add_u32_e32 v6, 0x170, v32
	v_add3_u32 v7, v32, v7, 24
	s_mov_b64 s[8:9], 0
	v_mov_b32_e32 v10, v0
.LBB85_204:                             ; =>This Inner Loop Header: Depth=1
	v_add_u32_e32 v11, -8, v7
	scratch_load_dwordx4 v[80:83], v11, off
	ds_read_b128 v[84:87], v6
	v_add_u32_e32 v10, 1, v10
	v_cmp_lt_u32_e32 vcc, 3, v10
	v_add_u32_e32 v6, 16, v6
	v_add_u32_e32 v7, 16, v7
	s_or_b64 s[8:9], vcc, s[8:9]
	s_waitcnt vmcnt(0) lgkmcnt(0)
	v_mul_f64 v[12:13], v[86:87], v[82:83]
	v_mul_f64 v[82:83], v[84:85], v[82:83]
	v_fma_f64 v[12:13], v[84:85], v[80:81], -v[12:13]
	v_fmac_f64_e32 v[82:83], v[86:87], v[80:81]
	v_add_f64 v[2:3], v[2:3], v[12:13]
	v_add_f64 v[4:5], v[4:5], v[82:83]
	s_andn2_b64 exec, exec, s[8:9]
	s_cbranch_execnz .LBB85_204
; %bb.205:
	s_or_b64 exec, exec, s[8:9]
.LBB85_206:
	s_or_b64 exec, exec, s[6:7]
	v_mov_b32_e32 v6, 0
	ds_read_b128 v[10:13], v6 offset:80
	s_waitcnt lgkmcnt(0)
	v_mul_f64 v[6:7], v[4:5], v[12:13]
	v_mul_f64 v[82:83], v[2:3], v[12:13]
	v_fma_f64 v[80:81], v[2:3], v[10:11], -v[6:7]
	v_fmac_f64_e32 v[82:83], v[4:5], v[10:11]
	scratch_store_dwordx4 off, v[80:83], off offset:80
.LBB85_207:
	;; [unrolled: 63-line block ×16, first 2 shown]
	s_or_b64 exec, exec, s[2:3]
	scratch_load_dwordx4 v[2:5], v1, off
	v_cmp_gt_u32_e64 s[2:3], 20, v0
	s_waitcnt vmcnt(0)
	ds_write_b128 v9, v[2:5]
	s_waitcnt lgkmcnt(0)
	; wave barrier
	s_waitcnt lgkmcnt(0)
	s_and_saveexec_b64 s[6:7], s[2:3]
	s_cbranch_execz .LBB85_327
; %bb.320:
	ds_read_b128 v[2:5], v9
	s_and_b64 vcc, exec, s[0:1]
	s_cbranch_vccnz .LBB85_322
; %bb.321:
	scratch_load_dwordx4 v[10:13], v8, off
	s_waitcnt vmcnt(0) lgkmcnt(0)
	v_mul_f64 v[6:7], v[4:5], v[12:13]
	v_mul_f64 v[12:13], v[2:3], v[12:13]
	v_fmac_f64_e32 v[12:13], v[4:5], v[10:11]
	v_fma_f64 v[2:3], v[2:3], v[10:11], -v[6:7]
	v_mov_b64_e32 v[4:5], v[12:13]
.LBB85_322:
	v_cmp_ne_u32_e32 vcc, 19, v0
	s_and_saveexec_b64 s[8:9], vcc
	s_cbranch_execz .LBB85_326
; %bb.323:
	v_mov_b32_e32 v7, 0
	v_add_u32_e32 v6, 0x170, v32
	v_add3_u32 v7, v32, v7, 24
	s_mov_b64 s[10:11], 0
	v_mov_b32_e32 v10, v0
.LBB85_324:                             ; =>This Inner Loop Header: Depth=1
	v_add_u32_e32 v11, -8, v7
	scratch_load_dwordx4 v[80:83], v11, off
	ds_read_b128 v[84:87], v6
	v_add_u32_e32 v10, 1, v10
	v_cmp_lt_u32_e32 vcc, 18, v10
	v_add_u32_e32 v6, 16, v6
	v_add_u32_e32 v7, 16, v7
	s_or_b64 s[10:11], vcc, s[10:11]
	s_waitcnt vmcnt(0) lgkmcnt(0)
	v_mul_f64 v[12:13], v[86:87], v[82:83]
	v_mul_f64 v[82:83], v[84:85], v[82:83]
	v_fma_f64 v[12:13], v[84:85], v[80:81], -v[12:13]
	v_fmac_f64_e32 v[82:83], v[86:87], v[80:81]
	v_add_f64 v[2:3], v[2:3], v[12:13]
	v_add_f64 v[4:5], v[4:5], v[82:83]
	s_andn2_b64 exec, exec, s[10:11]
	s_cbranch_execnz .LBB85_324
; %bb.325:
	s_or_b64 exec, exec, s[10:11]
.LBB85_326:
	s_or_b64 exec, exec, s[8:9]
	v_mov_b32_e32 v6, 0
	ds_read_b128 v[10:13], v6 offset:320
	s_waitcnt lgkmcnt(0)
	v_mul_f64 v[6:7], v[4:5], v[12:13]
	v_mul_f64 v[82:83], v[2:3], v[12:13]
	v_fma_f64 v[80:81], v[2:3], v[10:11], -v[6:7]
	v_fmac_f64_e32 v[82:83], v[4:5], v[10:11]
	scratch_store_dwordx4 off, v[80:83], off offset:320
.LBB85_327:
	s_or_b64 exec, exec, s[6:7]
	scratch_load_dwordx4 v[2:5], v33, off
	v_cmp_ne_u32_e32 vcc, 21, v0
                                        ; implicit-def: $vgpr6_vgpr7
                                        ; implicit-def: $vgpr10
	s_waitcnt vmcnt(0)
	ds_write_b128 v9, v[2:5]
	s_waitcnt lgkmcnt(0)
	; wave barrier
	s_waitcnt lgkmcnt(0)
	s_and_saveexec_b64 s[6:7], vcc
	s_cbranch_execz .LBB85_335
; %bb.328:
	ds_read_b128 v[2:5], v9
	s_and_b64 vcc, exec, s[0:1]
	s_cbranch_vccnz .LBB85_330
; %bb.329:
	scratch_load_dwordx4 v[6:9], v8, off
	s_waitcnt vmcnt(0) lgkmcnt(0)
	v_mul_f64 v[10:11], v[4:5], v[8:9]
	v_mul_f64 v[8:9], v[2:3], v[8:9]
	v_fmac_f64_e32 v[8:9], v[4:5], v[6:7]
	v_fma_f64 v[2:3], v[2:3], v[6:7], -v[10:11]
	v_mov_b64_e32 v[4:5], v[8:9]
.LBB85_330:
	s_and_saveexec_b64 s[0:1], s[2:3]
	s_cbranch_execz .LBB85_334
; %bb.331:
	v_mov_b32_e32 v7, 0
	v_add_u32_e32 v6, 0x170, v32
	v_add3_u32 v7, v32, v7, 24
	s_mov_b64 s[2:3], 0
.LBB85_332:                             ; =>This Inner Loop Header: Depth=1
	v_add_u32_e32 v8, -8, v7
	scratch_load_dwordx4 v[8:11], v8, off
	ds_read_b128 v[80:83], v6
	v_add_u32_e32 v0, 1, v0
	v_cmp_lt_u32_e32 vcc, 19, v0
	v_add_u32_e32 v6, 16, v6
	v_add_u32_e32 v7, 16, v7
	s_or_b64 s[2:3], vcc, s[2:3]
	s_waitcnt vmcnt(0) lgkmcnt(0)
	v_mul_f64 v[12:13], v[82:83], v[10:11]
	v_mul_f64 v[10:11], v[80:81], v[10:11]
	v_fma_f64 v[12:13], v[80:81], v[8:9], -v[12:13]
	v_fmac_f64_e32 v[10:11], v[82:83], v[8:9]
	v_add_f64 v[2:3], v[2:3], v[12:13]
	v_add_f64 v[4:5], v[4:5], v[10:11]
	s_andn2_b64 exec, exec, s[2:3]
	s_cbranch_execnz .LBB85_332
; %bb.333:
	s_or_b64 exec, exec, s[2:3]
.LBB85_334:
	s_or_b64 exec, exec, s[0:1]
	v_mov_b32_e32 v0, 0
	ds_read_b128 v[80:83], v0 offset:336
	v_mov_b32_e32 v0, 0
	v_add_u32_e32 v10, 0x158, v0
	s_or_b64 s[4:5], s[4:5], exec
	s_waitcnt lgkmcnt(0)
	v_mul_f64 v[8:9], v[4:5], v[82:83]
	v_mul_f64 v[6:7], v[2:3], v[82:83]
	v_fma_f64 v[2:3], v[2:3], v[80:81], -v[8:9]
	v_fmac_f64_e32 v[6:7], v[4:5], v[80:81]
	scratch_store_dwordx2 off, v[2:3], off offset:336
.LBB85_335:
	s_or_b64 exec, exec, s[6:7]
.LBB85_336:
	s_and_saveexec_b64 s[0:1], s[4:5]
	s_cbranch_execz .LBB85_338
; %bb.337:
	scratch_store_dwordx2 v10, v[6:7], off
.LBB85_338:
	s_or_b64 exec, exec, s[0:1]
	scratch_load_dwordx4 v[2:5], off, off
	scratch_load_dwordx4 v[6:9], v71, off
	scratch_load_dwordx4 v[10:13], v74, off
	;; [unrolled: 1-line block ×7, first 2 shown]
	s_waitcnt vmcnt(7)
	global_store_dwordx4 v[18:19], v[2:5], off
	scratch_load_dwordx4 v[2:5], v70, off
	s_nop 0
	scratch_load_dwordx4 v[74:77], v72, off
	s_waitcnt vmcnt(9)
	global_store_dwordx4 v[14:15], v[6:9], off
	scratch_load_dwordx4 v[6:9], v68, off
	s_nop 0
	scratch_load_dwordx4 v[70:73], v69, off
	;; [unrolled: 5-line block ×7, first 2 shown]
	s_waitcnt vmcnt(21)
	global_store_dwordx4 v[24:25], v[96:99], off
	s_waitcnt vmcnt(20)
	global_store_dwordx4 v[28:29], v[2:5], off
	;; [unrolled: 2-line block ×15, first 2 shown]
.LBB85_339:
	s_endpgm
	.section	.rodata,"a",@progbits
	.p2align	6, 0x0
	.amdhsa_kernel _ZN9rocsolver6v33100L18trti2_kernel_smallILi22E19rocblas_complex_numIdEPKPS3_EEv13rocblas_fill_17rocblas_diagonal_T1_iil
		.amdhsa_group_segment_fixed_size 704
		.amdhsa_private_segment_fixed_size 368
		.amdhsa_kernarg_size 32
		.amdhsa_user_sgpr_count 2
		.amdhsa_user_sgpr_dispatch_ptr 0
		.amdhsa_user_sgpr_queue_ptr 0
		.amdhsa_user_sgpr_kernarg_segment_ptr 1
		.amdhsa_user_sgpr_dispatch_id 0
		.amdhsa_user_sgpr_kernarg_preload_length 0
		.amdhsa_user_sgpr_kernarg_preload_offset 0
		.amdhsa_user_sgpr_private_segment_size 0
		.amdhsa_uses_dynamic_stack 0
		.amdhsa_enable_private_segment 1
		.amdhsa_system_sgpr_workgroup_id_x 1
		.amdhsa_system_sgpr_workgroup_id_y 0
		.amdhsa_system_sgpr_workgroup_id_z 0
		.amdhsa_system_sgpr_workgroup_info 0
		.amdhsa_system_vgpr_workitem_id 0
		.amdhsa_next_free_vgpr 104
		.amdhsa_next_free_sgpr 12
		.amdhsa_accum_offset 104
		.amdhsa_reserve_vcc 1
		.amdhsa_float_round_mode_32 0
		.amdhsa_float_round_mode_16_64 0
		.amdhsa_float_denorm_mode_32 3
		.amdhsa_float_denorm_mode_16_64 3
		.amdhsa_dx10_clamp 1
		.amdhsa_ieee_mode 1
		.amdhsa_fp16_overflow 0
		.amdhsa_tg_split 0
		.amdhsa_exception_fp_ieee_invalid_op 0
		.amdhsa_exception_fp_denorm_src 0
		.amdhsa_exception_fp_ieee_div_zero 0
		.amdhsa_exception_fp_ieee_overflow 0
		.amdhsa_exception_fp_ieee_underflow 0
		.amdhsa_exception_fp_ieee_inexact 0
		.amdhsa_exception_int_div_zero 0
	.end_amdhsa_kernel
	.section	.text._ZN9rocsolver6v33100L18trti2_kernel_smallILi22E19rocblas_complex_numIdEPKPS3_EEv13rocblas_fill_17rocblas_diagonal_T1_iil,"axG",@progbits,_ZN9rocsolver6v33100L18trti2_kernel_smallILi22E19rocblas_complex_numIdEPKPS3_EEv13rocblas_fill_17rocblas_diagonal_T1_iil,comdat
.Lfunc_end85:
	.size	_ZN9rocsolver6v33100L18trti2_kernel_smallILi22E19rocblas_complex_numIdEPKPS3_EEv13rocblas_fill_17rocblas_diagonal_T1_iil, .Lfunc_end85-_ZN9rocsolver6v33100L18trti2_kernel_smallILi22E19rocblas_complex_numIdEPKPS3_EEv13rocblas_fill_17rocblas_diagonal_T1_iil
                                        ; -- End function
	.section	.AMDGPU.csdata,"",@progbits
; Kernel info:
; codeLenInByte = 14344
; NumSgprs: 18
; NumVgprs: 104
; NumAgprs: 0
; TotalNumVgprs: 104
; ScratchSize: 368
; MemoryBound: 0
; FloatMode: 240
; IeeeMode: 1
; LDSByteSize: 704 bytes/workgroup (compile time only)
; SGPRBlocks: 2
; VGPRBlocks: 12
; NumSGPRsForWavesPerEU: 18
; NumVGPRsForWavesPerEU: 104
; AccumOffset: 104
; Occupancy: 4
; WaveLimiterHint : 1
; COMPUTE_PGM_RSRC2:SCRATCH_EN: 1
; COMPUTE_PGM_RSRC2:USER_SGPR: 2
; COMPUTE_PGM_RSRC2:TRAP_HANDLER: 0
; COMPUTE_PGM_RSRC2:TGID_X_EN: 1
; COMPUTE_PGM_RSRC2:TGID_Y_EN: 0
; COMPUTE_PGM_RSRC2:TGID_Z_EN: 0
; COMPUTE_PGM_RSRC2:TIDIG_COMP_CNT: 0
; COMPUTE_PGM_RSRC3_GFX90A:ACCUM_OFFSET: 25
; COMPUTE_PGM_RSRC3_GFX90A:TG_SPLIT: 0
	.section	.text._ZN9rocsolver6v33100L18trti2_kernel_smallILi23E19rocblas_complex_numIdEPKPS3_EEv13rocblas_fill_17rocblas_diagonal_T1_iil,"axG",@progbits,_ZN9rocsolver6v33100L18trti2_kernel_smallILi23E19rocblas_complex_numIdEPKPS3_EEv13rocblas_fill_17rocblas_diagonal_T1_iil,comdat
	.globl	_ZN9rocsolver6v33100L18trti2_kernel_smallILi23E19rocblas_complex_numIdEPKPS3_EEv13rocblas_fill_17rocblas_diagonal_T1_iil ; -- Begin function _ZN9rocsolver6v33100L18trti2_kernel_smallILi23E19rocblas_complex_numIdEPKPS3_EEv13rocblas_fill_17rocblas_diagonal_T1_iil
	.p2align	8
	.type	_ZN9rocsolver6v33100L18trti2_kernel_smallILi23E19rocblas_complex_numIdEPKPS3_EEv13rocblas_fill_17rocblas_diagonal_T1_iil,@function
_ZN9rocsolver6v33100L18trti2_kernel_smallILi23E19rocblas_complex_numIdEPKPS3_EEv13rocblas_fill_17rocblas_diagonal_T1_iil: ; @_ZN9rocsolver6v33100L18trti2_kernel_smallILi23E19rocblas_complex_numIdEPKPS3_EEv13rocblas_fill_17rocblas_diagonal_T1_iil
; %bb.0:
	v_cmp_gt_u32_e32 vcc, 23, v0
	s_and_saveexec_b64 s[4:5], vcc
	s_cbranch_execz .LBB86_355
; %bb.1:
	s_load_dwordx2 s[8:9], s[0:1], 0x10
	s_load_dwordx4 s[4:7], s[0:1], 0x0
	s_ashr_i32 s3, s2, 31
	s_lshl_b64 s[0:1], s[2:3], 3
	v_lshlrev_b32_e32 v56, 4, v0
	s_waitcnt lgkmcnt(0)
	s_ashr_i32 s3, s8, 31
	s_add_u32 s0, s6, s0
	s_addc_u32 s1, s7, s1
	s_load_dwordx2 s[0:1], s[0:1], 0x0
	s_mov_b32 s2, s8
	s_lshl_b64 s[2:3], s[2:3], 4
	v_mov_b32_e32 v57, 0
	s_waitcnt lgkmcnt(0)
	s_add_u32 s0, s0, s2
	s_addc_u32 s1, s1, s3
	v_lshl_add_u64 v[16:17], s[0:1], 0, v[56:57]
	s_ashr_i32 s3, s9, 31
	s_mov_b32 s2, s9
	v_lshl_add_u64 v[14:15], s[2:3], 4, v[16:17]
	s_add_i32 s2, s9, s9
	v_add_u32_e32 v20, s2, v0
	v_add_u32_e32 v22, s9, v20
	;; [unrolled: 1-line block ×6, first 2 shown]
	v_ashrrev_i32_e32 v21, 31, v20
	v_ashrrev_i32_e32 v23, 31, v22
	;; [unrolled: 1-line block ×6, first 2 shown]
	global_load_dwordx4 v[2:5], v56, s[0:1]
	v_lshl_add_u64 v[18:19], v[20:21], 4, s[0:1]
	v_lshl_add_u64 v[20:21], v[22:23], 4, s[0:1]
	;; [unrolled: 1-line block ×6, first 2 shown]
	v_add_u32_e32 v30, s9, v30
	global_load_dwordx4 v[6:9], v[14:15], off
	global_load_dwordx4 v[10:13], v[18:19], off
	;; [unrolled: 1-line block ×4, first 2 shown]
	v_add_u32_e32 v32, s9, v30
	v_add_u32_e32 v34, s9, v32
	global_load_dwordx4 v[58:61], v[24:25], off
	global_load_dwordx4 v[62:65], v[26:27], off
	v_add_u32_e32 v36, s9, v34
	v_ashrrev_i32_e32 v33, 31, v32
	v_ashrrev_i32_e32 v37, 31, v36
	v_add_u32_e32 v40, s9, v36
	v_ashrrev_i32_e32 v31, 31, v30
	v_lshl_add_u64 v[32:33], v[32:33], 4, s[0:1]
	v_ashrrev_i32_e32 v35, 31, v34
	v_lshl_add_u64 v[36:37], v[36:37], 4, s[0:1]
	;; [unrolled: 2-line block ×3, first 2 shown]
	global_load_dwordx4 v[66:69], v[28:29], off
	global_load_dwordx4 v[70:73], v[30:31], off
	v_lshl_add_u64 v[34:35], v[34:35], 4, s[0:1]
	global_load_dwordx4 v[74:77], v[32:33], off
	global_load_dwordx4 v[78:81], v[34:35], off
	v_lshl_add_u64 v[38:39], v[40:41], 4, s[0:1]
	global_load_dwordx4 v[82:85], v[36:37], off
	global_load_dwordx4 v[86:89], v[38:39], off
	v_add_u32_e32 v40, s9, v40
	v_add_u32_e32 v42, s9, v40
	v_add_u32_e32 v44, s9, v42
	v_add_u32_e32 v46, s9, v44
	v_ashrrev_i32_e32 v41, 31, v40
	v_add_u32_e32 v94, s9, v46
	v_lshl_add_u64 v[40:41], v[40:41], 4, s[0:1]
	v_ashrrev_i32_e32 v43, 31, v42
	v_ashrrev_i32_e32 v45, 31, v44
	v_add_u32_e32 v96, s9, v94
	v_lshl_add_u64 v[42:43], v[42:43], 4, s[0:1]
	v_lshl_add_u64 v[44:45], v[44:45], 4, s[0:1]
	v_ashrrev_i32_e32 v47, 31, v46
	v_lshl_add_u64 v[46:47], v[46:47], 4, s[0:1]
	v_ashrrev_i32_e32 v95, 31, v94
	v_ashrrev_i32_e32 v97, 31, v96
	s_cmpk_lg_i32 s5, 0x84
	s_cselect_b64 s[6:7], -1, 0
	s_cmpk_eq_i32 s5, 0x84
	s_waitcnt vmcnt(12)
	scratch_store_dwordx4 off, v[2:5], off
	s_waitcnt vmcnt(12)
	scratch_store_dwordx4 off, v[6:9], off offset:16
	global_load_dwordx4 v[2:5], v[40:41], off
	s_nop 0
	global_load_dwordx4 v[6:9], v[42:43], off
	s_waitcnt vmcnt(14)
	scratch_store_dwordx4 off, v[10:13], off offset:32
	s_waitcnt vmcnt(14)
	scratch_store_dwordx4 off, v[48:51], off offset:48
	;; [unrolled: 2-line block ×3, first 2 shown]
	global_load_dwordx4 v[10:13], v[44:45], off
	global_load_dwordx4 v[90:93], v[46:47], off
	v_add_u32_e32 v52, s9, v96
	s_waitcnt vmcnt(16)
	scratch_store_dwordx4 off, v[58:61], off offset:80
	v_lshl_add_u64 v[48:49], v[94:95], 4, s[0:1]
	v_ashrrev_i32_e32 v53, 31, v52
	v_add_u32_e32 v58, s9, v52
	v_add_u32_e32 v60, s9, v58
	v_ashrrev_i32_e32 v59, 31, v58
	v_ashrrev_i32_e32 v61, 31, v60
	s_waitcnt vmcnt(16)
	scratch_store_dwordx4 off, v[62:65], off offset:96
	s_waitcnt vmcnt(16)
	scratch_store_dwordx4 off, v[66:69], off offset:112
	v_lshl_add_u64 v[54:55], v[58:59], 4, s[0:1]
	v_lshl_add_u64 v[58:59], v[60:61], 4, s[0:1]
	v_add_u32_e32 v60, s9, v60
	v_lshl_add_u64 v[50:51], v[96:97], 4, s[0:1]
	global_load_dwordx4 v[62:65], v[48:49], off
	global_load_dwordx4 v[66:69], v[50:51], off
	v_lshl_add_u64 v[52:53], v[52:53], 4, s[0:1]
	s_waitcnt vmcnt(18)
	scratch_store_dwordx4 off, v[70:73], off offset:128
	s_waitcnt vmcnt(18)
	scratch_store_dwordx4 off, v[74:77], off offset:144
	;; [unrolled: 2-line block ×5, first 2 shown]
	v_ashrrev_i32_e32 v61, 31, v60
	global_load_dwordx4 v[70:73], v[52:53], off
	global_load_dwordx4 v[74:77], v[54:55], off
	v_lshl_add_u64 v[60:61], v[60:61], 4, s[0:1]
	global_load_dwordx4 v[78:81], v[58:59], off
	global_load_dwordx4 v[82:85], v[60:61], off
	s_waitcnt vmcnt(20)
	scratch_store_dwordx4 off, v[2:5], off offset:208
	s_waitcnt vmcnt(20)
	scratch_store_dwordx4 off, v[6:9], off offset:224
	;; [unrolled: 2-line block ×8, first 2 shown]
	v_mov_b32_e32 v12, 0
	s_waitcnt vmcnt(9)
	scratch_store_dwordx4 off, v[78:81], off offset:336
	s_waitcnt vmcnt(9)
	scratch_store_dwordx4 off, v[82:85], off offset:352
	s_cbranch_scc1 .LBB86_7
; %bb.2:
	scratch_load_dwordx4 v[2:5], v56, off
                                        ; implicit-def: $vgpr10_vgpr11
	s_waitcnt vmcnt(0)
	v_xor_b32_e32 v1, 0x80000000, v3
	v_cmp_gt_f64_e32 vcc, 0, v[2:3]
	v_xor_b32_e32 v8, 0x80000000, v5
	v_mov_b32_e32 v6, v2
	v_cndmask_b32_e32 v7, v3, v1, vcc
	v_cmp_gt_f64_e32 vcc, 0, v[4:5]
	s_nop 1
	v_cndmask_b32_e32 v9, v5, v8, vcc
	v_mov_b32_e32 v8, v4
	v_cmp_ngt_f64_e32 vcc, v[6:7], v[8:9]
                                        ; implicit-def: $vgpr6_vgpr7
	s_and_saveexec_b64 s[0:1], vcc
	s_xor_b64 s[0:1], exec, s[0:1]
	s_cbranch_execz .LBB86_4
; %bb.3:
	v_div_scale_f64 v[6:7], s[2:3], v[4:5], v[4:5], v[2:3]
	v_rcp_f64_e32 v[8:9], v[6:7]
	v_div_scale_f64 v[10:11], vcc, v[2:3], v[4:5], v[2:3]
	v_fma_f64 v[62:63], -v[6:7], v[8:9], 1.0
	v_fmac_f64_e32 v[8:9], v[8:9], v[62:63]
	v_fma_f64 v[62:63], -v[6:7], v[8:9], 1.0
	v_fmac_f64_e32 v[8:9], v[8:9], v[62:63]
	v_mul_f64 v[62:63], v[10:11], v[8:9]
	v_fma_f64 v[6:7], -v[6:7], v[62:63], v[10:11]
	v_div_fmas_f64 v[6:7], v[6:7], v[8:9], v[62:63]
	v_div_fixup_f64 v[6:7], v[6:7], v[4:5], v[2:3]
	v_fmac_f64_e32 v[4:5], v[2:3], v[6:7]
	v_div_scale_f64 v[2:3], s[2:3], v[4:5], v[4:5], 1.0
	v_rcp_f64_e32 v[8:9], v[2:3]
	s_nop 0
	v_fma_f64 v[10:11], -v[2:3], v[8:9], 1.0
	v_fmac_f64_e32 v[8:9], v[8:9], v[10:11]
	v_fma_f64 v[10:11], -v[2:3], v[8:9], 1.0
	v_fmac_f64_e32 v[8:9], v[8:9], v[10:11]
	v_div_scale_f64 v[10:11], vcc, 1.0, v[4:5], 1.0
	v_mul_f64 v[62:63], v[10:11], v[8:9]
	v_fma_f64 v[2:3], -v[2:3], v[62:63], v[10:11]
	s_nop 1
	v_div_fmas_f64 v[2:3], v[2:3], v[8:9], v[62:63]
	v_div_fixup_f64 v[8:9], v[2:3], v[4:5], 1.0
	v_mul_f64 v[6:7], v[6:7], v[8:9]
	v_xor_b32_e32 v9, 0x80000000, v9
	v_xor_b32_e32 v11, 0x80000000, v7
	v_mov_b32_e32 v10, v6
                                        ; implicit-def: $vgpr2_vgpr3
.LBB86_4:
	s_or_saveexec_b64 s[0:1], s[0:1]
	v_add_u32_e32 v1, 0, v56
	s_xor_b64 exec, exec, s[0:1]
	s_cbranch_execz .LBB86_6
; %bb.5:
	v_div_scale_f64 v[6:7], s[2:3], v[2:3], v[2:3], v[4:5]
	v_rcp_f64_e32 v[8:9], v[6:7]
	v_div_scale_f64 v[10:11], vcc, v[4:5], v[2:3], v[4:5]
	v_fma_f64 v[62:63], -v[6:7], v[8:9], 1.0
	v_fmac_f64_e32 v[8:9], v[8:9], v[62:63]
	v_fma_f64 v[62:63], -v[6:7], v[8:9], 1.0
	v_fmac_f64_e32 v[8:9], v[8:9], v[62:63]
	v_mul_f64 v[62:63], v[10:11], v[8:9]
	v_fma_f64 v[6:7], -v[6:7], v[62:63], v[10:11]
	v_div_fmas_f64 v[6:7], v[6:7], v[8:9], v[62:63]
	v_div_fixup_f64 v[8:9], v[6:7], v[2:3], v[4:5]
	v_fmac_f64_e32 v[2:3], v[4:5], v[8:9]
	v_div_scale_f64 v[4:5], s[2:3], v[2:3], v[2:3], 1.0
	v_rcp_f64_e32 v[6:7], v[4:5]
	s_nop 0
	v_fma_f64 v[10:11], -v[4:5], v[6:7], 1.0
	v_fmac_f64_e32 v[6:7], v[6:7], v[10:11]
	v_fma_f64 v[10:11], -v[4:5], v[6:7], 1.0
	v_fmac_f64_e32 v[6:7], v[6:7], v[10:11]
	v_div_scale_f64 v[10:11], vcc, 1.0, v[2:3], 1.0
	v_mul_f64 v[62:63], v[10:11], v[6:7]
	v_fma_f64 v[4:5], -v[4:5], v[62:63], v[10:11]
	s_nop 1
	v_div_fmas_f64 v[4:5], v[4:5], v[6:7], v[62:63]
	v_div_fixup_f64 v[6:7], v[4:5], v[2:3], 1.0
	v_xor_b32_e32 v11, 0x80000000, v7
	v_mov_b32_e32 v10, v6
	v_mul_f64 v[8:9], v[8:9], -v[6:7]
.LBB86_6:
	s_or_b64 exec, exec, s[0:1]
	scratch_store_dwordx4 v1, v[6:9], off
	s_nop 1
	v_xor_b32_e32 v9, 0x80000000, v9
	s_branch .LBB86_8
.LBB86_7:
	v_mov_b64_e32 v[8:9], 0
	v_mov_b64_e32 v[10:11], -1.0
.LBB86_8:
	v_add_u32_e32 v79, 16, v12
	v_add_u32_e32 v76, 32, v12
	;; [unrolled: 1-line block ×22, first 2 shown]
	v_mov_b32_e32 v12, v8
	v_mov_b32_e32 v13, v9
	s_cmpk_eq_i32 s4, 0x79
	v_add_u32_e32 v9, 0x170, v56
	v_add_u32_e32 v8, 0, v56
	ds_write_b128 v56, v[10:13]
	s_cbranch_scc1 .LBB86_180
; %bb.9:
	scratch_load_dwordx4 v[2:5], v1, off
	v_cmp_eq_u32_e64 s[0:1], 22, v0
	s_waitcnt vmcnt(0)
	ds_write_b128 v9, v[2:5]
	s_waitcnt lgkmcnt(0)
	; wave barrier
	s_waitcnt lgkmcnt(0)
	s_and_saveexec_b64 s[2:3], s[0:1]
	s_cbranch_execz .LBB86_13
; %bb.10:
	ds_read_b128 v[2:5], v9
	s_andn2_b64 vcc, exec, s[6:7]
	s_cbranch_vccnz .LBB86_12
; %bb.11:
	scratch_load_dwordx4 v[10:13], v8, off
	s_waitcnt vmcnt(0) lgkmcnt(0)
	v_mul_f64 v[6:7], v[4:5], v[12:13]
	v_mul_f64 v[12:13], v[2:3], v[12:13]
	v_fmac_f64_e32 v[12:13], v[4:5], v[10:11]
	v_fma_f64 v[2:3], v[2:3], v[10:11], -v[6:7]
	v_mov_b64_e32 v[4:5], v[12:13]
.LBB86_12:
	v_mov_b32_e32 v6, 0
	ds_read_b128 v[10:13], v6 offset:336
	s_waitcnt lgkmcnt(0)
	v_mul_f64 v[6:7], v[4:5], v[12:13]
	v_mul_f64 v[84:85], v[2:3], v[12:13]
	v_fma_f64 v[82:83], v[2:3], v[10:11], -v[6:7]
	v_fmac_f64_e32 v[84:85], v[4:5], v[10:11]
	scratch_store_dwordx4 off, v[82:85], off offset:336
.LBB86_13:
	s_or_b64 exec, exec, s[2:3]
	scratch_load_dwordx4 v[2:5], v63, off
	v_cmp_lt_u32_e64 s[2:3], 20, v0
	s_waitcnt vmcnt(0)
	ds_write_b128 v9, v[2:5]
	s_waitcnt lgkmcnt(0)
	; wave barrier
	s_waitcnt lgkmcnt(0)
	s_and_saveexec_b64 s[4:5], s[2:3]
	s_cbranch_execz .LBB86_19
; %bb.14:
	ds_read_b128 v[2:5], v9
	s_andn2_b64 vcc, exec, s[6:7]
	s_cbranch_vccnz .LBB86_16
; %bb.15:
	scratch_load_dwordx4 v[10:13], v8, off
	s_waitcnt vmcnt(0) lgkmcnt(0)
	v_mul_f64 v[6:7], v[4:5], v[12:13]
	v_mul_f64 v[12:13], v[2:3], v[12:13]
	v_fmac_f64_e32 v[12:13], v[4:5], v[10:11]
	v_fma_f64 v[2:3], v[2:3], v[10:11], -v[6:7]
	v_mov_b64_e32 v[4:5], v[12:13]
.LBB86_16:
	s_and_saveexec_b64 s[8:9], s[0:1]
	s_cbranch_execz .LBB86_18
; %bb.17:
	scratch_load_dwordx4 v[10:13], off, off offset:336
	v_mov_b32_e32 v6, 0
	ds_read_b128 v[82:85], v6 offset:704
	s_waitcnt vmcnt(0) lgkmcnt(0)
	v_mul_f64 v[6:7], v[82:83], v[12:13]
	v_mul_f64 v[12:13], v[84:85], v[12:13]
	v_fmac_f64_e32 v[6:7], v[84:85], v[10:11]
	v_fma_f64 v[10:11], v[82:83], v[10:11], -v[12:13]
	v_add_f64 v[4:5], v[4:5], v[6:7]
	v_add_f64 v[2:3], v[2:3], v[10:11]
.LBB86_18:
	s_or_b64 exec, exec, s[8:9]
	v_mov_b32_e32 v6, 0
	ds_read_b128 v[10:13], v6 offset:320
	s_waitcnt lgkmcnt(0)
	v_mul_f64 v[6:7], v[4:5], v[12:13]
	v_mul_f64 v[84:85], v[2:3], v[12:13]
	v_fma_f64 v[82:83], v[2:3], v[10:11], -v[6:7]
	v_fmac_f64_e32 v[84:85], v[4:5], v[10:11]
	scratch_store_dwordx4 off, v[82:85], off offset:320
.LBB86_19:
	s_or_b64 exec, exec, s[4:5]
	scratch_load_dwordx4 v[2:5], v62, off
	v_cmp_lt_u32_e64 s[0:1], 19, v0
	s_waitcnt vmcnt(0)
	ds_write_b128 v9, v[2:5]
	s_waitcnt lgkmcnt(0)
	; wave barrier
	s_waitcnt lgkmcnt(0)
	s_and_saveexec_b64 s[4:5], s[0:1]
	s_cbranch_execz .LBB86_27
; %bb.20:
	ds_read_b128 v[2:5], v9
	s_andn2_b64 vcc, exec, s[6:7]
	s_cbranch_vccnz .LBB86_22
; %bb.21:
	scratch_load_dwordx4 v[10:13], v8, off
	s_waitcnt vmcnt(0) lgkmcnt(0)
	v_mul_f64 v[6:7], v[4:5], v[12:13]
	v_mul_f64 v[12:13], v[2:3], v[12:13]
	v_fmac_f64_e32 v[12:13], v[4:5], v[10:11]
	v_fma_f64 v[2:3], v[2:3], v[10:11], -v[6:7]
	v_mov_b64_e32 v[4:5], v[12:13]
.LBB86_22:
	s_and_saveexec_b64 s[8:9], s[2:3]
	s_cbranch_execz .LBB86_26
; %bb.23:
	v_mov_b32_e32 v7, 0
	v_subrev_u32_e32 v6, 20, v0
	v_add_u32_e32 v7, 0x148, v7
	s_movk_i32 s10, 0x2b0
	s_mov_b64 s[2:3], 0
.LBB86_24:                              ; =>This Inner Loop Header: Depth=1
	v_add_u32_e32 v10, -8, v7
	scratch_load_dwordx4 v[10:13], v10, off
	v_mov_b32_e32 v82, s10
	ds_read_b128 v[82:85], v82
	v_add_u32_e32 v6, -1, v6
	s_add_i32 s10, s10, 16
	v_cmp_eq_u32_e32 vcc, 0, v6
	v_add_u32_e32 v7, 16, v7
	s_or_b64 s[2:3], vcc, s[2:3]
	s_waitcnt vmcnt(0) lgkmcnt(0)
	v_mul_f64 v[86:87], v[84:85], v[12:13]
	v_mul_f64 v[12:13], v[82:83], v[12:13]
	v_fma_f64 v[82:83], v[82:83], v[10:11], -v[86:87]
	v_fmac_f64_e32 v[12:13], v[84:85], v[10:11]
	v_add_f64 v[2:3], v[2:3], v[82:83]
	v_add_f64 v[4:5], v[4:5], v[12:13]
	s_andn2_b64 exec, exec, s[2:3]
	s_cbranch_execnz .LBB86_24
; %bb.25:
	s_or_b64 exec, exec, s[2:3]
.LBB86_26:
	s_or_b64 exec, exec, s[8:9]
	v_mov_b32_e32 v6, 0
	ds_read_b128 v[10:13], v6 offset:304
	s_waitcnt lgkmcnt(0)
	v_mul_f64 v[6:7], v[4:5], v[12:13]
	v_mul_f64 v[84:85], v[2:3], v[12:13]
	v_fma_f64 v[82:83], v[2:3], v[10:11], -v[6:7]
	v_fmac_f64_e32 v[84:85], v[4:5], v[10:11]
	scratch_store_dwordx4 off, v[82:85], off offset:304
.LBB86_27:
	s_or_b64 exec, exec, s[4:5]
	scratch_load_dwordx4 v[2:5], v64, off
	v_cmp_lt_u32_e64 s[2:3], 18, v0
	s_waitcnt vmcnt(0)
	ds_write_b128 v9, v[2:5]
	s_waitcnt lgkmcnt(0)
	; wave barrier
	s_waitcnt lgkmcnt(0)
	s_and_saveexec_b64 s[4:5], s[2:3]
	s_cbranch_execz .LBB86_35
; %bb.28:
	ds_read_b128 v[2:5], v9
	s_andn2_b64 vcc, exec, s[6:7]
	s_cbranch_vccnz .LBB86_30
; %bb.29:
	scratch_load_dwordx4 v[10:13], v8, off
	s_waitcnt vmcnt(0) lgkmcnt(0)
	v_mul_f64 v[6:7], v[4:5], v[12:13]
	v_mul_f64 v[12:13], v[2:3], v[12:13]
	v_fmac_f64_e32 v[12:13], v[4:5], v[10:11]
	v_fma_f64 v[2:3], v[2:3], v[10:11], -v[6:7]
	v_mov_b64_e32 v[4:5], v[12:13]
.LBB86_30:
	s_and_saveexec_b64 s[8:9], s[0:1]
	s_cbranch_execz .LBB86_34
; %bb.31:
	v_mov_b32_e32 v7, 0
	v_subrev_u32_e32 v6, 19, v0
	v_add_u32_e32 v7, 0x138, v7
	s_movk_i32 s10, 0x2a0
	s_mov_b64 s[0:1], 0
.LBB86_32:                              ; =>This Inner Loop Header: Depth=1
	v_add_u32_e32 v10, -8, v7
	scratch_load_dwordx4 v[10:13], v10, off
	v_mov_b32_e32 v82, s10
	ds_read_b128 v[82:85], v82
	v_add_u32_e32 v6, -1, v6
	s_add_i32 s10, s10, 16
	v_cmp_eq_u32_e32 vcc, 0, v6
	v_add_u32_e32 v7, 16, v7
	s_or_b64 s[0:1], vcc, s[0:1]
	s_waitcnt vmcnt(0) lgkmcnt(0)
	v_mul_f64 v[86:87], v[84:85], v[12:13]
	v_mul_f64 v[12:13], v[82:83], v[12:13]
	v_fma_f64 v[82:83], v[82:83], v[10:11], -v[86:87]
	v_fmac_f64_e32 v[12:13], v[84:85], v[10:11]
	v_add_f64 v[2:3], v[2:3], v[82:83]
	v_add_f64 v[4:5], v[4:5], v[12:13]
	s_andn2_b64 exec, exec, s[0:1]
	s_cbranch_execnz .LBB86_32
; %bb.33:
	s_or_b64 exec, exec, s[0:1]
.LBB86_34:
	s_or_b64 exec, exec, s[8:9]
	v_mov_b32_e32 v6, 0
	ds_read_b128 v[10:13], v6 offset:288
	s_waitcnt lgkmcnt(0)
	v_mul_f64 v[6:7], v[4:5], v[12:13]
	v_mul_f64 v[84:85], v[2:3], v[12:13]
	v_fma_f64 v[82:83], v[2:3], v[10:11], -v[6:7]
	v_fmac_f64_e32 v[84:85], v[4:5], v[10:11]
	scratch_store_dwordx4 off, v[82:85], off offset:288
.LBB86_35:
	;; [unrolled: 63-line block ×4, first 2 shown]
	s_or_b64 exec, exec, s[4:5]
	scratch_load_dwordx4 v[2:5], v67, off
	v_cmp_lt_u32_e64 s[0:1], 15, v0
	s_waitcnt vmcnt(0)
	ds_write_b128 v9, v[2:5]
	s_waitcnt lgkmcnt(0)
	; wave barrier
	s_waitcnt lgkmcnt(0)
	s_and_saveexec_b64 s[4:5], s[0:1]
	s_cbranch_execz .LBB86_59
; %bb.52:
	ds_read_b128 v[2:5], v9
	s_andn2_b64 vcc, exec, s[6:7]
	s_cbranch_vccnz .LBB86_54
; %bb.53:
	scratch_load_dwordx4 v[10:13], v8, off
	s_waitcnt vmcnt(0) lgkmcnt(0)
	v_mul_f64 v[6:7], v[4:5], v[12:13]
	v_mul_f64 v[12:13], v[2:3], v[12:13]
	v_fmac_f64_e32 v[12:13], v[4:5], v[10:11]
	v_fma_f64 v[2:3], v[2:3], v[10:11], -v[6:7]
	v_mov_b64_e32 v[4:5], v[12:13]
.LBB86_54:
	s_and_saveexec_b64 s[8:9], s[2:3]
	s_cbranch_execz .LBB86_58
; %bb.55:
	v_mov_b32_e32 v7, 0
	v_add_u32_e32 v6, -16, v0
	v_add_u32_e32 v7, 0x108, v7
	s_movk_i32 s10, 0x270
	s_mov_b64 s[2:3], 0
.LBB86_56:                              ; =>This Inner Loop Header: Depth=1
	v_add_u32_e32 v10, -8, v7
	scratch_load_dwordx4 v[10:13], v10, off
	v_mov_b32_e32 v82, s10
	ds_read_b128 v[82:85], v82
	v_add_u32_e32 v6, -1, v6
	s_add_i32 s10, s10, 16
	v_cmp_eq_u32_e32 vcc, 0, v6
	v_add_u32_e32 v7, 16, v7
	s_or_b64 s[2:3], vcc, s[2:3]
	s_waitcnt vmcnt(0) lgkmcnt(0)
	v_mul_f64 v[86:87], v[84:85], v[12:13]
	v_mul_f64 v[12:13], v[82:83], v[12:13]
	v_fma_f64 v[82:83], v[82:83], v[10:11], -v[86:87]
	v_fmac_f64_e32 v[12:13], v[84:85], v[10:11]
	v_add_f64 v[2:3], v[2:3], v[82:83]
	v_add_f64 v[4:5], v[4:5], v[12:13]
	s_andn2_b64 exec, exec, s[2:3]
	s_cbranch_execnz .LBB86_56
; %bb.57:
	s_or_b64 exec, exec, s[2:3]
.LBB86_58:
	s_or_b64 exec, exec, s[8:9]
	v_mov_b32_e32 v6, 0
	ds_read_b128 v[10:13], v6 offset:240
	s_waitcnt lgkmcnt(0)
	v_mul_f64 v[6:7], v[4:5], v[12:13]
	v_mul_f64 v[84:85], v[2:3], v[12:13]
	v_fma_f64 v[82:83], v[2:3], v[10:11], -v[6:7]
	v_fmac_f64_e32 v[84:85], v[4:5], v[10:11]
	scratch_store_dwordx4 off, v[82:85], off offset:240
.LBB86_59:
	s_or_b64 exec, exec, s[4:5]
	scratch_load_dwordx4 v[2:5], v68, off
	v_cmp_lt_u32_e64 s[2:3], 14, v0
	s_waitcnt vmcnt(0)
	ds_write_b128 v9, v[2:5]
	s_waitcnt lgkmcnt(0)
	; wave barrier
	s_waitcnt lgkmcnt(0)
	s_and_saveexec_b64 s[4:5], s[2:3]
	s_cbranch_execz .LBB86_67
; %bb.60:
	ds_read_b128 v[2:5], v9
	s_andn2_b64 vcc, exec, s[6:7]
	s_cbranch_vccnz .LBB86_62
; %bb.61:
	scratch_load_dwordx4 v[10:13], v8, off
	s_waitcnt vmcnt(0) lgkmcnt(0)
	v_mul_f64 v[6:7], v[4:5], v[12:13]
	v_mul_f64 v[12:13], v[2:3], v[12:13]
	v_fmac_f64_e32 v[12:13], v[4:5], v[10:11]
	v_fma_f64 v[2:3], v[2:3], v[10:11], -v[6:7]
	v_mov_b64_e32 v[4:5], v[12:13]
.LBB86_62:
	s_and_saveexec_b64 s[8:9], s[0:1]
	s_cbranch_execz .LBB86_66
; %bb.63:
	v_mov_b32_e32 v7, 0
	v_add_u32_e32 v6, -15, v0
	v_add_u32_e32 v7, 0xf8, v7
	s_movk_i32 s10, 0x260
	s_mov_b64 s[0:1], 0
.LBB86_64:                              ; =>This Inner Loop Header: Depth=1
	v_add_u32_e32 v10, -8, v7
	scratch_load_dwordx4 v[10:13], v10, off
	v_mov_b32_e32 v82, s10
	ds_read_b128 v[82:85], v82
	v_add_u32_e32 v6, -1, v6
	s_add_i32 s10, s10, 16
	v_cmp_eq_u32_e32 vcc, 0, v6
	v_add_u32_e32 v7, 16, v7
	s_or_b64 s[0:1], vcc, s[0:1]
	s_waitcnt vmcnt(0) lgkmcnt(0)
	v_mul_f64 v[86:87], v[84:85], v[12:13]
	v_mul_f64 v[12:13], v[82:83], v[12:13]
	v_fma_f64 v[82:83], v[82:83], v[10:11], -v[86:87]
	v_fmac_f64_e32 v[12:13], v[84:85], v[10:11]
	v_add_f64 v[2:3], v[2:3], v[82:83]
	v_add_f64 v[4:5], v[4:5], v[12:13]
	s_andn2_b64 exec, exec, s[0:1]
	s_cbranch_execnz .LBB86_64
; %bb.65:
	s_or_b64 exec, exec, s[0:1]
.LBB86_66:
	s_or_b64 exec, exec, s[8:9]
	v_mov_b32_e32 v6, 0
	ds_read_b128 v[10:13], v6 offset:224
	s_waitcnt lgkmcnt(0)
	v_mul_f64 v[6:7], v[4:5], v[12:13]
	v_mul_f64 v[84:85], v[2:3], v[12:13]
	v_fma_f64 v[82:83], v[2:3], v[10:11], -v[6:7]
	v_fmac_f64_e32 v[84:85], v[4:5], v[10:11]
	scratch_store_dwordx4 off, v[82:85], off offset:224
.LBB86_67:
	;; [unrolled: 63-line block ×6, first 2 shown]
	s_or_b64 exec, exec, s[4:5]
	scratch_load_dwordx4 v[2:5], v72, off
	v_cmp_lt_u32_e64 s[0:1], 9, v0
	s_waitcnt vmcnt(0)
	ds_write_b128 v9, v[2:5]
	s_waitcnt lgkmcnt(0)
	; wave barrier
	s_waitcnt lgkmcnt(0)
	s_and_saveexec_b64 s[4:5], s[0:1]
	s_cbranch_execz .LBB86_107
; %bb.100:
	ds_read_b128 v[2:5], v9
	s_andn2_b64 vcc, exec, s[6:7]
	s_cbranch_vccnz .LBB86_102
; %bb.101:
	scratch_load_dwordx4 v[10:13], v8, off
	s_waitcnt vmcnt(0) lgkmcnt(0)
	v_mul_f64 v[6:7], v[4:5], v[12:13]
	v_mul_f64 v[12:13], v[2:3], v[12:13]
	v_fmac_f64_e32 v[12:13], v[4:5], v[10:11]
	v_fma_f64 v[2:3], v[2:3], v[10:11], -v[6:7]
	v_mov_b64_e32 v[4:5], v[12:13]
.LBB86_102:
	s_and_saveexec_b64 s[8:9], s[2:3]
	s_cbranch_execz .LBB86_106
; %bb.103:
	v_mov_b32_e32 v7, 0
	v_add_u32_e32 v6, -10, v0
	v_add_u32_e32 v7, 0xa8, v7
	s_movk_i32 s10, 0x210
	s_mov_b64 s[2:3], 0
.LBB86_104:                             ; =>This Inner Loop Header: Depth=1
	v_add_u32_e32 v10, -8, v7
	scratch_load_dwordx4 v[10:13], v10, off
	v_mov_b32_e32 v82, s10
	ds_read_b128 v[82:85], v82
	v_add_u32_e32 v6, -1, v6
	s_add_i32 s10, s10, 16
	v_cmp_eq_u32_e32 vcc, 0, v6
	v_add_u32_e32 v7, 16, v7
	s_or_b64 s[2:3], vcc, s[2:3]
	s_waitcnt vmcnt(0) lgkmcnt(0)
	v_mul_f64 v[86:87], v[84:85], v[12:13]
	v_mul_f64 v[12:13], v[82:83], v[12:13]
	v_fma_f64 v[82:83], v[82:83], v[10:11], -v[86:87]
	v_fmac_f64_e32 v[12:13], v[84:85], v[10:11]
	v_add_f64 v[2:3], v[2:3], v[82:83]
	v_add_f64 v[4:5], v[4:5], v[12:13]
	s_andn2_b64 exec, exec, s[2:3]
	s_cbranch_execnz .LBB86_104
; %bb.105:
	s_or_b64 exec, exec, s[2:3]
.LBB86_106:
	s_or_b64 exec, exec, s[8:9]
	v_mov_b32_e32 v6, 0
	ds_read_b128 v[10:13], v6 offset:144
	s_waitcnt lgkmcnt(0)
	v_mul_f64 v[6:7], v[4:5], v[12:13]
	v_mul_f64 v[84:85], v[2:3], v[12:13]
	v_fma_f64 v[82:83], v[2:3], v[10:11], -v[6:7]
	v_fmac_f64_e32 v[84:85], v[4:5], v[10:11]
	scratch_store_dwordx4 off, v[82:85], off offset:144
.LBB86_107:
	s_or_b64 exec, exec, s[4:5]
	scratch_load_dwordx4 v[2:5], v75, off
	v_cmp_lt_u32_e64 s[2:3], 8, v0
	s_waitcnt vmcnt(0)
	ds_write_b128 v9, v[2:5]
	s_waitcnt lgkmcnt(0)
	; wave barrier
	s_waitcnt lgkmcnt(0)
	s_and_saveexec_b64 s[4:5], s[2:3]
	s_cbranch_execz .LBB86_115
; %bb.108:
	ds_read_b128 v[2:5], v9
	s_andn2_b64 vcc, exec, s[6:7]
	s_cbranch_vccnz .LBB86_110
; %bb.109:
	scratch_load_dwordx4 v[10:13], v8, off
	s_waitcnt vmcnt(0) lgkmcnt(0)
	v_mul_f64 v[6:7], v[4:5], v[12:13]
	v_mul_f64 v[12:13], v[2:3], v[12:13]
	v_fmac_f64_e32 v[12:13], v[4:5], v[10:11]
	v_fma_f64 v[2:3], v[2:3], v[10:11], -v[6:7]
	v_mov_b64_e32 v[4:5], v[12:13]
.LBB86_110:
	s_and_saveexec_b64 s[8:9], s[0:1]
	s_cbranch_execz .LBB86_114
; %bb.111:
	v_mov_b32_e32 v7, 0
	v_add_u32_e32 v6, -9, v0
	v_add_u32_e32 v7, 0x98, v7
	s_movk_i32 s10, 0x200
	s_mov_b64 s[0:1], 0
.LBB86_112:                             ; =>This Inner Loop Header: Depth=1
	v_add_u32_e32 v10, -8, v7
	scratch_load_dwordx4 v[10:13], v10, off
	v_mov_b32_e32 v82, s10
	ds_read_b128 v[82:85], v82
	v_add_u32_e32 v6, -1, v6
	s_add_i32 s10, s10, 16
	v_cmp_eq_u32_e32 vcc, 0, v6
	v_add_u32_e32 v7, 16, v7
	s_or_b64 s[0:1], vcc, s[0:1]
	s_waitcnt vmcnt(0) lgkmcnt(0)
	v_mul_f64 v[86:87], v[84:85], v[12:13]
	v_mul_f64 v[12:13], v[82:83], v[12:13]
	v_fma_f64 v[82:83], v[82:83], v[10:11], -v[86:87]
	v_fmac_f64_e32 v[12:13], v[84:85], v[10:11]
	v_add_f64 v[2:3], v[2:3], v[82:83]
	v_add_f64 v[4:5], v[4:5], v[12:13]
	s_andn2_b64 exec, exec, s[0:1]
	s_cbranch_execnz .LBB86_112
; %bb.113:
	s_or_b64 exec, exec, s[0:1]
.LBB86_114:
	s_or_b64 exec, exec, s[8:9]
	v_mov_b32_e32 v6, 0
	ds_read_b128 v[10:13], v6 offset:128
	s_waitcnt lgkmcnt(0)
	v_mul_f64 v[6:7], v[4:5], v[12:13]
	v_mul_f64 v[84:85], v[2:3], v[12:13]
	v_fma_f64 v[82:83], v[2:3], v[10:11], -v[6:7]
	v_fmac_f64_e32 v[84:85], v[4:5], v[10:11]
	scratch_store_dwordx4 off, v[82:85], off offset:128
.LBB86_115:
	;; [unrolled: 63-line block ×9, first 2 shown]
	s_or_b64 exec, exec, s[4:5]
	scratch_load_dwordx4 v[2:5], off, off
	v_cmp_ne_u32_e32 vcc, 0, v0
	s_mov_b64 s[2:3], 0
	s_mov_b64 s[4:5], 0
                                        ; implicit-def: $vgpr6_vgpr7
                                        ; implicit-def: $vgpr10
	s_waitcnt vmcnt(0)
	ds_write_b128 v9, v[2:5]
	s_waitcnt lgkmcnt(0)
	; wave barrier
	s_waitcnt lgkmcnt(0)
	s_and_saveexec_b64 s[8:9], vcc
	s_cbranch_execz .LBB86_179
; %bb.172:
	ds_read_b128 v[2:5], v9
	s_andn2_b64 vcc, exec, s[6:7]
	s_cbranch_vccnz .LBB86_174
; %bb.173:
	scratch_load_dwordx4 v[10:13], v8, off
	s_waitcnt vmcnt(0) lgkmcnt(0)
	v_mul_f64 v[6:7], v[4:5], v[12:13]
	v_mul_f64 v[12:13], v[2:3], v[12:13]
	v_fmac_f64_e32 v[12:13], v[4:5], v[10:11]
	v_fma_f64 v[2:3], v[2:3], v[10:11], -v[6:7]
	v_mov_b64_e32 v[4:5], v[12:13]
.LBB86_174:
	s_and_saveexec_b64 s[4:5], s[0:1]
	s_cbranch_execz .LBB86_178
; %bb.175:
	v_mov_b32_e32 v7, 0
	v_add_u32_e32 v6, -1, v0
	v_add_u32_e32 v7, 24, v7
	s_movk_i32 s10, 0x180
	s_mov_b64 s[0:1], 0
.LBB86_176:                             ; =>This Inner Loop Header: Depth=1
	v_add_u32_e32 v10, -8, v7
	scratch_load_dwordx4 v[10:13], v10, off
	v_mov_b32_e32 v82, s10
	ds_read_b128 v[82:85], v82
	v_add_u32_e32 v6, -1, v6
	s_add_i32 s10, s10, 16
	v_cmp_eq_u32_e32 vcc, 0, v6
	v_add_u32_e32 v7, 16, v7
	s_or_b64 s[0:1], vcc, s[0:1]
	s_waitcnt vmcnt(0) lgkmcnt(0)
	v_mul_f64 v[86:87], v[84:85], v[12:13]
	v_mul_f64 v[12:13], v[82:83], v[12:13]
	v_fma_f64 v[82:83], v[82:83], v[10:11], -v[86:87]
	v_fmac_f64_e32 v[12:13], v[84:85], v[10:11]
	v_add_f64 v[2:3], v[2:3], v[82:83]
	v_add_f64 v[4:5], v[4:5], v[12:13]
	s_andn2_b64 exec, exec, s[0:1]
	s_cbranch_execnz .LBB86_176
; %bb.177:
	s_or_b64 exec, exec, s[0:1]
.LBB86_178:
	s_or_b64 exec, exec, s[4:5]
	v_mov_b32_e32 v6, 0
	ds_read_b128 v[82:85], v6
	v_mov_b32_e32 v6, 0
	v_or_b32_e32 v10, 8, v6
	s_mov_b64 s[4:5], exec
	s_waitcnt lgkmcnt(0)
	v_mul_f64 v[12:13], v[4:5], v[84:85]
	v_mul_f64 v[6:7], v[2:3], v[84:85]
	v_fma_f64 v[2:3], v[2:3], v[82:83], -v[12:13]
	v_fmac_f64_e32 v[6:7], v[4:5], v[82:83]
	scratch_store_dwordx2 off, v[2:3], off
.LBB86_179:
	s_or_b64 exec, exec, s[8:9]
	s_and_b64 vcc, exec, s[2:3]
	s_cbranch_vccnz .LBB86_181
	s_branch .LBB86_352
.LBB86_180:
	s_mov_b64 s[4:5], 0
                                        ; implicit-def: $vgpr6_vgpr7
                                        ; implicit-def: $vgpr10
	s_cbranch_execz .LBB86_352
.LBB86_181:
	scratch_load_dwordx4 v[2:5], v79, off
	v_cndmask_b32_e64 v6, 0, 1, s[6:7]
	v_cmp_eq_u32_e64 s[2:3], 0, v0
	v_cmp_ne_u32_e64 s[0:1], 1, v6
	s_waitcnt vmcnt(0)
	ds_write_b128 v9, v[2:5]
	s_waitcnt lgkmcnt(0)
	; wave barrier
	s_waitcnt lgkmcnt(0)
	s_and_saveexec_b64 s[6:7], s[2:3]
	s_cbranch_execz .LBB86_185
; %bb.182:
	ds_read_b128 v[2:5], v9
	s_and_b64 vcc, exec, s[0:1]
	s_cbranch_vccnz .LBB86_184
; %bb.183:
	scratch_load_dwordx4 v[10:13], v8, off
	s_waitcnt vmcnt(0) lgkmcnt(0)
	v_mul_f64 v[6:7], v[4:5], v[12:13]
	v_mul_f64 v[12:13], v[2:3], v[12:13]
	v_fmac_f64_e32 v[12:13], v[4:5], v[10:11]
	v_fma_f64 v[2:3], v[2:3], v[10:11], -v[6:7]
	v_mov_b64_e32 v[4:5], v[12:13]
.LBB86_184:
	v_mov_b32_e32 v6, 0
	ds_read_b128 v[10:13], v6 offset:16
	s_waitcnt lgkmcnt(0)
	v_mul_f64 v[6:7], v[4:5], v[12:13]
	v_mul_f64 v[84:85], v[2:3], v[12:13]
	v_fma_f64 v[82:83], v[2:3], v[10:11], -v[6:7]
	v_fmac_f64_e32 v[84:85], v[4:5], v[10:11]
	scratch_store_dwordx4 off, v[82:85], off offset:16
.LBB86_185:
	s_or_b64 exec, exec, s[6:7]
	scratch_load_dwordx4 v[2:5], v76, off
	v_cmp_gt_u32_e32 vcc, 2, v0
	s_waitcnt vmcnt(0)
	ds_write_b128 v9, v[2:5]
	s_waitcnt lgkmcnt(0)
	; wave barrier
	s_waitcnt lgkmcnt(0)
	s_and_saveexec_b64 s[6:7], vcc
	s_cbranch_execz .LBB86_191
; %bb.186:
	ds_read_b128 v[2:5], v9
	s_and_b64 vcc, exec, s[0:1]
	s_cbranch_vccnz .LBB86_188
; %bb.187:
	scratch_load_dwordx4 v[10:13], v8, off
	s_waitcnt vmcnt(0) lgkmcnt(0)
	v_mul_f64 v[6:7], v[4:5], v[12:13]
	v_mul_f64 v[12:13], v[2:3], v[12:13]
	v_fmac_f64_e32 v[12:13], v[4:5], v[10:11]
	v_fma_f64 v[2:3], v[2:3], v[10:11], -v[6:7]
	v_mov_b64_e32 v[4:5], v[12:13]
.LBB86_188:
	s_and_saveexec_b64 s[8:9], s[2:3]
	s_cbranch_execz .LBB86_190
; %bb.189:
	scratch_load_dwordx4 v[10:13], v8, off offset:16
	ds_read_b128 v[82:85], v9 offset:16
	s_waitcnt vmcnt(0) lgkmcnt(0)
	v_mul_f64 v[6:7], v[84:85], v[12:13]
	v_mul_f64 v[12:13], v[82:83], v[12:13]
	v_fma_f64 v[6:7], v[82:83], v[10:11], -v[6:7]
	v_fmac_f64_e32 v[12:13], v[84:85], v[10:11]
	v_add_f64 v[2:3], v[2:3], v[6:7]
	v_add_f64 v[4:5], v[4:5], v[12:13]
.LBB86_190:
	s_or_b64 exec, exec, s[8:9]
	v_mov_b32_e32 v6, 0
	ds_read_b128 v[10:13], v6 offset:32
	s_waitcnt lgkmcnt(0)
	v_mul_f64 v[6:7], v[4:5], v[12:13]
	v_mul_f64 v[84:85], v[2:3], v[12:13]
	v_fma_f64 v[82:83], v[2:3], v[10:11], -v[6:7]
	v_fmac_f64_e32 v[84:85], v[4:5], v[10:11]
	scratch_store_dwordx4 off, v[82:85], off offset:32
.LBB86_191:
	s_or_b64 exec, exec, s[6:7]
	scratch_load_dwordx4 v[2:5], v80, off
	v_cmp_gt_u32_e32 vcc, 3, v0
	s_waitcnt vmcnt(0)
	ds_write_b128 v9, v[2:5]
	s_waitcnt lgkmcnt(0)
	; wave barrier
	s_waitcnt lgkmcnt(0)
	s_and_saveexec_b64 s[6:7], vcc
	s_cbranch_execz .LBB86_199
; %bb.192:
	ds_read_b128 v[2:5], v9
	s_and_b64 vcc, exec, s[0:1]
	s_cbranch_vccnz .LBB86_194
; %bb.193:
	scratch_load_dwordx4 v[10:13], v8, off
	s_waitcnt vmcnt(0) lgkmcnt(0)
	v_mul_f64 v[6:7], v[4:5], v[12:13]
	v_mul_f64 v[12:13], v[2:3], v[12:13]
	v_fmac_f64_e32 v[12:13], v[4:5], v[10:11]
	v_fma_f64 v[2:3], v[2:3], v[10:11], -v[6:7]
	v_mov_b64_e32 v[4:5], v[12:13]
.LBB86_194:
	v_cmp_ne_u32_e32 vcc, 2, v0
	s_and_saveexec_b64 s[8:9], vcc
	s_cbranch_execz .LBB86_198
; %bb.195:
	scratch_load_dwordx4 v[10:13], v8, off offset:16
	ds_read_b128 v[82:85], v9 offset:16
	s_waitcnt vmcnt(0) lgkmcnt(0)
	v_mul_f64 v[6:7], v[84:85], v[12:13]
	v_mul_f64 v[12:13], v[82:83], v[12:13]
	v_fma_f64 v[6:7], v[82:83], v[10:11], -v[6:7]
	v_fmac_f64_e32 v[12:13], v[84:85], v[10:11]
	v_add_f64 v[2:3], v[2:3], v[6:7]
	v_add_f64 v[4:5], v[4:5], v[12:13]
	s_and_saveexec_b64 s[10:11], s[2:3]
	s_cbranch_execz .LBB86_197
; %bb.196:
	scratch_load_dwordx4 v[10:13], off, off offset:32
	v_mov_b32_e32 v6, 0
	ds_read_b128 v[82:85], v6 offset:400
	s_waitcnt vmcnt(0) lgkmcnt(0)
	v_mul_f64 v[6:7], v[82:83], v[12:13]
	v_mul_f64 v[12:13], v[84:85], v[12:13]
	v_fmac_f64_e32 v[6:7], v[84:85], v[10:11]
	v_fma_f64 v[10:11], v[82:83], v[10:11], -v[12:13]
	v_add_f64 v[4:5], v[4:5], v[6:7]
	v_add_f64 v[2:3], v[2:3], v[10:11]
.LBB86_197:
	s_or_b64 exec, exec, s[10:11]
.LBB86_198:
	s_or_b64 exec, exec, s[8:9]
	v_mov_b32_e32 v6, 0
	ds_read_b128 v[10:13], v6 offset:48
	s_waitcnt lgkmcnt(0)
	v_mul_f64 v[6:7], v[4:5], v[12:13]
	v_mul_f64 v[84:85], v[2:3], v[12:13]
	v_fma_f64 v[82:83], v[2:3], v[10:11], -v[6:7]
	v_fmac_f64_e32 v[84:85], v[4:5], v[10:11]
	scratch_store_dwordx4 off, v[82:85], off offset:48
.LBB86_199:
	s_or_b64 exec, exec, s[6:7]
	scratch_load_dwordx4 v[2:5], v77, off
	v_cmp_gt_u32_e32 vcc, 4, v0
	s_waitcnt vmcnt(0)
	ds_write_b128 v9, v[2:5]
	s_waitcnt lgkmcnt(0)
	; wave barrier
	s_waitcnt lgkmcnt(0)
	s_and_saveexec_b64 s[2:3], vcc
	s_cbranch_execz .LBB86_207
; %bb.200:
	ds_read_b128 v[2:5], v9
	s_and_b64 vcc, exec, s[0:1]
	s_cbranch_vccnz .LBB86_202
; %bb.201:
	scratch_load_dwordx4 v[10:13], v8, off
	s_waitcnt vmcnt(0) lgkmcnt(0)
	v_mul_f64 v[6:7], v[4:5], v[12:13]
	v_mul_f64 v[12:13], v[2:3], v[12:13]
	v_fmac_f64_e32 v[12:13], v[4:5], v[10:11]
	v_fma_f64 v[2:3], v[2:3], v[10:11], -v[6:7]
	v_mov_b64_e32 v[4:5], v[12:13]
.LBB86_202:
	v_cmp_ne_u32_e32 vcc, 3, v0
	s_and_saveexec_b64 s[6:7], vcc
	s_cbranch_execz .LBB86_206
; %bb.203:
	v_mov_b32_e32 v7, 0
	v_add_u32_e32 v6, 0x180, v56
	v_add3_u32 v7, v56, v7, 24
	s_mov_b64 s[8:9], 0
	v_mov_b32_e32 v10, v0
.LBB86_204:                             ; =>This Inner Loop Header: Depth=1
	v_add_u32_e32 v11, -8, v7
	scratch_load_dwordx4 v[82:85], v11, off
	ds_read_b128 v[86:89], v6
	v_add_u32_e32 v10, 1, v10
	v_cmp_lt_u32_e32 vcc, 2, v10
	v_add_u32_e32 v6, 16, v6
	v_add_u32_e32 v7, 16, v7
	s_or_b64 s[8:9], vcc, s[8:9]
	s_waitcnt vmcnt(0) lgkmcnt(0)
	v_mul_f64 v[12:13], v[88:89], v[84:85]
	v_mul_f64 v[84:85], v[86:87], v[84:85]
	v_fma_f64 v[12:13], v[86:87], v[82:83], -v[12:13]
	v_fmac_f64_e32 v[84:85], v[88:89], v[82:83]
	v_add_f64 v[2:3], v[2:3], v[12:13]
	v_add_f64 v[4:5], v[4:5], v[84:85]
	s_andn2_b64 exec, exec, s[8:9]
	s_cbranch_execnz .LBB86_204
; %bb.205:
	s_or_b64 exec, exec, s[8:9]
.LBB86_206:
	s_or_b64 exec, exec, s[6:7]
	v_mov_b32_e32 v6, 0
	ds_read_b128 v[10:13], v6 offset:64
	s_waitcnt lgkmcnt(0)
	v_mul_f64 v[6:7], v[4:5], v[12:13]
	v_mul_f64 v[84:85], v[2:3], v[12:13]
	v_fma_f64 v[82:83], v[2:3], v[10:11], -v[6:7]
	v_fmac_f64_e32 v[84:85], v[4:5], v[10:11]
	scratch_store_dwordx4 off, v[82:85], off offset:64
.LBB86_207:
	s_or_b64 exec, exec, s[2:3]
	scratch_load_dwordx4 v[2:5], v81, off
	v_cmp_gt_u32_e32 vcc, 5, v0
	s_waitcnt vmcnt(0)
	ds_write_b128 v9, v[2:5]
	s_waitcnt lgkmcnt(0)
	; wave barrier
	s_waitcnt lgkmcnt(0)
	s_and_saveexec_b64 s[2:3], vcc
	s_cbranch_execz .LBB86_215
; %bb.208:
	ds_read_b128 v[2:5], v9
	s_and_b64 vcc, exec, s[0:1]
	s_cbranch_vccnz .LBB86_210
; %bb.209:
	scratch_load_dwordx4 v[10:13], v8, off
	s_waitcnt vmcnt(0) lgkmcnt(0)
	v_mul_f64 v[6:7], v[4:5], v[12:13]
	v_mul_f64 v[12:13], v[2:3], v[12:13]
	v_fmac_f64_e32 v[12:13], v[4:5], v[10:11]
	v_fma_f64 v[2:3], v[2:3], v[10:11], -v[6:7]
	v_mov_b64_e32 v[4:5], v[12:13]
.LBB86_210:
	v_cmp_ne_u32_e32 vcc, 4, v0
	s_and_saveexec_b64 s[6:7], vcc
	s_cbranch_execz .LBB86_214
; %bb.211:
	v_mov_b32_e32 v7, 0
	v_add_u32_e32 v6, 0x180, v56
	v_add3_u32 v7, v56, v7, 24
	s_mov_b64 s[8:9], 0
	v_mov_b32_e32 v10, v0
.LBB86_212:                             ; =>This Inner Loop Header: Depth=1
	v_add_u32_e32 v11, -8, v7
	scratch_load_dwordx4 v[82:85], v11, off
	ds_read_b128 v[86:89], v6
	v_add_u32_e32 v10, 1, v10
	v_cmp_lt_u32_e32 vcc, 3, v10
	v_add_u32_e32 v6, 16, v6
	v_add_u32_e32 v7, 16, v7
	s_or_b64 s[8:9], vcc, s[8:9]
	s_waitcnt vmcnt(0) lgkmcnt(0)
	v_mul_f64 v[12:13], v[88:89], v[84:85]
	v_mul_f64 v[84:85], v[86:87], v[84:85]
	v_fma_f64 v[12:13], v[86:87], v[82:83], -v[12:13]
	v_fmac_f64_e32 v[84:85], v[88:89], v[82:83]
	v_add_f64 v[2:3], v[2:3], v[12:13]
	v_add_f64 v[4:5], v[4:5], v[84:85]
	s_andn2_b64 exec, exec, s[8:9]
	s_cbranch_execnz .LBB86_212
; %bb.213:
	s_or_b64 exec, exec, s[8:9]
.LBB86_214:
	s_or_b64 exec, exec, s[6:7]
	v_mov_b32_e32 v6, 0
	ds_read_b128 v[10:13], v6 offset:80
	s_waitcnt lgkmcnt(0)
	v_mul_f64 v[6:7], v[4:5], v[12:13]
	v_mul_f64 v[84:85], v[2:3], v[12:13]
	v_fma_f64 v[82:83], v[2:3], v[10:11], -v[6:7]
	v_fmac_f64_e32 v[84:85], v[4:5], v[10:11]
	scratch_store_dwordx4 off, v[82:85], off offset:80
.LBB86_215:
	;; [unrolled: 63-line block ×17, first 2 shown]
	s_or_b64 exec, exec, s[2:3]
	scratch_load_dwordx4 v[2:5], v1, off
	v_cmp_gt_u32_e64 s[2:3], 21, v0
	s_waitcnt vmcnt(0)
	ds_write_b128 v9, v[2:5]
	s_waitcnt lgkmcnt(0)
	; wave barrier
	s_waitcnt lgkmcnt(0)
	s_and_saveexec_b64 s[6:7], s[2:3]
	s_cbranch_execz .LBB86_343
; %bb.336:
	ds_read_b128 v[2:5], v9
	s_and_b64 vcc, exec, s[0:1]
	s_cbranch_vccnz .LBB86_338
; %bb.337:
	scratch_load_dwordx4 v[10:13], v8, off
	s_waitcnt vmcnt(0) lgkmcnt(0)
	v_mul_f64 v[6:7], v[4:5], v[12:13]
	v_mul_f64 v[12:13], v[2:3], v[12:13]
	v_fmac_f64_e32 v[12:13], v[4:5], v[10:11]
	v_fma_f64 v[2:3], v[2:3], v[10:11], -v[6:7]
	v_mov_b64_e32 v[4:5], v[12:13]
.LBB86_338:
	v_cmp_ne_u32_e32 vcc, 20, v0
	s_and_saveexec_b64 s[8:9], vcc
	s_cbranch_execz .LBB86_342
; %bb.339:
	v_mov_b32_e32 v7, 0
	v_add_u32_e32 v6, 0x180, v56
	v_add3_u32 v7, v56, v7, 24
	s_mov_b64 s[10:11], 0
	v_mov_b32_e32 v10, v0
.LBB86_340:                             ; =>This Inner Loop Header: Depth=1
	v_add_u32_e32 v11, -8, v7
	scratch_load_dwordx4 v[82:85], v11, off
	ds_read_b128 v[86:89], v6
	v_add_u32_e32 v10, 1, v10
	v_cmp_lt_u32_e32 vcc, 19, v10
	v_add_u32_e32 v6, 16, v6
	v_add_u32_e32 v7, 16, v7
	s_or_b64 s[10:11], vcc, s[10:11]
	s_waitcnt vmcnt(0) lgkmcnt(0)
	v_mul_f64 v[12:13], v[88:89], v[84:85]
	v_mul_f64 v[84:85], v[86:87], v[84:85]
	v_fma_f64 v[12:13], v[86:87], v[82:83], -v[12:13]
	v_fmac_f64_e32 v[84:85], v[88:89], v[82:83]
	v_add_f64 v[2:3], v[2:3], v[12:13]
	v_add_f64 v[4:5], v[4:5], v[84:85]
	s_andn2_b64 exec, exec, s[10:11]
	s_cbranch_execnz .LBB86_340
; %bb.341:
	s_or_b64 exec, exec, s[10:11]
.LBB86_342:
	s_or_b64 exec, exec, s[8:9]
	v_mov_b32_e32 v6, 0
	ds_read_b128 v[10:13], v6 offset:336
	s_waitcnt lgkmcnt(0)
	v_mul_f64 v[6:7], v[4:5], v[12:13]
	v_mul_f64 v[84:85], v[2:3], v[12:13]
	v_fma_f64 v[82:83], v[2:3], v[10:11], -v[6:7]
	v_fmac_f64_e32 v[84:85], v[4:5], v[10:11]
	scratch_store_dwordx4 off, v[82:85], off offset:336
.LBB86_343:
	s_or_b64 exec, exec, s[6:7]
	scratch_load_dwordx4 v[2:5], v57, off
	v_cmp_ne_u32_e32 vcc, 22, v0
                                        ; implicit-def: $vgpr6_vgpr7
                                        ; implicit-def: $vgpr10
	s_waitcnt vmcnt(0)
	ds_write_b128 v9, v[2:5]
	s_waitcnt lgkmcnt(0)
	; wave barrier
	s_waitcnt lgkmcnt(0)
	s_and_saveexec_b64 s[6:7], vcc
	s_cbranch_execz .LBB86_351
; %bb.344:
	ds_read_b128 v[2:5], v9
	s_and_b64 vcc, exec, s[0:1]
	s_cbranch_vccnz .LBB86_346
; %bb.345:
	scratch_load_dwordx4 v[6:9], v8, off
	s_waitcnt vmcnt(0) lgkmcnt(0)
	v_mul_f64 v[10:11], v[4:5], v[8:9]
	v_mul_f64 v[8:9], v[2:3], v[8:9]
	v_fmac_f64_e32 v[8:9], v[4:5], v[6:7]
	v_fma_f64 v[2:3], v[2:3], v[6:7], -v[10:11]
	v_mov_b64_e32 v[4:5], v[8:9]
.LBB86_346:
	s_and_saveexec_b64 s[0:1], s[2:3]
	s_cbranch_execz .LBB86_350
; %bb.347:
	v_mov_b32_e32 v7, 0
	v_add_u32_e32 v6, 0x180, v56
	v_add3_u32 v7, v56, v7, 24
	s_mov_b64 s[2:3], 0
.LBB86_348:                             ; =>This Inner Loop Header: Depth=1
	v_add_u32_e32 v8, -8, v7
	scratch_load_dwordx4 v[8:11], v8, off
	ds_read_b128 v[82:85], v6
	v_add_u32_e32 v0, 1, v0
	v_cmp_lt_u32_e32 vcc, 20, v0
	v_add_u32_e32 v6, 16, v6
	v_add_u32_e32 v7, 16, v7
	s_or_b64 s[2:3], vcc, s[2:3]
	s_waitcnt vmcnt(0) lgkmcnt(0)
	v_mul_f64 v[12:13], v[84:85], v[10:11]
	v_mul_f64 v[10:11], v[82:83], v[10:11]
	v_fma_f64 v[12:13], v[82:83], v[8:9], -v[12:13]
	v_fmac_f64_e32 v[10:11], v[84:85], v[8:9]
	v_add_f64 v[2:3], v[2:3], v[12:13]
	v_add_f64 v[4:5], v[4:5], v[10:11]
	s_andn2_b64 exec, exec, s[2:3]
	s_cbranch_execnz .LBB86_348
; %bb.349:
	s_or_b64 exec, exec, s[2:3]
.LBB86_350:
	s_or_b64 exec, exec, s[0:1]
	v_mov_b32_e32 v0, 0
	ds_read_b128 v[82:85], v0 offset:352
	v_mov_b32_e32 v0, 0
	v_add_u32_e32 v10, 0x168, v0
	s_or_b64 s[4:5], s[4:5], exec
	s_waitcnt lgkmcnt(0)
	v_mul_f64 v[8:9], v[4:5], v[84:85]
	v_mul_f64 v[6:7], v[2:3], v[84:85]
	v_fma_f64 v[2:3], v[2:3], v[82:83], -v[8:9]
	v_fmac_f64_e32 v[6:7], v[4:5], v[82:83]
	scratch_store_dwordx2 off, v[2:3], off offset:352
.LBB86_351:
	s_or_b64 exec, exec, s[6:7]
.LBB86_352:
	s_and_saveexec_b64 s[0:1], s[4:5]
	s_cbranch_execz .LBB86_354
; %bb.353:
	scratch_store_dwordx2 v10, v[6:7], off
.LBB86_354:
	s_or_b64 exec, exec, s[0:1]
	scratch_load_dwordx4 v[2:5], off, off
	scratch_load_dwordx4 v[6:9], v79, off
	scratch_load_dwordx4 v[10:13], v76, off
	;; [unrolled: 1-line block ×6, first 2 shown]
	s_waitcnt vmcnt(6)
	global_store_dwordx4 v[16:17], v[2:5], off
	scratch_load_dwordx4 v[2:5], v74, off
	s_nop 0
	scratch_load_dwordx4 v[76:79], v75, off
	s_waitcnt vmcnt(8)
	global_store_dwordx4 v[14:15], v[6:9], off
	scratch_load_dwordx4 v[6:9], v72, off
	s_nop 0
	scratch_load_dwordx4 v[14:17], v73, off
	;; [unrolled: 5-line block ×8, first 2 shown]
	s_waitcnt vmcnt(21)
	global_store_dwordx4 v[30:31], v[76:79], off
	s_waitcnt vmcnt(20)
	global_store_dwordx4 v[32:33], v[6:9], off
	;; [unrolled: 2-line block ×15, first 2 shown]
.LBB86_355:
	s_endpgm
	.section	.rodata,"a",@progbits
	.p2align	6, 0x0
	.amdhsa_kernel _ZN9rocsolver6v33100L18trti2_kernel_smallILi23E19rocblas_complex_numIdEPKPS3_EEv13rocblas_fill_17rocblas_diagonal_T1_iil
		.amdhsa_group_segment_fixed_size 736
		.amdhsa_private_segment_fixed_size 384
		.amdhsa_kernarg_size 32
		.amdhsa_user_sgpr_count 2
		.amdhsa_user_sgpr_dispatch_ptr 0
		.amdhsa_user_sgpr_queue_ptr 0
		.amdhsa_user_sgpr_kernarg_segment_ptr 1
		.amdhsa_user_sgpr_dispatch_id 0
		.amdhsa_user_sgpr_kernarg_preload_length 0
		.amdhsa_user_sgpr_kernarg_preload_offset 0
		.amdhsa_user_sgpr_private_segment_size 0
		.amdhsa_uses_dynamic_stack 0
		.amdhsa_enable_private_segment 1
		.amdhsa_system_sgpr_workgroup_id_x 1
		.amdhsa_system_sgpr_workgroup_id_y 0
		.amdhsa_system_sgpr_workgroup_id_z 0
		.amdhsa_system_sgpr_workgroup_info 0
		.amdhsa_system_vgpr_workitem_id 0
		.amdhsa_next_free_vgpr 98
		.amdhsa_next_free_sgpr 12
		.amdhsa_accum_offset 100
		.amdhsa_reserve_vcc 1
		.amdhsa_float_round_mode_32 0
		.amdhsa_float_round_mode_16_64 0
		.amdhsa_float_denorm_mode_32 3
		.amdhsa_float_denorm_mode_16_64 3
		.amdhsa_dx10_clamp 1
		.amdhsa_ieee_mode 1
		.amdhsa_fp16_overflow 0
		.amdhsa_tg_split 0
		.amdhsa_exception_fp_ieee_invalid_op 0
		.amdhsa_exception_fp_denorm_src 0
		.amdhsa_exception_fp_ieee_div_zero 0
		.amdhsa_exception_fp_ieee_overflow 0
		.amdhsa_exception_fp_ieee_underflow 0
		.amdhsa_exception_fp_ieee_inexact 0
		.amdhsa_exception_int_div_zero 0
	.end_amdhsa_kernel
	.section	.text._ZN9rocsolver6v33100L18trti2_kernel_smallILi23E19rocblas_complex_numIdEPKPS3_EEv13rocblas_fill_17rocblas_diagonal_T1_iil,"axG",@progbits,_ZN9rocsolver6v33100L18trti2_kernel_smallILi23E19rocblas_complex_numIdEPKPS3_EEv13rocblas_fill_17rocblas_diagonal_T1_iil,comdat
.Lfunc_end86:
	.size	_ZN9rocsolver6v33100L18trti2_kernel_smallILi23E19rocblas_complex_numIdEPKPS3_EEv13rocblas_fill_17rocblas_diagonal_T1_iil, .Lfunc_end86-_ZN9rocsolver6v33100L18trti2_kernel_smallILi23E19rocblas_complex_numIdEPKPS3_EEv13rocblas_fill_17rocblas_diagonal_T1_iil
                                        ; -- End function
	.section	.AMDGPU.csdata,"",@progbits
; Kernel info:
; codeLenInByte = 15008
; NumSgprs: 18
; NumVgprs: 98
; NumAgprs: 0
; TotalNumVgprs: 98
; ScratchSize: 384
; MemoryBound: 0
; FloatMode: 240
; IeeeMode: 1
; LDSByteSize: 736 bytes/workgroup (compile time only)
; SGPRBlocks: 2
; VGPRBlocks: 12
; NumSGPRsForWavesPerEU: 18
; NumVGPRsForWavesPerEU: 98
; AccumOffset: 100
; Occupancy: 4
; WaveLimiterHint : 1
; COMPUTE_PGM_RSRC2:SCRATCH_EN: 1
; COMPUTE_PGM_RSRC2:USER_SGPR: 2
; COMPUTE_PGM_RSRC2:TRAP_HANDLER: 0
; COMPUTE_PGM_RSRC2:TGID_X_EN: 1
; COMPUTE_PGM_RSRC2:TGID_Y_EN: 0
; COMPUTE_PGM_RSRC2:TGID_Z_EN: 0
; COMPUTE_PGM_RSRC2:TIDIG_COMP_CNT: 0
; COMPUTE_PGM_RSRC3_GFX90A:ACCUM_OFFSET: 24
; COMPUTE_PGM_RSRC3_GFX90A:TG_SPLIT: 0
	.section	.text._ZN9rocsolver6v33100L18trti2_kernel_smallILi24E19rocblas_complex_numIdEPKPS3_EEv13rocblas_fill_17rocblas_diagonal_T1_iil,"axG",@progbits,_ZN9rocsolver6v33100L18trti2_kernel_smallILi24E19rocblas_complex_numIdEPKPS3_EEv13rocblas_fill_17rocblas_diagonal_T1_iil,comdat
	.globl	_ZN9rocsolver6v33100L18trti2_kernel_smallILi24E19rocblas_complex_numIdEPKPS3_EEv13rocblas_fill_17rocblas_diagonal_T1_iil ; -- Begin function _ZN9rocsolver6v33100L18trti2_kernel_smallILi24E19rocblas_complex_numIdEPKPS3_EEv13rocblas_fill_17rocblas_diagonal_T1_iil
	.p2align	8
	.type	_ZN9rocsolver6v33100L18trti2_kernel_smallILi24E19rocblas_complex_numIdEPKPS3_EEv13rocblas_fill_17rocblas_diagonal_T1_iil,@function
_ZN9rocsolver6v33100L18trti2_kernel_smallILi24E19rocblas_complex_numIdEPKPS3_EEv13rocblas_fill_17rocblas_diagonal_T1_iil: ; @_ZN9rocsolver6v33100L18trti2_kernel_smallILi24E19rocblas_complex_numIdEPKPS3_EEv13rocblas_fill_17rocblas_diagonal_T1_iil
; %bb.0:
	v_cmp_gt_u32_e32 vcc, 24, v0
	s_and_saveexec_b64 s[4:5], vcc
	s_cbranch_execz .LBB87_371
; %bb.1:
	s_load_dwordx2 s[8:9], s[0:1], 0x10
	s_load_dwordx4 s[4:7], s[0:1], 0x0
	s_ashr_i32 s3, s2, 31
	s_lshl_b64 s[0:1], s[2:3], 3
	v_lshlrev_b32_e32 v18, 4, v0
	s_waitcnt lgkmcnt(0)
	s_ashr_i32 s3, s8, 31
	s_add_u32 s0, s6, s0
	s_addc_u32 s1, s7, s1
	s_load_dwordx2 s[0:1], s[0:1], 0x0
	s_mov_b32 s2, s8
	s_lshl_b64 s[2:3], s[2:3], 4
	v_mov_b32_e32 v19, 0
	s_mov_b32 s6, s9
	s_waitcnt lgkmcnt(0)
	s_add_u32 s0, s0, s2
	s_addc_u32 s1, s1, s3
	s_add_i32 s2, s9, s9
	v_add_u32_e32 v10, s2, v0
	s_ashr_i32 s7, s9, 31
	v_lshl_add_u64 v[16:17], s[0:1], 0, v[18:19]
	v_add_u32_e32 v20, s9, v10
	v_ashrrev_i32_e32 v11, 31, v10
	global_load_dwordx4 v[2:5], v18, s[0:1]
	v_lshl_add_u64 v[14:15], s[6:7], 4, v[16:17]
	global_load_dwordx4 v[6:9], v[14:15], off
	v_lshl_add_u64 v[38:39], v[10:11], 4, s[0:1]
	v_ashrrev_i32_e32 v21, 31, v20
	global_load_dwordx4 v[10:13], v[38:39], off
	v_lshl_add_u64 v[34:35], v[20:21], 4, s[0:1]
	global_load_dwordx4 v[44:47], v[34:35], off
	v_add_u32_e32 v20, s9, v20
	v_ashrrev_i32_e32 v21, 31, v20
	v_lshl_add_u64 v[28:29], v[20:21], 4, s[0:1]
	global_load_dwordx4 v[48:51], v[28:29], off
	v_add_u32_e32 v20, s9, v20
	v_add_u32_e32 v22, s9, v20
	v_ashrrev_i32_e32 v21, 31, v20
	v_add_u32_e32 v26, s9, v22
	v_lshl_add_u64 v[30:31], v[20:21], 4, s[0:1]
	v_ashrrev_i32_e32 v23, 31, v22
	v_add_u32_e32 v20, s9, v26
	v_lshl_add_u64 v[24:25], v[22:23], 4, s[0:1]
	v_add_u32_e32 v22, s9, v20
	v_add_u32_e32 v32, s9, v22
	v_add_u32_e32 v40, s9, v32
	v_add_u32_e32 v42, s9, v40
	v_add_u32_e32 v76, s9, v42
	v_add_u32_e32 v80, s9, v76
	v_add_u32_e32 v84, s9, v80
	v_add_u32_e32 v86, s9, v84
	v_add_u32_e32 v92, s9, v86
	v_add_u32_e32 v94, s9, v92
	v_add_u32_e32 v96, s9, v94
	v_add_u32_e32 v98, s9, v96
	v_add_u32_e32 v100, s9, v98
	v_add_u32_e32 v102, s9, v100
	v_add_u32_e32 v36, s9, v102
	v_ashrrev_i32_e32 v27, 31, v26
	v_ashrrev_i32_e32 v37, 31, v36
	v_lshl_add_u64 v[26:27], v[26:27], 4, s[0:1]
	v_ashrrev_i32_e32 v21, 31, v20
	v_ashrrev_i32_e32 v23, 31, v22
	v_lshl_add_u64 v[36:37], v[36:37], 4, s[0:1]
	global_load_dwordx4 v[52:55], v[30:31], off
	global_load_dwordx4 v[56:59], v[24:25], off
	v_lshl_add_u64 v[20:21], v[20:21], 4, s[0:1]
	global_load_dwordx4 v[60:63], v[26:27], off
	global_load_dwordx4 v[64:67], v[20:21], off
	v_lshl_add_u64 v[22:23], v[22:23], 4, s[0:1]
	v_ashrrev_i32_e32 v33, 31, v32
	v_ashrrev_i32_e32 v41, 31, v40
	global_load_dwordx4 v[68:71], v[36:37], off
	v_lshl_add_u64 v[32:33], v[32:33], 4, s[0:1]
	v_lshl_add_u64 v[40:41], v[40:41], 4, s[0:1]
	v_ashrrev_i32_e32 v43, 31, v42
	v_lshl_add_u64 v[42:43], v[42:43], 4, s[0:1]
	v_ashrrev_i32_e32 v77, 31, v76
	v_ashrrev_i32_e32 v81, 31, v80
	;; [unrolled: 1-line block ×10, first 2 shown]
	s_cmpk_lg_i32 s5, 0x84
	s_cselect_b64 s[6:7], -1, 0
	s_cmpk_eq_i32 s5, 0x84
	s_waitcnt vmcnt(9)
	scratch_store_dwordx4 off, v[2:5], off
	s_waitcnt vmcnt(9)
	scratch_store_dwordx4 off, v[6:9], off offset:16
	global_load_dwordx4 v[2:5], v[22:23], off
	s_nop 0
	global_load_dwordx4 v[6:9], v[32:33], off
	s_waitcnt vmcnt(11)
	scratch_store_dwordx4 off, v[10:13], off offset:32
	s_waitcnt vmcnt(11)
	scratch_store_dwordx4 off, v[44:47], off offset:48
	global_load_dwordx4 v[10:13], v[40:41], off
	global_load_dwordx4 v[72:75], v[42:43], off
	v_lshl_add_u64 v[44:45], v[76:77], 4, s[0:1]
	global_load_dwordx4 v[76:79], v[44:45], off
	v_lshl_add_u64 v[46:47], v[80:81], 4, s[0:1]
	global_load_dwordx4 v[80:83], v[46:47], off
	s_waitcnt vmcnt(15)
	scratch_store_dwordx4 off, v[48:51], off offset:64
	s_waitcnt vmcnt(15)
	scratch_store_dwordx4 off, v[52:55], off offset:80
	v_lshl_add_u64 v[48:49], v[84:85], 4, s[0:1]
	s_waitcnt vmcnt(15)
	scratch_store_dwordx4 off, v[56:59], off offset:96
	s_waitcnt vmcnt(15)
	scratch_store_dwordx4 off, v[60:63], off offset:112
	v_lshl_add_u64 v[50:51], v[86:87], 4, s[0:1]
	global_load_dwordx4 v[84:87], v[48:49], off
	global_load_dwordx4 v[88:91], v[50:51], off
	v_lshl_add_u64 v[52:53], v[92:93], 4, s[0:1]
	v_lshl_add_u64 v[56:57], v[96:97], 4, s[0:1]
	;; [unrolled: 1-line block ×6, first 2 shown]
	s_waitcnt vmcnt(17)
	scratch_store_dwordx4 off, v[64:67], off offset:128
	s_waitcnt vmcnt(14)
	scratch_store_dwordx4 off, v[2:5], off offset:144
	;; [unrolled: 2-line block ×6, first 2 shown]
	global_load_dwordx4 v[2:5], v[52:53], off
	global_load_dwordx4 v[6:9], v[54:55], off
	;; [unrolled: 1-line block ×6, first 2 shown]
	s_waitcnt vmcnt(18)
	scratch_store_dwordx4 off, v[80:83], off offset:224
	s_waitcnt vmcnt(14)
	scratch_store_dwordx4 off, v[84:87], off offset:240
	;; [unrolled: 2-line block ×8, first 2 shown]
	v_mov_b32_e32 v12, 0
	s_waitcnt vmcnt(8)
	scratch_store_dwordx4 off, v[76:79], off offset:352
	scratch_store_dwordx4 off, v[68:71], off offset:368
	s_cbranch_scc1 .LBB87_7
; %bb.2:
	scratch_load_dwordx4 v[2:5], v18, off
                                        ; implicit-def: $vgpr10_vgpr11
	s_waitcnt vmcnt(0)
	v_xor_b32_e32 v1, 0x80000000, v3
	v_cmp_gt_f64_e32 vcc, 0, v[2:3]
	v_xor_b32_e32 v8, 0x80000000, v5
	v_mov_b32_e32 v6, v2
	v_cndmask_b32_e32 v7, v3, v1, vcc
	v_cmp_gt_f64_e32 vcc, 0, v[4:5]
	s_nop 1
	v_cndmask_b32_e32 v9, v5, v8, vcc
	v_mov_b32_e32 v8, v4
	v_cmp_ngt_f64_e32 vcc, v[6:7], v[8:9]
                                        ; implicit-def: $vgpr6_vgpr7
	s_and_saveexec_b64 s[0:1], vcc
	s_xor_b64 s[0:1], exec, s[0:1]
	s_cbranch_execz .LBB87_4
; %bb.3:
	v_div_scale_f64 v[6:7], s[2:3], v[4:5], v[4:5], v[2:3]
	v_rcp_f64_e32 v[8:9], v[6:7]
	v_div_scale_f64 v[10:11], vcc, v[2:3], v[4:5], v[2:3]
	v_fma_f64 v[64:65], -v[6:7], v[8:9], 1.0
	v_fmac_f64_e32 v[8:9], v[8:9], v[64:65]
	v_fma_f64 v[64:65], -v[6:7], v[8:9], 1.0
	v_fmac_f64_e32 v[8:9], v[8:9], v[64:65]
	v_mul_f64 v[64:65], v[10:11], v[8:9]
	v_fma_f64 v[6:7], -v[6:7], v[64:65], v[10:11]
	v_div_fmas_f64 v[6:7], v[6:7], v[8:9], v[64:65]
	v_div_fixup_f64 v[6:7], v[6:7], v[4:5], v[2:3]
	v_fmac_f64_e32 v[4:5], v[2:3], v[6:7]
	v_div_scale_f64 v[2:3], s[2:3], v[4:5], v[4:5], 1.0
	v_rcp_f64_e32 v[8:9], v[2:3]
	s_nop 0
	v_fma_f64 v[10:11], -v[2:3], v[8:9], 1.0
	v_fmac_f64_e32 v[8:9], v[8:9], v[10:11]
	v_fma_f64 v[10:11], -v[2:3], v[8:9], 1.0
	v_fmac_f64_e32 v[8:9], v[8:9], v[10:11]
	v_div_scale_f64 v[10:11], vcc, 1.0, v[4:5], 1.0
	v_mul_f64 v[64:65], v[10:11], v[8:9]
	v_fma_f64 v[2:3], -v[2:3], v[64:65], v[10:11]
	s_nop 1
	v_div_fmas_f64 v[2:3], v[2:3], v[8:9], v[64:65]
	v_div_fixup_f64 v[8:9], v[2:3], v[4:5], 1.0
	v_mul_f64 v[6:7], v[6:7], v[8:9]
	v_xor_b32_e32 v9, 0x80000000, v9
	v_xor_b32_e32 v11, 0x80000000, v7
	v_mov_b32_e32 v10, v6
                                        ; implicit-def: $vgpr2_vgpr3
.LBB87_4:
	s_or_saveexec_b64 s[0:1], s[0:1]
	v_add_u32_e32 v1, 0, v18
	s_xor_b64 exec, exec, s[0:1]
	s_cbranch_execz .LBB87_6
; %bb.5:
	v_div_scale_f64 v[6:7], s[2:3], v[2:3], v[2:3], v[4:5]
	v_rcp_f64_e32 v[8:9], v[6:7]
	v_div_scale_f64 v[10:11], vcc, v[4:5], v[2:3], v[4:5]
	v_fma_f64 v[64:65], -v[6:7], v[8:9], 1.0
	v_fmac_f64_e32 v[8:9], v[8:9], v[64:65]
	v_fma_f64 v[64:65], -v[6:7], v[8:9], 1.0
	v_fmac_f64_e32 v[8:9], v[8:9], v[64:65]
	v_mul_f64 v[64:65], v[10:11], v[8:9]
	v_fma_f64 v[6:7], -v[6:7], v[64:65], v[10:11]
	v_div_fmas_f64 v[6:7], v[6:7], v[8:9], v[64:65]
	v_div_fixup_f64 v[8:9], v[6:7], v[2:3], v[4:5]
	v_fmac_f64_e32 v[2:3], v[4:5], v[8:9]
	v_div_scale_f64 v[4:5], s[2:3], v[2:3], v[2:3], 1.0
	v_rcp_f64_e32 v[6:7], v[4:5]
	s_nop 0
	v_fma_f64 v[10:11], -v[4:5], v[6:7], 1.0
	v_fmac_f64_e32 v[6:7], v[6:7], v[10:11]
	v_fma_f64 v[10:11], -v[4:5], v[6:7], 1.0
	v_fmac_f64_e32 v[6:7], v[6:7], v[10:11]
	v_div_scale_f64 v[10:11], vcc, 1.0, v[2:3], 1.0
	v_mul_f64 v[64:65], v[10:11], v[6:7]
	v_fma_f64 v[4:5], -v[4:5], v[64:65], v[10:11]
	s_nop 1
	v_div_fmas_f64 v[4:5], v[4:5], v[6:7], v[64:65]
	v_div_fixup_f64 v[6:7], v[4:5], v[2:3], 1.0
	v_xor_b32_e32 v11, 0x80000000, v7
	v_mov_b32_e32 v10, v6
	v_mul_f64 v[8:9], v[8:9], -v[6:7]
.LBB87_6:
	s_or_b64 exec, exec, s[0:1]
	scratch_store_dwordx4 v1, v[6:9], off
	s_nop 1
	v_xor_b32_e32 v9, 0x80000000, v9
	s_branch .LBB87_8
.LBB87_7:
	v_mov_b64_e32 v[8:9], 0
	v_mov_b64_e32 v[10:11], -1.0
.LBB87_8:
	v_add_u32_e32 v80, 16, v12
	v_add_u32_e32 v83, 32, v12
	;; [unrolled: 1-line block ×23, first 2 shown]
	v_mov_b32_e32 v12, v8
	v_mov_b32_e32 v13, v9
	s_cmpk_eq_i32 s4, 0x79
	v_add_u32_e32 v9, 0x180, v18
	v_add_u32_e32 v8, 0, v18
	ds_write_b128 v18, v[10:13]
	s_cbranch_scc1 .LBB87_188
; %bb.9:
	scratch_load_dwordx4 v[2:5], v1, off
	v_cmp_eq_u32_e64 s[0:1], 23, v0
	s_waitcnt vmcnt(0)
	ds_write_b128 v9, v[2:5]
	s_waitcnt lgkmcnt(0)
	; wave barrier
	s_waitcnt lgkmcnt(0)
	s_and_saveexec_b64 s[2:3], s[0:1]
	s_cbranch_execz .LBB87_13
; %bb.10:
	ds_read_b128 v[2:5], v9
	s_andn2_b64 vcc, exec, s[6:7]
	s_cbranch_vccnz .LBB87_12
; %bb.11:
	scratch_load_dwordx4 v[10:13], v8, off
	s_waitcnt vmcnt(0) lgkmcnt(0)
	v_mul_f64 v[6:7], v[4:5], v[12:13]
	v_mul_f64 v[12:13], v[2:3], v[12:13]
	v_fmac_f64_e32 v[12:13], v[4:5], v[10:11]
	v_fma_f64 v[2:3], v[2:3], v[10:11], -v[6:7]
	v_mov_b64_e32 v[4:5], v[12:13]
.LBB87_12:
	v_mov_b32_e32 v6, 0
	ds_read_b128 v[10:13], v6 offset:352
	s_waitcnt lgkmcnt(0)
	v_mul_f64 v[6:7], v[4:5], v[12:13]
	v_mul_f64 v[88:89], v[2:3], v[12:13]
	v_fma_f64 v[86:87], v[2:3], v[10:11], -v[6:7]
	v_fmac_f64_e32 v[88:89], v[4:5], v[10:11]
	scratch_store_dwordx4 off, v[86:89], off offset:352
.LBB87_13:
	s_or_b64 exec, exec, s[2:3]
	scratch_load_dwordx4 v[2:5], v64, off
	v_cmp_lt_u32_e64 s[2:3], 21, v0
	s_waitcnt vmcnt(0)
	ds_write_b128 v9, v[2:5]
	s_waitcnt lgkmcnt(0)
	; wave barrier
	s_waitcnt lgkmcnt(0)
	s_and_saveexec_b64 s[4:5], s[2:3]
	s_cbranch_execz .LBB87_19
; %bb.14:
	ds_read_b128 v[2:5], v9
	s_andn2_b64 vcc, exec, s[6:7]
	s_cbranch_vccnz .LBB87_16
; %bb.15:
	scratch_load_dwordx4 v[10:13], v8, off
	s_waitcnt vmcnt(0) lgkmcnt(0)
	v_mul_f64 v[6:7], v[4:5], v[12:13]
	v_mul_f64 v[12:13], v[2:3], v[12:13]
	v_fmac_f64_e32 v[12:13], v[4:5], v[10:11]
	v_fma_f64 v[2:3], v[2:3], v[10:11], -v[6:7]
	v_mov_b64_e32 v[4:5], v[12:13]
.LBB87_16:
	s_and_saveexec_b64 s[8:9], s[0:1]
	s_cbranch_execz .LBB87_18
; %bb.17:
	scratch_load_dwordx4 v[10:13], off, off offset:352
	v_mov_b32_e32 v6, 0
	ds_read_b128 v[86:89], v6 offset:736
	s_waitcnt vmcnt(0) lgkmcnt(0)
	v_mul_f64 v[6:7], v[86:87], v[12:13]
	v_mul_f64 v[12:13], v[88:89], v[12:13]
	v_fmac_f64_e32 v[6:7], v[88:89], v[10:11]
	v_fma_f64 v[10:11], v[86:87], v[10:11], -v[12:13]
	v_add_f64 v[4:5], v[4:5], v[6:7]
	v_add_f64 v[2:3], v[2:3], v[10:11]
.LBB87_18:
	s_or_b64 exec, exec, s[8:9]
	v_mov_b32_e32 v6, 0
	ds_read_b128 v[10:13], v6 offset:336
	s_waitcnt lgkmcnt(0)
	v_mul_f64 v[6:7], v[4:5], v[12:13]
	v_mul_f64 v[88:89], v[2:3], v[12:13]
	v_fma_f64 v[86:87], v[2:3], v[10:11], -v[6:7]
	v_fmac_f64_e32 v[88:89], v[4:5], v[10:11]
	scratch_store_dwordx4 off, v[86:89], off offset:336
.LBB87_19:
	s_or_b64 exec, exec, s[4:5]
	scratch_load_dwordx4 v[2:5], v65, off
	v_cmp_lt_u32_e64 s[0:1], 20, v0
	s_waitcnt vmcnt(0)
	ds_write_b128 v9, v[2:5]
	s_waitcnt lgkmcnt(0)
	; wave barrier
	s_waitcnt lgkmcnt(0)
	s_and_saveexec_b64 s[4:5], s[0:1]
	s_cbranch_execz .LBB87_27
; %bb.20:
	ds_read_b128 v[2:5], v9
	s_andn2_b64 vcc, exec, s[6:7]
	s_cbranch_vccnz .LBB87_22
; %bb.21:
	scratch_load_dwordx4 v[10:13], v8, off
	s_waitcnt vmcnt(0) lgkmcnt(0)
	v_mul_f64 v[6:7], v[4:5], v[12:13]
	v_mul_f64 v[12:13], v[2:3], v[12:13]
	v_fmac_f64_e32 v[12:13], v[4:5], v[10:11]
	v_fma_f64 v[2:3], v[2:3], v[10:11], -v[6:7]
	v_mov_b64_e32 v[4:5], v[12:13]
.LBB87_22:
	s_and_saveexec_b64 s[8:9], s[2:3]
	s_cbranch_execz .LBB87_26
; %bb.23:
	v_mov_b32_e32 v7, 0
	v_subrev_u32_e32 v6, 21, v0
	v_add_u32_e32 v7, 0x158, v7
	s_movk_i32 s10, 0x2d0
	s_mov_b64 s[2:3], 0
.LBB87_24:                              ; =>This Inner Loop Header: Depth=1
	v_add_u32_e32 v10, -8, v7
	scratch_load_dwordx4 v[10:13], v10, off
	v_mov_b32_e32 v85, s10
	ds_read_b128 v[86:89], v85
	v_add_u32_e32 v6, -1, v6
	s_add_i32 s10, s10, 16
	v_cmp_eq_u32_e32 vcc, 0, v6
	v_add_u32_e32 v7, 16, v7
	s_or_b64 s[2:3], vcc, s[2:3]
	s_waitcnt vmcnt(0) lgkmcnt(0)
	v_mul_f64 v[90:91], v[88:89], v[12:13]
	v_mul_f64 v[12:13], v[86:87], v[12:13]
	v_fma_f64 v[86:87], v[86:87], v[10:11], -v[90:91]
	v_fmac_f64_e32 v[12:13], v[88:89], v[10:11]
	v_add_f64 v[2:3], v[2:3], v[86:87]
	v_add_f64 v[4:5], v[4:5], v[12:13]
	s_andn2_b64 exec, exec, s[2:3]
	s_cbranch_execnz .LBB87_24
; %bb.25:
	s_or_b64 exec, exec, s[2:3]
.LBB87_26:
	s_or_b64 exec, exec, s[8:9]
	v_mov_b32_e32 v6, 0
	ds_read_b128 v[10:13], v6 offset:320
	s_waitcnt lgkmcnt(0)
	v_mul_f64 v[6:7], v[4:5], v[12:13]
	v_mul_f64 v[88:89], v[2:3], v[12:13]
	v_fma_f64 v[86:87], v[2:3], v[10:11], -v[6:7]
	v_fmac_f64_e32 v[88:89], v[4:5], v[10:11]
	scratch_store_dwordx4 off, v[86:89], off offset:320
.LBB87_27:
	s_or_b64 exec, exec, s[4:5]
	scratch_load_dwordx4 v[2:5], v66, off
	v_cmp_lt_u32_e64 s[2:3], 19, v0
	s_waitcnt vmcnt(0)
	ds_write_b128 v9, v[2:5]
	s_waitcnt lgkmcnt(0)
	; wave barrier
	s_waitcnt lgkmcnt(0)
	s_and_saveexec_b64 s[4:5], s[2:3]
	s_cbranch_execz .LBB87_35
; %bb.28:
	ds_read_b128 v[2:5], v9
	s_andn2_b64 vcc, exec, s[6:7]
	s_cbranch_vccnz .LBB87_30
; %bb.29:
	scratch_load_dwordx4 v[10:13], v8, off
	s_waitcnt vmcnt(0) lgkmcnt(0)
	v_mul_f64 v[6:7], v[4:5], v[12:13]
	v_mul_f64 v[12:13], v[2:3], v[12:13]
	v_fmac_f64_e32 v[12:13], v[4:5], v[10:11]
	v_fma_f64 v[2:3], v[2:3], v[10:11], -v[6:7]
	v_mov_b64_e32 v[4:5], v[12:13]
.LBB87_30:
	s_and_saveexec_b64 s[8:9], s[0:1]
	s_cbranch_execz .LBB87_34
; %bb.31:
	v_mov_b32_e32 v7, 0
	v_subrev_u32_e32 v6, 20, v0
	v_add_u32_e32 v7, 0x148, v7
	s_movk_i32 s10, 0x2c0
	s_mov_b64 s[0:1], 0
.LBB87_32:                              ; =>This Inner Loop Header: Depth=1
	v_add_u32_e32 v10, -8, v7
	scratch_load_dwordx4 v[10:13], v10, off
	v_mov_b32_e32 v85, s10
	ds_read_b128 v[86:89], v85
	v_add_u32_e32 v6, -1, v6
	s_add_i32 s10, s10, 16
	v_cmp_eq_u32_e32 vcc, 0, v6
	v_add_u32_e32 v7, 16, v7
	s_or_b64 s[0:1], vcc, s[0:1]
	s_waitcnt vmcnt(0) lgkmcnt(0)
	v_mul_f64 v[90:91], v[88:89], v[12:13]
	v_mul_f64 v[12:13], v[86:87], v[12:13]
	v_fma_f64 v[86:87], v[86:87], v[10:11], -v[90:91]
	v_fmac_f64_e32 v[12:13], v[88:89], v[10:11]
	v_add_f64 v[2:3], v[2:3], v[86:87]
	v_add_f64 v[4:5], v[4:5], v[12:13]
	s_andn2_b64 exec, exec, s[0:1]
	s_cbranch_execnz .LBB87_32
; %bb.33:
	s_or_b64 exec, exec, s[0:1]
.LBB87_34:
	s_or_b64 exec, exec, s[8:9]
	v_mov_b32_e32 v6, 0
	ds_read_b128 v[10:13], v6 offset:304
	s_waitcnt lgkmcnt(0)
	v_mul_f64 v[6:7], v[4:5], v[12:13]
	v_mul_f64 v[88:89], v[2:3], v[12:13]
	v_fma_f64 v[86:87], v[2:3], v[10:11], -v[6:7]
	v_fmac_f64_e32 v[88:89], v[4:5], v[10:11]
	scratch_store_dwordx4 off, v[86:89], off offset:304
.LBB87_35:
	;; [unrolled: 63-line block ×5, first 2 shown]
	s_or_b64 exec, exec, s[4:5]
	scratch_load_dwordx4 v[2:5], v71, off
	v_cmp_lt_u32_e64 s[2:3], 15, v0
	s_waitcnt vmcnt(0)
	ds_write_b128 v9, v[2:5]
	s_waitcnt lgkmcnt(0)
	; wave barrier
	s_waitcnt lgkmcnt(0)
	s_and_saveexec_b64 s[4:5], s[2:3]
	s_cbranch_execz .LBB87_67
; %bb.60:
	ds_read_b128 v[2:5], v9
	s_andn2_b64 vcc, exec, s[6:7]
	s_cbranch_vccnz .LBB87_62
; %bb.61:
	scratch_load_dwordx4 v[10:13], v8, off
	s_waitcnt vmcnt(0) lgkmcnt(0)
	v_mul_f64 v[6:7], v[4:5], v[12:13]
	v_mul_f64 v[12:13], v[2:3], v[12:13]
	v_fmac_f64_e32 v[12:13], v[4:5], v[10:11]
	v_fma_f64 v[2:3], v[2:3], v[10:11], -v[6:7]
	v_mov_b64_e32 v[4:5], v[12:13]
.LBB87_62:
	s_and_saveexec_b64 s[8:9], s[0:1]
	s_cbranch_execz .LBB87_66
; %bb.63:
	v_mov_b32_e32 v7, 0
	v_add_u32_e32 v6, -16, v0
	v_add_u32_e32 v7, 0x108, v7
	s_movk_i32 s10, 0x280
	s_mov_b64 s[0:1], 0
.LBB87_64:                              ; =>This Inner Loop Header: Depth=1
	v_add_u32_e32 v10, -8, v7
	scratch_load_dwordx4 v[10:13], v10, off
	v_mov_b32_e32 v85, s10
	ds_read_b128 v[86:89], v85
	v_add_u32_e32 v6, -1, v6
	s_add_i32 s10, s10, 16
	v_cmp_eq_u32_e32 vcc, 0, v6
	v_add_u32_e32 v7, 16, v7
	s_or_b64 s[0:1], vcc, s[0:1]
	s_waitcnt vmcnt(0) lgkmcnt(0)
	v_mul_f64 v[90:91], v[88:89], v[12:13]
	v_mul_f64 v[12:13], v[86:87], v[12:13]
	v_fma_f64 v[86:87], v[86:87], v[10:11], -v[90:91]
	v_fmac_f64_e32 v[12:13], v[88:89], v[10:11]
	v_add_f64 v[2:3], v[2:3], v[86:87]
	v_add_f64 v[4:5], v[4:5], v[12:13]
	s_andn2_b64 exec, exec, s[0:1]
	s_cbranch_execnz .LBB87_64
; %bb.65:
	s_or_b64 exec, exec, s[0:1]
.LBB87_66:
	s_or_b64 exec, exec, s[8:9]
	v_mov_b32_e32 v6, 0
	ds_read_b128 v[10:13], v6 offset:240
	s_waitcnt lgkmcnt(0)
	v_mul_f64 v[6:7], v[4:5], v[12:13]
	v_mul_f64 v[88:89], v[2:3], v[12:13]
	v_fma_f64 v[86:87], v[2:3], v[10:11], -v[6:7]
	v_fmac_f64_e32 v[88:89], v[4:5], v[10:11]
	scratch_store_dwordx4 off, v[86:89], off offset:240
.LBB87_67:
	s_or_b64 exec, exec, s[4:5]
	scratch_load_dwordx4 v[2:5], v70, off
	v_cmp_lt_u32_e64 s[0:1], 14, v0
	s_waitcnt vmcnt(0)
	ds_write_b128 v9, v[2:5]
	s_waitcnt lgkmcnt(0)
	; wave barrier
	s_waitcnt lgkmcnt(0)
	s_and_saveexec_b64 s[4:5], s[0:1]
	s_cbranch_execz .LBB87_75
; %bb.68:
	ds_read_b128 v[2:5], v9
	s_andn2_b64 vcc, exec, s[6:7]
	s_cbranch_vccnz .LBB87_70
; %bb.69:
	scratch_load_dwordx4 v[10:13], v8, off
	s_waitcnt vmcnt(0) lgkmcnt(0)
	v_mul_f64 v[6:7], v[4:5], v[12:13]
	v_mul_f64 v[12:13], v[2:3], v[12:13]
	v_fmac_f64_e32 v[12:13], v[4:5], v[10:11]
	v_fma_f64 v[2:3], v[2:3], v[10:11], -v[6:7]
	v_mov_b64_e32 v[4:5], v[12:13]
.LBB87_70:
	s_and_saveexec_b64 s[8:9], s[2:3]
	s_cbranch_execz .LBB87_74
; %bb.71:
	v_mov_b32_e32 v7, 0
	v_add_u32_e32 v6, -15, v0
	v_add_u32_e32 v7, 0xf8, v7
	s_movk_i32 s10, 0x270
	s_mov_b64 s[2:3], 0
.LBB87_72:                              ; =>This Inner Loop Header: Depth=1
	v_add_u32_e32 v10, -8, v7
	scratch_load_dwordx4 v[10:13], v10, off
	v_mov_b32_e32 v85, s10
	ds_read_b128 v[86:89], v85
	v_add_u32_e32 v6, -1, v6
	s_add_i32 s10, s10, 16
	v_cmp_eq_u32_e32 vcc, 0, v6
	v_add_u32_e32 v7, 16, v7
	s_or_b64 s[2:3], vcc, s[2:3]
	s_waitcnt vmcnt(0) lgkmcnt(0)
	v_mul_f64 v[90:91], v[88:89], v[12:13]
	v_mul_f64 v[12:13], v[86:87], v[12:13]
	v_fma_f64 v[86:87], v[86:87], v[10:11], -v[90:91]
	v_fmac_f64_e32 v[12:13], v[88:89], v[10:11]
	v_add_f64 v[2:3], v[2:3], v[86:87]
	v_add_f64 v[4:5], v[4:5], v[12:13]
	s_andn2_b64 exec, exec, s[2:3]
	s_cbranch_execnz .LBB87_72
; %bb.73:
	s_or_b64 exec, exec, s[2:3]
.LBB87_74:
	s_or_b64 exec, exec, s[8:9]
	v_mov_b32_e32 v6, 0
	ds_read_b128 v[10:13], v6 offset:224
	s_waitcnt lgkmcnt(0)
	v_mul_f64 v[6:7], v[4:5], v[12:13]
	v_mul_f64 v[88:89], v[2:3], v[12:13]
	v_fma_f64 v[86:87], v[2:3], v[10:11], -v[6:7]
	v_fmac_f64_e32 v[88:89], v[4:5], v[10:11]
	scratch_store_dwordx4 off, v[86:89], off offset:224
.LBB87_75:
	;; [unrolled: 63-line block ×5, first 2 shown]
	s_or_b64 exec, exec, s[4:5]
	scratch_load_dwordx4 v[2:5], v74, off
	v_cmp_lt_u32_e64 s[0:1], 10, v0
	s_waitcnt vmcnt(0)
	ds_write_b128 v9, v[2:5]
	s_waitcnt lgkmcnt(0)
	; wave barrier
	s_waitcnt lgkmcnt(0)
	s_and_saveexec_b64 s[4:5], s[0:1]
	s_cbranch_execz .LBB87_107
; %bb.100:
	ds_read_b128 v[2:5], v9
	s_andn2_b64 vcc, exec, s[6:7]
	s_cbranch_vccnz .LBB87_102
; %bb.101:
	scratch_load_dwordx4 v[10:13], v8, off
	s_waitcnt vmcnt(0) lgkmcnt(0)
	v_mul_f64 v[6:7], v[4:5], v[12:13]
	v_mul_f64 v[12:13], v[2:3], v[12:13]
	v_fmac_f64_e32 v[12:13], v[4:5], v[10:11]
	v_fma_f64 v[2:3], v[2:3], v[10:11], -v[6:7]
	v_mov_b64_e32 v[4:5], v[12:13]
.LBB87_102:
	s_and_saveexec_b64 s[8:9], s[2:3]
	s_cbranch_execz .LBB87_106
; %bb.103:
	v_mov_b32_e32 v7, 0
	v_add_u32_e32 v6, -11, v0
	v_add_u32_e32 v7, 0xb8, v7
	s_movk_i32 s10, 0x230
	s_mov_b64 s[2:3], 0
.LBB87_104:                             ; =>This Inner Loop Header: Depth=1
	v_add_u32_e32 v10, -8, v7
	scratch_load_dwordx4 v[10:13], v10, off
	v_mov_b32_e32 v85, s10
	ds_read_b128 v[86:89], v85
	v_add_u32_e32 v6, -1, v6
	s_add_i32 s10, s10, 16
	v_cmp_eq_u32_e32 vcc, 0, v6
	v_add_u32_e32 v7, 16, v7
	s_or_b64 s[2:3], vcc, s[2:3]
	s_waitcnt vmcnt(0) lgkmcnt(0)
	v_mul_f64 v[90:91], v[88:89], v[12:13]
	v_mul_f64 v[12:13], v[86:87], v[12:13]
	v_fma_f64 v[86:87], v[86:87], v[10:11], -v[90:91]
	v_fmac_f64_e32 v[12:13], v[88:89], v[10:11]
	v_add_f64 v[2:3], v[2:3], v[86:87]
	v_add_f64 v[4:5], v[4:5], v[12:13]
	s_andn2_b64 exec, exec, s[2:3]
	s_cbranch_execnz .LBB87_104
; %bb.105:
	s_or_b64 exec, exec, s[2:3]
.LBB87_106:
	s_or_b64 exec, exec, s[8:9]
	v_mov_b32_e32 v6, 0
	ds_read_b128 v[10:13], v6 offset:160
	s_waitcnt lgkmcnt(0)
	v_mul_f64 v[6:7], v[4:5], v[12:13]
	v_mul_f64 v[88:89], v[2:3], v[12:13]
	v_fma_f64 v[86:87], v[2:3], v[10:11], -v[6:7]
	v_fmac_f64_e32 v[88:89], v[4:5], v[10:11]
	scratch_store_dwordx4 off, v[86:89], off offset:160
.LBB87_107:
	s_or_b64 exec, exec, s[4:5]
	scratch_load_dwordx4 v[2:5], v77, off
	v_cmp_lt_u32_e64 s[2:3], 9, v0
	s_waitcnt vmcnt(0)
	ds_write_b128 v9, v[2:5]
	s_waitcnt lgkmcnt(0)
	; wave barrier
	s_waitcnt lgkmcnt(0)
	s_and_saveexec_b64 s[4:5], s[2:3]
	s_cbranch_execz .LBB87_115
; %bb.108:
	ds_read_b128 v[2:5], v9
	s_andn2_b64 vcc, exec, s[6:7]
	s_cbranch_vccnz .LBB87_110
; %bb.109:
	scratch_load_dwordx4 v[10:13], v8, off
	s_waitcnt vmcnt(0) lgkmcnt(0)
	v_mul_f64 v[6:7], v[4:5], v[12:13]
	v_mul_f64 v[12:13], v[2:3], v[12:13]
	v_fmac_f64_e32 v[12:13], v[4:5], v[10:11]
	v_fma_f64 v[2:3], v[2:3], v[10:11], -v[6:7]
	v_mov_b64_e32 v[4:5], v[12:13]
.LBB87_110:
	s_and_saveexec_b64 s[8:9], s[0:1]
	s_cbranch_execz .LBB87_114
; %bb.111:
	v_mov_b32_e32 v7, 0
	v_add_u32_e32 v6, -10, v0
	v_add_u32_e32 v7, 0xa8, v7
	s_movk_i32 s10, 0x220
	s_mov_b64 s[0:1], 0
.LBB87_112:                             ; =>This Inner Loop Header: Depth=1
	v_add_u32_e32 v10, -8, v7
	scratch_load_dwordx4 v[10:13], v10, off
	v_mov_b32_e32 v85, s10
	ds_read_b128 v[86:89], v85
	v_add_u32_e32 v6, -1, v6
	s_add_i32 s10, s10, 16
	v_cmp_eq_u32_e32 vcc, 0, v6
	v_add_u32_e32 v7, 16, v7
	s_or_b64 s[0:1], vcc, s[0:1]
	s_waitcnt vmcnt(0) lgkmcnt(0)
	v_mul_f64 v[90:91], v[88:89], v[12:13]
	v_mul_f64 v[12:13], v[86:87], v[12:13]
	v_fma_f64 v[86:87], v[86:87], v[10:11], -v[90:91]
	v_fmac_f64_e32 v[12:13], v[88:89], v[10:11]
	v_add_f64 v[2:3], v[2:3], v[86:87]
	v_add_f64 v[4:5], v[4:5], v[12:13]
	s_andn2_b64 exec, exec, s[0:1]
	s_cbranch_execnz .LBB87_112
; %bb.113:
	s_or_b64 exec, exec, s[0:1]
.LBB87_114:
	s_or_b64 exec, exec, s[8:9]
	v_mov_b32_e32 v6, 0
	ds_read_b128 v[10:13], v6 offset:144
	s_waitcnt lgkmcnt(0)
	v_mul_f64 v[6:7], v[4:5], v[12:13]
	v_mul_f64 v[88:89], v[2:3], v[12:13]
	v_fma_f64 v[86:87], v[2:3], v[10:11], -v[6:7]
	v_fmac_f64_e32 v[88:89], v[4:5], v[10:11]
	scratch_store_dwordx4 off, v[86:89], off offset:144
.LBB87_115:
	;; [unrolled: 63-line block ×10, first 2 shown]
	s_or_b64 exec, exec, s[2:3]
	scratch_load_dwordx4 v[2:5], off, off
	v_cmp_ne_u32_e32 vcc, 0, v0
	s_mov_b64 s[2:3], 0
	s_mov_b64 s[4:5], 0
                                        ; implicit-def: $vgpr6_vgpr7
                                        ; implicit-def: $vgpr10
	s_waitcnt vmcnt(0)
	ds_write_b128 v9, v[2:5]
	s_waitcnt lgkmcnt(0)
	; wave barrier
	s_waitcnt lgkmcnt(0)
	s_and_saveexec_b64 s[8:9], vcc
	s_cbranch_execz .LBB87_187
; %bb.180:
	ds_read_b128 v[2:5], v9
	s_andn2_b64 vcc, exec, s[6:7]
	s_cbranch_vccnz .LBB87_182
; %bb.181:
	scratch_load_dwordx4 v[10:13], v8, off
	s_waitcnt vmcnt(0) lgkmcnt(0)
	v_mul_f64 v[6:7], v[4:5], v[12:13]
	v_mul_f64 v[12:13], v[2:3], v[12:13]
	v_fmac_f64_e32 v[12:13], v[4:5], v[10:11]
	v_fma_f64 v[2:3], v[2:3], v[10:11], -v[6:7]
	v_mov_b64_e32 v[4:5], v[12:13]
.LBB87_182:
	s_and_saveexec_b64 s[4:5], s[0:1]
	s_cbranch_execz .LBB87_186
; %bb.183:
	v_mov_b32_e32 v7, 0
	v_add_u32_e32 v6, -1, v0
	v_add_u32_e32 v7, 24, v7
	s_movk_i32 s10, 0x190
	s_mov_b64 s[0:1], 0
.LBB87_184:                             ; =>This Inner Loop Header: Depth=1
	v_add_u32_e32 v10, -8, v7
	scratch_load_dwordx4 v[10:13], v10, off
	v_mov_b32_e32 v85, s10
	ds_read_b128 v[86:89], v85
	v_add_u32_e32 v6, -1, v6
	s_add_i32 s10, s10, 16
	v_cmp_eq_u32_e32 vcc, 0, v6
	v_add_u32_e32 v7, 16, v7
	s_or_b64 s[0:1], vcc, s[0:1]
	s_waitcnt vmcnt(0) lgkmcnt(0)
	v_mul_f64 v[90:91], v[88:89], v[12:13]
	v_mul_f64 v[12:13], v[86:87], v[12:13]
	v_fma_f64 v[86:87], v[86:87], v[10:11], -v[90:91]
	v_fmac_f64_e32 v[12:13], v[88:89], v[10:11]
	v_add_f64 v[2:3], v[2:3], v[86:87]
	v_add_f64 v[4:5], v[4:5], v[12:13]
	s_andn2_b64 exec, exec, s[0:1]
	s_cbranch_execnz .LBB87_184
; %bb.185:
	s_or_b64 exec, exec, s[0:1]
.LBB87_186:
	s_or_b64 exec, exec, s[4:5]
	v_mov_b32_e32 v6, 0
	ds_read_b128 v[86:89], v6
	v_mov_b32_e32 v6, 0
	v_or_b32_e32 v10, 8, v6
	s_mov_b64 s[4:5], exec
	s_waitcnt lgkmcnt(0)
	v_mul_f64 v[12:13], v[4:5], v[88:89]
	v_mul_f64 v[6:7], v[2:3], v[88:89]
	v_fma_f64 v[2:3], v[2:3], v[86:87], -v[12:13]
	v_fmac_f64_e32 v[6:7], v[4:5], v[86:87]
	scratch_store_dwordx2 off, v[2:3], off
.LBB87_187:
	s_or_b64 exec, exec, s[8:9]
	s_and_b64 vcc, exec, s[2:3]
	s_cbranch_vccnz .LBB87_189
	s_branch .LBB87_368
.LBB87_188:
	s_mov_b64 s[4:5], 0
                                        ; implicit-def: $vgpr6_vgpr7
                                        ; implicit-def: $vgpr10
	s_cbranch_execz .LBB87_368
.LBB87_189:
	scratch_load_dwordx4 v[2:5], v80, off
	v_cndmask_b32_e64 v6, 0, 1, s[6:7]
	v_cmp_eq_u32_e64 s[2:3], 0, v0
	v_cmp_ne_u32_e64 s[0:1], 1, v6
	s_waitcnt vmcnt(0)
	ds_write_b128 v9, v[2:5]
	s_waitcnt lgkmcnt(0)
	; wave barrier
	s_waitcnt lgkmcnt(0)
	s_and_saveexec_b64 s[6:7], s[2:3]
	s_cbranch_execz .LBB87_193
; %bb.190:
	ds_read_b128 v[2:5], v9
	s_and_b64 vcc, exec, s[0:1]
	s_cbranch_vccnz .LBB87_192
; %bb.191:
	scratch_load_dwordx4 v[10:13], v8, off
	s_waitcnt vmcnt(0) lgkmcnt(0)
	v_mul_f64 v[6:7], v[4:5], v[12:13]
	v_mul_f64 v[12:13], v[2:3], v[12:13]
	v_fmac_f64_e32 v[12:13], v[4:5], v[10:11]
	v_fma_f64 v[2:3], v[2:3], v[10:11], -v[6:7]
	v_mov_b64_e32 v[4:5], v[12:13]
.LBB87_192:
	v_mov_b32_e32 v6, 0
	ds_read_b128 v[10:13], v6 offset:16
	s_waitcnt lgkmcnt(0)
	v_mul_f64 v[6:7], v[4:5], v[12:13]
	v_mul_f64 v[88:89], v[2:3], v[12:13]
	v_fma_f64 v[86:87], v[2:3], v[10:11], -v[6:7]
	v_fmac_f64_e32 v[88:89], v[4:5], v[10:11]
	scratch_store_dwordx4 off, v[86:89], off offset:16
.LBB87_193:
	s_or_b64 exec, exec, s[6:7]
	scratch_load_dwordx4 v[2:5], v83, off
	v_cmp_gt_u32_e32 vcc, 2, v0
	s_waitcnt vmcnt(0)
	ds_write_b128 v9, v[2:5]
	s_waitcnt lgkmcnt(0)
	; wave barrier
	s_waitcnt lgkmcnt(0)
	s_and_saveexec_b64 s[6:7], vcc
	s_cbranch_execz .LBB87_199
; %bb.194:
	ds_read_b128 v[2:5], v9
	s_and_b64 vcc, exec, s[0:1]
	s_cbranch_vccnz .LBB87_196
; %bb.195:
	scratch_load_dwordx4 v[10:13], v8, off
	s_waitcnt vmcnt(0) lgkmcnt(0)
	v_mul_f64 v[6:7], v[4:5], v[12:13]
	v_mul_f64 v[12:13], v[2:3], v[12:13]
	v_fmac_f64_e32 v[12:13], v[4:5], v[10:11]
	v_fma_f64 v[2:3], v[2:3], v[10:11], -v[6:7]
	v_mov_b64_e32 v[4:5], v[12:13]
.LBB87_196:
	s_and_saveexec_b64 s[8:9], s[2:3]
	s_cbranch_execz .LBB87_198
; %bb.197:
	scratch_load_dwordx4 v[10:13], v8, off offset:16
	ds_read_b128 v[86:89], v9 offset:16
	s_waitcnt vmcnt(0) lgkmcnt(0)
	v_mul_f64 v[6:7], v[88:89], v[12:13]
	v_mul_f64 v[12:13], v[86:87], v[12:13]
	v_fma_f64 v[6:7], v[86:87], v[10:11], -v[6:7]
	v_fmac_f64_e32 v[12:13], v[88:89], v[10:11]
	v_add_f64 v[2:3], v[2:3], v[6:7]
	v_add_f64 v[4:5], v[4:5], v[12:13]
.LBB87_198:
	s_or_b64 exec, exec, s[8:9]
	v_mov_b32_e32 v6, 0
	ds_read_b128 v[10:13], v6 offset:32
	s_waitcnt lgkmcnt(0)
	v_mul_f64 v[6:7], v[4:5], v[12:13]
	v_mul_f64 v[88:89], v[2:3], v[12:13]
	v_fma_f64 v[86:87], v[2:3], v[10:11], -v[6:7]
	v_fmac_f64_e32 v[88:89], v[4:5], v[10:11]
	scratch_store_dwordx4 off, v[86:89], off offset:32
.LBB87_199:
	s_or_b64 exec, exec, s[6:7]
	scratch_load_dwordx4 v[2:5], v81, off
	v_cmp_gt_u32_e32 vcc, 3, v0
	s_waitcnt vmcnt(0)
	ds_write_b128 v9, v[2:5]
	s_waitcnt lgkmcnt(0)
	; wave barrier
	s_waitcnt lgkmcnt(0)
	s_and_saveexec_b64 s[6:7], vcc
	s_cbranch_execz .LBB87_207
; %bb.200:
	ds_read_b128 v[2:5], v9
	s_and_b64 vcc, exec, s[0:1]
	s_cbranch_vccnz .LBB87_202
; %bb.201:
	scratch_load_dwordx4 v[10:13], v8, off
	s_waitcnt vmcnt(0) lgkmcnt(0)
	v_mul_f64 v[6:7], v[4:5], v[12:13]
	v_mul_f64 v[12:13], v[2:3], v[12:13]
	v_fmac_f64_e32 v[12:13], v[4:5], v[10:11]
	v_fma_f64 v[2:3], v[2:3], v[10:11], -v[6:7]
	v_mov_b64_e32 v[4:5], v[12:13]
.LBB87_202:
	v_cmp_ne_u32_e32 vcc, 2, v0
	s_and_saveexec_b64 s[8:9], vcc
	s_cbranch_execz .LBB87_206
; %bb.203:
	scratch_load_dwordx4 v[10:13], v8, off offset:16
	ds_read_b128 v[86:89], v9 offset:16
	s_waitcnt vmcnt(0) lgkmcnt(0)
	v_mul_f64 v[6:7], v[88:89], v[12:13]
	v_mul_f64 v[12:13], v[86:87], v[12:13]
	v_fma_f64 v[6:7], v[86:87], v[10:11], -v[6:7]
	v_fmac_f64_e32 v[12:13], v[88:89], v[10:11]
	v_add_f64 v[2:3], v[2:3], v[6:7]
	v_add_f64 v[4:5], v[4:5], v[12:13]
	s_and_saveexec_b64 s[10:11], s[2:3]
	s_cbranch_execz .LBB87_205
; %bb.204:
	scratch_load_dwordx4 v[10:13], off, off offset:32
	v_mov_b32_e32 v6, 0
	ds_read_b128 v[86:89], v6 offset:416
	s_waitcnt vmcnt(0) lgkmcnt(0)
	v_mul_f64 v[6:7], v[86:87], v[12:13]
	v_mul_f64 v[12:13], v[88:89], v[12:13]
	v_fmac_f64_e32 v[6:7], v[88:89], v[10:11]
	v_fma_f64 v[10:11], v[86:87], v[10:11], -v[12:13]
	v_add_f64 v[4:5], v[4:5], v[6:7]
	v_add_f64 v[2:3], v[2:3], v[10:11]
.LBB87_205:
	s_or_b64 exec, exec, s[10:11]
.LBB87_206:
	s_or_b64 exec, exec, s[8:9]
	v_mov_b32_e32 v6, 0
	ds_read_b128 v[10:13], v6 offset:48
	s_waitcnt lgkmcnt(0)
	v_mul_f64 v[6:7], v[4:5], v[12:13]
	v_mul_f64 v[88:89], v[2:3], v[12:13]
	v_fma_f64 v[86:87], v[2:3], v[10:11], -v[6:7]
	v_fmac_f64_e32 v[88:89], v[4:5], v[10:11]
	scratch_store_dwordx4 off, v[86:89], off offset:48
.LBB87_207:
	s_or_b64 exec, exec, s[6:7]
	scratch_load_dwordx4 v[2:5], v84, off
	v_cmp_gt_u32_e32 vcc, 4, v0
	s_waitcnt vmcnt(0)
	ds_write_b128 v9, v[2:5]
	s_waitcnt lgkmcnt(0)
	; wave barrier
	s_waitcnt lgkmcnt(0)
	s_and_saveexec_b64 s[2:3], vcc
	s_cbranch_execz .LBB87_215
; %bb.208:
	ds_read_b128 v[2:5], v9
	s_and_b64 vcc, exec, s[0:1]
	s_cbranch_vccnz .LBB87_210
; %bb.209:
	scratch_load_dwordx4 v[10:13], v8, off
	s_waitcnt vmcnt(0) lgkmcnt(0)
	v_mul_f64 v[6:7], v[4:5], v[12:13]
	v_mul_f64 v[12:13], v[2:3], v[12:13]
	v_fmac_f64_e32 v[12:13], v[4:5], v[10:11]
	v_fma_f64 v[2:3], v[2:3], v[10:11], -v[6:7]
	v_mov_b64_e32 v[4:5], v[12:13]
.LBB87_210:
	v_cmp_ne_u32_e32 vcc, 3, v0
	s_and_saveexec_b64 s[6:7], vcc
	s_cbranch_execz .LBB87_214
; %bb.211:
	v_mov_b32_e32 v7, 0
	v_add_u32_e32 v6, 0x190, v18
	v_add3_u32 v7, v18, v7, 24
	s_mov_b64 s[8:9], 0
	v_mov_b32_e32 v10, v0
.LBB87_212:                             ; =>This Inner Loop Header: Depth=1
	v_add_u32_e32 v11, -8, v7
	scratch_load_dwordx4 v[86:89], v11, off
	ds_read_b128 v[90:93], v6
	v_add_u32_e32 v10, 1, v10
	v_cmp_lt_u32_e32 vcc, 2, v10
	v_add_u32_e32 v6, 16, v6
	v_add_u32_e32 v7, 16, v7
	s_or_b64 s[8:9], vcc, s[8:9]
	s_waitcnt vmcnt(0) lgkmcnt(0)
	v_mul_f64 v[12:13], v[92:93], v[88:89]
	v_mul_f64 v[88:89], v[90:91], v[88:89]
	v_fma_f64 v[12:13], v[90:91], v[86:87], -v[12:13]
	v_fmac_f64_e32 v[88:89], v[92:93], v[86:87]
	v_add_f64 v[2:3], v[2:3], v[12:13]
	v_add_f64 v[4:5], v[4:5], v[88:89]
	s_andn2_b64 exec, exec, s[8:9]
	s_cbranch_execnz .LBB87_212
; %bb.213:
	s_or_b64 exec, exec, s[8:9]
.LBB87_214:
	s_or_b64 exec, exec, s[6:7]
	v_mov_b32_e32 v6, 0
	ds_read_b128 v[10:13], v6 offset:64
	s_waitcnt lgkmcnt(0)
	v_mul_f64 v[6:7], v[4:5], v[12:13]
	v_mul_f64 v[88:89], v[2:3], v[12:13]
	v_fma_f64 v[86:87], v[2:3], v[10:11], -v[6:7]
	v_fmac_f64_e32 v[88:89], v[4:5], v[10:11]
	scratch_store_dwordx4 off, v[86:89], off offset:64
.LBB87_215:
	s_or_b64 exec, exec, s[2:3]
	scratch_load_dwordx4 v[2:5], v82, off
	v_cmp_gt_u32_e32 vcc, 5, v0
	s_waitcnt vmcnt(0)
	ds_write_b128 v9, v[2:5]
	s_waitcnt lgkmcnt(0)
	; wave barrier
	s_waitcnt lgkmcnt(0)
	s_and_saveexec_b64 s[2:3], vcc
	s_cbranch_execz .LBB87_223
; %bb.216:
	ds_read_b128 v[2:5], v9
	s_and_b64 vcc, exec, s[0:1]
	s_cbranch_vccnz .LBB87_218
; %bb.217:
	scratch_load_dwordx4 v[10:13], v8, off
	s_waitcnt vmcnt(0) lgkmcnt(0)
	v_mul_f64 v[6:7], v[4:5], v[12:13]
	v_mul_f64 v[12:13], v[2:3], v[12:13]
	v_fmac_f64_e32 v[12:13], v[4:5], v[10:11]
	v_fma_f64 v[2:3], v[2:3], v[10:11], -v[6:7]
	v_mov_b64_e32 v[4:5], v[12:13]
.LBB87_218:
	v_cmp_ne_u32_e32 vcc, 4, v0
	s_and_saveexec_b64 s[6:7], vcc
	s_cbranch_execz .LBB87_222
; %bb.219:
	v_mov_b32_e32 v7, 0
	v_add_u32_e32 v6, 0x190, v18
	v_add3_u32 v7, v18, v7, 24
	s_mov_b64 s[8:9], 0
	v_mov_b32_e32 v10, v0
.LBB87_220:                             ; =>This Inner Loop Header: Depth=1
	v_add_u32_e32 v11, -8, v7
	scratch_load_dwordx4 v[86:89], v11, off
	ds_read_b128 v[90:93], v6
	v_add_u32_e32 v10, 1, v10
	v_cmp_lt_u32_e32 vcc, 3, v10
	v_add_u32_e32 v6, 16, v6
	v_add_u32_e32 v7, 16, v7
	s_or_b64 s[8:9], vcc, s[8:9]
	s_waitcnt vmcnt(0) lgkmcnt(0)
	v_mul_f64 v[12:13], v[92:93], v[88:89]
	v_mul_f64 v[88:89], v[90:91], v[88:89]
	v_fma_f64 v[12:13], v[90:91], v[86:87], -v[12:13]
	v_fmac_f64_e32 v[88:89], v[92:93], v[86:87]
	v_add_f64 v[2:3], v[2:3], v[12:13]
	v_add_f64 v[4:5], v[4:5], v[88:89]
	s_andn2_b64 exec, exec, s[8:9]
	s_cbranch_execnz .LBB87_220
; %bb.221:
	s_or_b64 exec, exec, s[8:9]
.LBB87_222:
	s_or_b64 exec, exec, s[6:7]
	v_mov_b32_e32 v6, 0
	ds_read_b128 v[10:13], v6 offset:80
	s_waitcnt lgkmcnt(0)
	v_mul_f64 v[6:7], v[4:5], v[12:13]
	v_mul_f64 v[88:89], v[2:3], v[12:13]
	v_fma_f64 v[86:87], v[2:3], v[10:11], -v[6:7]
	v_fmac_f64_e32 v[88:89], v[4:5], v[10:11]
	scratch_store_dwordx4 off, v[86:89], off offset:80
.LBB87_223:
	;; [unrolled: 63-line block ×18, first 2 shown]
	s_or_b64 exec, exec, s[2:3]
	scratch_load_dwordx4 v[2:5], v1, off
	v_cmp_gt_u32_e64 s[2:3], 22, v0
	s_waitcnt vmcnt(0)
	ds_write_b128 v9, v[2:5]
	s_waitcnt lgkmcnt(0)
	; wave barrier
	s_waitcnt lgkmcnt(0)
	s_and_saveexec_b64 s[6:7], s[2:3]
	s_cbranch_execz .LBB87_359
; %bb.352:
	ds_read_b128 v[2:5], v9
	s_and_b64 vcc, exec, s[0:1]
	s_cbranch_vccnz .LBB87_354
; %bb.353:
	scratch_load_dwordx4 v[10:13], v8, off
	s_waitcnt vmcnt(0) lgkmcnt(0)
	v_mul_f64 v[6:7], v[4:5], v[12:13]
	v_mul_f64 v[12:13], v[2:3], v[12:13]
	v_fmac_f64_e32 v[12:13], v[4:5], v[10:11]
	v_fma_f64 v[2:3], v[2:3], v[10:11], -v[6:7]
	v_mov_b64_e32 v[4:5], v[12:13]
.LBB87_354:
	v_cmp_ne_u32_e32 vcc, 21, v0
	s_and_saveexec_b64 s[8:9], vcc
	s_cbranch_execz .LBB87_358
; %bb.355:
	v_mov_b32_e32 v7, 0
	v_add_u32_e32 v6, 0x190, v18
	v_add3_u32 v7, v18, v7, 24
	s_mov_b64 s[10:11], 0
	v_mov_b32_e32 v10, v0
.LBB87_356:                             ; =>This Inner Loop Header: Depth=1
	v_add_u32_e32 v11, -8, v7
	scratch_load_dwordx4 v[86:89], v11, off
	ds_read_b128 v[90:93], v6
	v_add_u32_e32 v10, 1, v10
	v_cmp_lt_u32_e32 vcc, 20, v10
	v_add_u32_e32 v6, 16, v6
	v_add_u32_e32 v7, 16, v7
	s_or_b64 s[10:11], vcc, s[10:11]
	s_waitcnt vmcnt(0) lgkmcnt(0)
	v_mul_f64 v[12:13], v[92:93], v[88:89]
	v_mul_f64 v[88:89], v[90:91], v[88:89]
	v_fma_f64 v[12:13], v[90:91], v[86:87], -v[12:13]
	v_fmac_f64_e32 v[88:89], v[92:93], v[86:87]
	v_add_f64 v[2:3], v[2:3], v[12:13]
	v_add_f64 v[4:5], v[4:5], v[88:89]
	s_andn2_b64 exec, exec, s[10:11]
	s_cbranch_execnz .LBB87_356
; %bb.357:
	s_or_b64 exec, exec, s[10:11]
.LBB87_358:
	s_or_b64 exec, exec, s[8:9]
	v_mov_b32_e32 v6, 0
	ds_read_b128 v[10:13], v6 offset:352
	s_waitcnt lgkmcnt(0)
	v_mul_f64 v[6:7], v[4:5], v[12:13]
	v_mul_f64 v[88:89], v[2:3], v[12:13]
	v_fma_f64 v[86:87], v[2:3], v[10:11], -v[6:7]
	v_fmac_f64_e32 v[88:89], v[4:5], v[10:11]
	scratch_store_dwordx4 off, v[86:89], off offset:352
.LBB87_359:
	s_or_b64 exec, exec, s[6:7]
	scratch_load_dwordx4 v[2:5], v19, off
	v_cmp_ne_u32_e32 vcc, 23, v0
                                        ; implicit-def: $vgpr6_vgpr7
                                        ; implicit-def: $vgpr10
	s_waitcnt vmcnt(0)
	ds_write_b128 v9, v[2:5]
	s_waitcnt lgkmcnt(0)
	; wave barrier
	s_waitcnt lgkmcnt(0)
	s_and_saveexec_b64 s[6:7], vcc
	s_cbranch_execz .LBB87_367
; %bb.360:
	ds_read_b128 v[2:5], v9
	s_and_b64 vcc, exec, s[0:1]
	s_cbranch_vccnz .LBB87_362
; %bb.361:
	scratch_load_dwordx4 v[6:9], v8, off
	s_waitcnt vmcnt(0) lgkmcnt(0)
	v_mul_f64 v[10:11], v[4:5], v[8:9]
	v_mul_f64 v[8:9], v[2:3], v[8:9]
	v_fmac_f64_e32 v[8:9], v[4:5], v[6:7]
	v_fma_f64 v[2:3], v[2:3], v[6:7], -v[10:11]
	v_mov_b64_e32 v[4:5], v[8:9]
.LBB87_362:
	s_and_saveexec_b64 s[0:1], s[2:3]
	s_cbranch_execz .LBB87_366
; %bb.363:
	v_mov_b32_e32 v7, 0
	v_add_u32_e32 v6, 0x190, v18
	v_add3_u32 v7, v18, v7, 24
	s_mov_b64 s[2:3], 0
.LBB87_364:                             ; =>This Inner Loop Header: Depth=1
	v_add_u32_e32 v8, -8, v7
	scratch_load_dwordx4 v[8:11], v8, off
	ds_read_b128 v[86:89], v6
	v_add_u32_e32 v0, 1, v0
	v_cmp_lt_u32_e32 vcc, 21, v0
	v_add_u32_e32 v6, 16, v6
	v_add_u32_e32 v7, 16, v7
	s_or_b64 s[2:3], vcc, s[2:3]
	s_waitcnt vmcnt(0) lgkmcnt(0)
	v_mul_f64 v[12:13], v[88:89], v[10:11]
	v_mul_f64 v[10:11], v[86:87], v[10:11]
	v_fma_f64 v[12:13], v[86:87], v[8:9], -v[12:13]
	v_fmac_f64_e32 v[10:11], v[88:89], v[8:9]
	v_add_f64 v[2:3], v[2:3], v[12:13]
	v_add_f64 v[4:5], v[4:5], v[10:11]
	s_andn2_b64 exec, exec, s[2:3]
	s_cbranch_execnz .LBB87_364
; %bb.365:
	s_or_b64 exec, exec, s[2:3]
.LBB87_366:
	s_or_b64 exec, exec, s[0:1]
	v_mov_b32_e32 v0, 0
	ds_read_b128 v[86:89], v0 offset:368
	v_mov_b32_e32 v0, 0
	v_add_u32_e32 v10, 0x178, v0
	s_or_b64 s[4:5], s[4:5], exec
	s_waitcnt lgkmcnt(0)
	v_mul_f64 v[8:9], v[4:5], v[88:89]
	v_mul_f64 v[6:7], v[2:3], v[88:89]
	v_fma_f64 v[2:3], v[2:3], v[86:87], -v[8:9]
	v_fmac_f64_e32 v[6:7], v[4:5], v[86:87]
	scratch_store_dwordx2 off, v[2:3], off offset:368
.LBB87_367:
	s_or_b64 exec, exec, s[6:7]
.LBB87_368:
	s_and_saveexec_b64 s[0:1], s[4:5]
	s_cbranch_execz .LBB87_370
; %bb.369:
	scratch_store_dwordx2 v10, v[6:7], off
.LBB87_370:
	s_or_b64 exec, exec, s[0:1]
	scratch_load_dwordx4 v[2:5], off, off
	scratch_load_dwordx4 v[6:9], v80, off
	scratch_load_dwordx4 v[10:13], v83, off
	;; [unrolled: 1-line block ×5, first 2 shown]
	s_waitcnt vmcnt(5)
	global_store_dwordx4 v[16:17], v[2:5], off
	scratch_load_dwordx4 v[2:5], v79, off
	s_nop 0
	scratch_load_dwordx4 v[80:83], v78, off
	s_waitcnt vmcnt(7)
	global_store_dwordx4 v[14:15], v[6:9], off
	scratch_load_dwordx4 v[6:9], v76, off
	s_nop 0
	scratch_load_dwordx4 v[14:17], v77, off
	s_waitcnt vmcnt(9)
	global_store_dwordx4 v[38:39], v[10:13], off
	scratch_load_dwordx4 v[10:13], v74, off
	s_nop 0
	scratch_load_dwordx4 v[76:79], v75, off
	s_waitcnt vmcnt(11)
	global_store_dwordx4 v[34:35], v[86:89], off
	scratch_load_dwordx4 v[84:87], v72, off
	s_nop 0
	scratch_load_dwordx4 v[98:101], v73, off
	s_waitcnt vmcnt(13)
	global_store_dwordx4 v[28:29], v[90:93], off
	scratch_load_dwordx4 v[72:75], v70, off
	s_nop 0
	scratch_load_dwordx4 v[88:91], v71, off
	s_waitcnt vmcnt(15)
	global_store_dwordx4 v[30:31], v[94:97], off
	scratch_load_dwordx4 v[28:31], v69, off
	s_nop 0
	scratch_load_dwordx4 v[92:95], v68, off
	s_waitcnt vmcnt(16)
	global_store_dwordx4 v[24:25], v[2:5], off
	scratch_load_dwordx4 v[2:5], v67, off
	s_nop 0
	scratch_load_dwordx4 v[68:71], v66, off
	s_waitcnt vmcnt(18)
	global_store_dwordx4 v[26:27], v[80:83], off
	scratch_load_dwordx4 v[24:27], v65, off
	s_nop 0
	scratch_load_dwordx4 v[80:83], v64, off
	s_waitcnt vmcnt(19)
	global_store_dwordx4 v[20:21], v[6:9], off
	scratch_load_dwordx4 v[6:9], v1, off
	s_nop 0
	scratch_load_dwordx4 v[64:67], v19, off
	s_waitcnt vmcnt(21)
	global_store_dwordx4 v[22:23], v[14:17], off
	s_waitcnt vmcnt(20)
	global_store_dwordx4 v[32:33], v[10:13], off
	;; [unrolled: 2-line block ×15, first 2 shown]
.LBB87_371:
	s_endpgm
	.section	.rodata,"a",@progbits
	.p2align	6, 0x0
	.amdhsa_kernel _ZN9rocsolver6v33100L18trti2_kernel_smallILi24E19rocblas_complex_numIdEPKPS3_EEv13rocblas_fill_17rocblas_diagonal_T1_iil
		.amdhsa_group_segment_fixed_size 768
		.amdhsa_private_segment_fixed_size 400
		.amdhsa_kernarg_size 32
		.amdhsa_user_sgpr_count 2
		.amdhsa_user_sgpr_dispatch_ptr 0
		.amdhsa_user_sgpr_queue_ptr 0
		.amdhsa_user_sgpr_kernarg_segment_ptr 1
		.amdhsa_user_sgpr_dispatch_id 0
		.amdhsa_user_sgpr_kernarg_preload_length 0
		.amdhsa_user_sgpr_kernarg_preload_offset 0
		.amdhsa_user_sgpr_private_segment_size 0
		.amdhsa_uses_dynamic_stack 0
		.amdhsa_enable_private_segment 1
		.amdhsa_system_sgpr_workgroup_id_x 1
		.amdhsa_system_sgpr_workgroup_id_y 0
		.amdhsa_system_sgpr_workgroup_id_z 0
		.amdhsa_system_sgpr_workgroup_info 0
		.amdhsa_system_vgpr_workitem_id 0
		.amdhsa_next_free_vgpr 104
		.amdhsa_next_free_sgpr 12
		.amdhsa_accum_offset 104
		.amdhsa_reserve_vcc 1
		.amdhsa_float_round_mode_32 0
		.amdhsa_float_round_mode_16_64 0
		.amdhsa_float_denorm_mode_32 3
		.amdhsa_float_denorm_mode_16_64 3
		.amdhsa_dx10_clamp 1
		.amdhsa_ieee_mode 1
		.amdhsa_fp16_overflow 0
		.amdhsa_tg_split 0
		.amdhsa_exception_fp_ieee_invalid_op 0
		.amdhsa_exception_fp_denorm_src 0
		.amdhsa_exception_fp_ieee_div_zero 0
		.amdhsa_exception_fp_ieee_overflow 0
		.amdhsa_exception_fp_ieee_underflow 0
		.amdhsa_exception_fp_ieee_inexact 0
		.amdhsa_exception_int_div_zero 0
	.end_amdhsa_kernel
	.section	.text._ZN9rocsolver6v33100L18trti2_kernel_smallILi24E19rocblas_complex_numIdEPKPS3_EEv13rocblas_fill_17rocblas_diagonal_T1_iil,"axG",@progbits,_ZN9rocsolver6v33100L18trti2_kernel_smallILi24E19rocblas_complex_numIdEPKPS3_EEv13rocblas_fill_17rocblas_diagonal_T1_iil,comdat
.Lfunc_end87:
	.size	_ZN9rocsolver6v33100L18trti2_kernel_smallILi24E19rocblas_complex_numIdEPKPS3_EEv13rocblas_fill_17rocblas_diagonal_T1_iil, .Lfunc_end87-_ZN9rocsolver6v33100L18trti2_kernel_smallILi24E19rocblas_complex_numIdEPKPS3_EEv13rocblas_fill_17rocblas_diagonal_T1_iil
                                        ; -- End function
	.section	.AMDGPU.csdata,"",@progbits
; Kernel info:
; codeLenInByte = 15672
; NumSgprs: 18
; NumVgprs: 104
; NumAgprs: 0
; TotalNumVgprs: 104
; ScratchSize: 400
; MemoryBound: 0
; FloatMode: 240
; IeeeMode: 1
; LDSByteSize: 768 bytes/workgroup (compile time only)
; SGPRBlocks: 2
; VGPRBlocks: 12
; NumSGPRsForWavesPerEU: 18
; NumVGPRsForWavesPerEU: 104
; AccumOffset: 104
; Occupancy: 4
; WaveLimiterHint : 1
; COMPUTE_PGM_RSRC2:SCRATCH_EN: 1
; COMPUTE_PGM_RSRC2:USER_SGPR: 2
; COMPUTE_PGM_RSRC2:TRAP_HANDLER: 0
; COMPUTE_PGM_RSRC2:TGID_X_EN: 1
; COMPUTE_PGM_RSRC2:TGID_Y_EN: 0
; COMPUTE_PGM_RSRC2:TGID_Z_EN: 0
; COMPUTE_PGM_RSRC2:TIDIG_COMP_CNT: 0
; COMPUTE_PGM_RSRC3_GFX90A:ACCUM_OFFSET: 25
; COMPUTE_PGM_RSRC3_GFX90A:TG_SPLIT: 0
	.section	.text._ZN9rocsolver6v33100L18trti2_kernel_smallILi25E19rocblas_complex_numIdEPKPS3_EEv13rocblas_fill_17rocblas_diagonal_T1_iil,"axG",@progbits,_ZN9rocsolver6v33100L18trti2_kernel_smallILi25E19rocblas_complex_numIdEPKPS3_EEv13rocblas_fill_17rocblas_diagonal_T1_iil,comdat
	.globl	_ZN9rocsolver6v33100L18trti2_kernel_smallILi25E19rocblas_complex_numIdEPKPS3_EEv13rocblas_fill_17rocblas_diagonal_T1_iil ; -- Begin function _ZN9rocsolver6v33100L18trti2_kernel_smallILi25E19rocblas_complex_numIdEPKPS3_EEv13rocblas_fill_17rocblas_diagonal_T1_iil
	.p2align	8
	.type	_ZN9rocsolver6v33100L18trti2_kernel_smallILi25E19rocblas_complex_numIdEPKPS3_EEv13rocblas_fill_17rocblas_diagonal_T1_iil,@function
_ZN9rocsolver6v33100L18trti2_kernel_smallILi25E19rocblas_complex_numIdEPKPS3_EEv13rocblas_fill_17rocblas_diagonal_T1_iil: ; @_ZN9rocsolver6v33100L18trti2_kernel_smallILi25E19rocblas_complex_numIdEPKPS3_EEv13rocblas_fill_17rocblas_diagonal_T1_iil
; %bb.0:
	v_cmp_gt_u32_e32 vcc, 25, v0
	s_and_saveexec_b64 s[4:5], vcc
	s_cbranch_execz .LBB88_387
; %bb.1:
	s_load_dwordx2 s[8:9], s[0:1], 0x10
	s_load_dwordx4 s[4:7], s[0:1], 0x0
	s_ashr_i32 s3, s2, 31
	s_lshl_b64 s[0:1], s[2:3], 3
	v_lshlrev_b32_e32 v60, 4, v0
	s_waitcnt lgkmcnt(0)
	s_ashr_i32 s3, s8, 31
	s_add_u32 s0, s6, s0
	s_addc_u32 s1, s7, s1
	s_load_dwordx2 s[0:1], s[0:1], 0x0
	s_mov_b32 s2, s8
	s_lshl_b64 s[2:3], s[2:3], 4
	v_mov_b32_e32 v61, 0
	s_waitcnt lgkmcnt(0)
	s_add_u32 s0, s0, s2
	s_addc_u32 s1, s1, s3
	v_lshl_add_u64 v[16:17], s[0:1], 0, v[60:61]
	s_ashr_i32 s3, s9, 31
	s_mov_b32 s2, s9
	v_lshl_add_u64 v[14:15], s[2:3], 4, v[16:17]
	s_add_i32 s2, s9, s9
	v_add_u32_e32 v20, s2, v0
	v_add_u32_e32 v22, s9, v20
	;; [unrolled: 1-line block ×4, first 2 shown]
	v_ashrrev_i32_e32 v21, 31, v20
	v_ashrrev_i32_e32 v23, 31, v22
	;; [unrolled: 1-line block ×4, first 2 shown]
	v_add_u32_e32 v28, s9, v26
	v_lshl_add_u64 v[18:19], v[20:21], 4, s[0:1]
	v_lshl_add_u64 v[20:21], v[22:23], 4, s[0:1]
	;; [unrolled: 1-line block ×4, first 2 shown]
	v_ashrrev_i32_e32 v29, 31, v28
	global_load_dwordx4 v[2:5], v60, s[0:1]
	global_load_dwordx4 v[6:9], v[14:15], off
	global_load_dwordx4 v[10:13], v[18:19], off
	;; [unrolled: 1-line block ×4, first 2 shown]
	v_lshl_add_u64 v[26:27], v[28:29], 4, s[0:1]
	global_load_dwordx4 v[66:69], v[24:25], off
	global_load_dwordx4 v[70:73], v[26:27], off
	v_add_u32_e32 v30, s9, v28
	v_ashrrev_i32_e32 v31, 31, v30
	v_lshl_add_u64 v[28:29], v[30:31], 4, s[0:1]
	global_load_dwordx4 v[74:77], v[28:29], off
	v_add_u32_e32 v30, s9, v30
	v_add_u32_e32 v32, s9, v30
	;; [unrolled: 1-line block ×11, first 2 shown]
	v_ashrrev_i32_e32 v31, 31, v30
	v_ashrrev_i32_e32 v33, 31, v32
	;; [unrolled: 1-line block ×6, first 2 shown]
	v_add_u32_e32 v52, s9, v50
	v_lshl_add_u64 v[30:31], v[30:31], 4, s[0:1]
	global_load_dwordx4 v[78:81], v[30:31], off
	v_lshl_add_u64 v[32:33], v[32:33], 4, s[0:1]
	v_ashrrev_i32_e32 v35, 31, v34
	v_lshl_add_u64 v[36:37], v[36:37], 4, s[0:1]
	v_ashrrev_i32_e32 v39, 31, v38
	;; [unrolled: 2-line block ×5, first 2 shown]
	v_add_u32_e32 v122, s9, v52
	v_lshl_add_u64 v[34:35], v[34:35], 4, s[0:1]
	global_load_dwordx4 v[82:85], v[32:33], off
	global_load_dwordx4 v[86:89], v[34:35], off
	v_lshl_add_u64 v[38:39], v[38:39], 4, s[0:1]
	global_load_dwordx4 v[90:93], v[36:37], off
	global_load_dwordx4 v[94:97], v[38:39], off
	;; [unrolled: 3-line block ×5, first 2 shown]
	v_ashrrev_i32_e32 v53, 31, v52
	v_lshl_add_u64 v[52:53], v[52:53], 4, s[0:1]
	v_ashrrev_i32_e32 v123, 31, v122
	v_lshl_add_u64 v[54:55], v[122:123], 4, s[0:1]
	s_cmpk_lg_i32 s5, 0x84
	s_cselect_b64 s[6:7], -1, 0
	s_cmpk_eq_i32 s5, 0x84
	s_waitcnt vmcnt(18)
	scratch_store_dwordx4 off, v[2:5], off
	s_waitcnt vmcnt(18)
	scratch_store_dwordx4 off, v[6:9], off offset:16
	s_waitcnt vmcnt(18)
	scratch_store_dwordx4 off, v[10:13], off offset:32
	;; [unrolled: 2-line block ×6, first 2 shown]
	v_add_u32_e32 v10, s9, v122
	v_add_u32_e32 v62, s9, v10
	;; [unrolled: 1-line block ×3, first 2 shown]
	v_ashrrev_i32_e32 v63, 31, v62
	v_ashrrev_i32_e32 v65, 31, v64
	;; [unrolled: 1-line block ×3, first 2 shown]
	v_lshl_add_u64 v[58:59], v[62:63], 4, s[0:1]
	v_lshl_add_u64 v[62:63], v[64:65], 4, s[0:1]
	v_add_u32_e32 v64, s9, v64
	v_lshl_add_u64 v[56:57], v[10:11], 4, s[0:1]
	v_ashrrev_i32_e32 v65, 31, v64
	global_load_dwordx4 v[2:5], v[52:53], off
	global_load_dwordx4 v[6:9], v[54:55], off
	;; [unrolled: 1-line block ×4, first 2 shown]
	v_lshl_add_u64 v[64:65], v[64:65], 4, s[0:1]
	global_load_dwordx4 v[70:73], v[62:63], off
	s_waitcnt vmcnt(23)
	scratch_store_dwordx4 off, v[74:77], off offset:112
	global_load_dwordx4 v[74:77], v[64:65], off
	s_waitcnt vmcnt(24)
	scratch_store_dwordx4 off, v[78:81], off offset:128
	s_waitcnt vmcnt(24)
	scratch_store_dwordx4 off, v[82:85], off offset:144
	;; [unrolled: 2-line block ×16, first 2 shown]
	v_mov_b32_e32 v12, 0
	s_waitcnt vmcnt(16)
	scratch_store_dwordx4 off, v[74:77], off offset:384
	s_cbranch_scc1 .LBB88_7
; %bb.2:
	scratch_load_dwordx4 v[2:5], v60, off
                                        ; implicit-def: $vgpr10_vgpr11
	s_waitcnt vmcnt(0)
	v_xor_b32_e32 v1, 0x80000000, v3
	v_cmp_gt_f64_e32 vcc, 0, v[2:3]
	v_xor_b32_e32 v8, 0x80000000, v5
	v_mov_b32_e32 v6, v2
	v_cndmask_b32_e32 v7, v3, v1, vcc
	v_cmp_gt_f64_e32 vcc, 0, v[4:5]
	s_nop 1
	v_cndmask_b32_e32 v9, v5, v8, vcc
	v_mov_b32_e32 v8, v4
	v_cmp_ngt_f64_e32 vcc, v[6:7], v[8:9]
                                        ; implicit-def: $vgpr6_vgpr7
	s_and_saveexec_b64 s[0:1], vcc
	s_xor_b64 s[0:1], exec, s[0:1]
	s_cbranch_execz .LBB88_4
; %bb.3:
	v_div_scale_f64 v[6:7], s[2:3], v[4:5], v[4:5], v[2:3]
	v_rcp_f64_e32 v[8:9], v[6:7]
	v_div_scale_f64 v[10:11], vcc, v[2:3], v[4:5], v[2:3]
	v_fma_f64 v[66:67], -v[6:7], v[8:9], 1.0
	v_fmac_f64_e32 v[8:9], v[8:9], v[66:67]
	v_fma_f64 v[66:67], -v[6:7], v[8:9], 1.0
	v_fmac_f64_e32 v[8:9], v[8:9], v[66:67]
	v_mul_f64 v[66:67], v[10:11], v[8:9]
	v_fma_f64 v[6:7], -v[6:7], v[66:67], v[10:11]
	v_div_fmas_f64 v[6:7], v[6:7], v[8:9], v[66:67]
	v_div_fixup_f64 v[6:7], v[6:7], v[4:5], v[2:3]
	v_fmac_f64_e32 v[4:5], v[2:3], v[6:7]
	v_div_scale_f64 v[2:3], s[2:3], v[4:5], v[4:5], 1.0
	v_rcp_f64_e32 v[8:9], v[2:3]
	s_nop 0
	v_fma_f64 v[10:11], -v[2:3], v[8:9], 1.0
	v_fmac_f64_e32 v[8:9], v[8:9], v[10:11]
	v_fma_f64 v[10:11], -v[2:3], v[8:9], 1.0
	v_fmac_f64_e32 v[8:9], v[8:9], v[10:11]
	v_div_scale_f64 v[10:11], vcc, 1.0, v[4:5], 1.0
	v_mul_f64 v[66:67], v[10:11], v[8:9]
	v_fma_f64 v[2:3], -v[2:3], v[66:67], v[10:11]
	s_nop 1
	v_div_fmas_f64 v[2:3], v[2:3], v[8:9], v[66:67]
	v_div_fixup_f64 v[8:9], v[2:3], v[4:5], 1.0
	v_mul_f64 v[6:7], v[6:7], v[8:9]
	v_xor_b32_e32 v9, 0x80000000, v9
	v_xor_b32_e32 v11, 0x80000000, v7
	v_mov_b32_e32 v10, v6
                                        ; implicit-def: $vgpr2_vgpr3
.LBB88_4:
	s_or_saveexec_b64 s[0:1], s[0:1]
	v_add_u32_e32 v1, 0, v60
	s_xor_b64 exec, exec, s[0:1]
	s_cbranch_execz .LBB88_6
; %bb.5:
	v_div_scale_f64 v[6:7], s[2:3], v[2:3], v[2:3], v[4:5]
	v_rcp_f64_e32 v[8:9], v[6:7]
	v_div_scale_f64 v[10:11], vcc, v[4:5], v[2:3], v[4:5]
	v_fma_f64 v[66:67], -v[6:7], v[8:9], 1.0
	v_fmac_f64_e32 v[8:9], v[8:9], v[66:67]
	v_fma_f64 v[66:67], -v[6:7], v[8:9], 1.0
	v_fmac_f64_e32 v[8:9], v[8:9], v[66:67]
	v_mul_f64 v[66:67], v[10:11], v[8:9]
	v_fma_f64 v[6:7], -v[6:7], v[66:67], v[10:11]
	v_div_fmas_f64 v[6:7], v[6:7], v[8:9], v[66:67]
	v_div_fixup_f64 v[8:9], v[6:7], v[2:3], v[4:5]
	v_fmac_f64_e32 v[2:3], v[4:5], v[8:9]
	v_div_scale_f64 v[4:5], s[2:3], v[2:3], v[2:3], 1.0
	v_rcp_f64_e32 v[6:7], v[4:5]
	s_nop 0
	v_fma_f64 v[10:11], -v[4:5], v[6:7], 1.0
	v_fmac_f64_e32 v[6:7], v[6:7], v[10:11]
	v_fma_f64 v[10:11], -v[4:5], v[6:7], 1.0
	v_fmac_f64_e32 v[6:7], v[6:7], v[10:11]
	v_div_scale_f64 v[10:11], vcc, 1.0, v[2:3], 1.0
	v_mul_f64 v[66:67], v[10:11], v[6:7]
	v_fma_f64 v[4:5], -v[4:5], v[66:67], v[10:11]
	s_nop 1
	v_div_fmas_f64 v[4:5], v[4:5], v[6:7], v[66:67]
	v_div_fixup_f64 v[6:7], v[4:5], v[2:3], 1.0
	v_xor_b32_e32 v11, 0x80000000, v7
	v_mov_b32_e32 v10, v6
	v_mul_f64 v[8:9], v[8:9], -v[6:7]
.LBB88_6:
	s_or_b64 exec, exec, s[0:1]
	scratch_store_dwordx4 v1, v[6:9], off
	s_nop 1
	v_xor_b32_e32 v9, 0x80000000, v9
	s_branch .LBB88_8
.LBB88_7:
	v_mov_b64_e32 v[8:9], 0
	v_mov_b64_e32 v[10:11], -1.0
.LBB88_8:
	v_add_u32_e32 v75, 16, v12
	v_add_u32_e32 v82, 32, v12
	;; [unrolled: 1-line block ×24, first 2 shown]
	v_mov_b32_e32 v12, v8
	v_mov_b32_e32 v13, v9
	s_cmpk_eq_i32 s4, 0x79
	v_add_u32_e32 v9, 0x190, v60
	v_add_u32_e32 v8, 0, v60
	ds_write_b128 v60, v[10:13]
	s_cbranch_scc1 .LBB88_196
; %bb.9:
	scratch_load_dwordx4 v[2:5], v1, off
	v_cmp_eq_u32_e64 s[0:1], 24, v0
	s_waitcnt vmcnt(0)
	ds_write_b128 v9, v[2:5]
	s_waitcnt lgkmcnt(0)
	; wave barrier
	s_waitcnt lgkmcnt(0)
	s_and_saveexec_b64 s[2:3], s[0:1]
	s_cbranch_execz .LBB88_13
; %bb.10:
	ds_read_b128 v[2:5], v9
	s_andn2_b64 vcc, exec, s[6:7]
	s_cbranch_vccnz .LBB88_12
; %bb.11:
	scratch_load_dwordx4 v[10:13], v8, off
	s_waitcnt vmcnt(0) lgkmcnt(0)
	v_mul_f64 v[6:7], v[4:5], v[12:13]
	v_mul_f64 v[12:13], v[2:3], v[12:13]
	v_fmac_f64_e32 v[12:13], v[4:5], v[10:11]
	v_fma_f64 v[2:3], v[2:3], v[10:11], -v[6:7]
	v_mov_b64_e32 v[4:5], v[12:13]
.LBB88_12:
	v_mov_b32_e32 v6, 0
	ds_read_b128 v[10:13], v6 offset:368
	s_waitcnt lgkmcnt(0)
	v_mul_f64 v[6:7], v[4:5], v[12:13]
	v_mul_f64 v[90:91], v[2:3], v[12:13]
	v_fma_f64 v[88:89], v[2:3], v[10:11], -v[6:7]
	v_fmac_f64_e32 v[90:91], v[4:5], v[10:11]
	scratch_store_dwordx4 off, v[88:91], off offset:368
.LBB88_13:
	s_or_b64 exec, exec, s[2:3]
	scratch_load_dwordx4 v[2:5], v66, off
	v_cmp_lt_u32_e64 s[2:3], 22, v0
	s_waitcnt vmcnt(0)
	ds_write_b128 v9, v[2:5]
	s_waitcnt lgkmcnt(0)
	; wave barrier
	s_waitcnt lgkmcnt(0)
	s_and_saveexec_b64 s[4:5], s[2:3]
	s_cbranch_execz .LBB88_19
; %bb.14:
	ds_read_b128 v[2:5], v9
	s_andn2_b64 vcc, exec, s[6:7]
	s_cbranch_vccnz .LBB88_16
; %bb.15:
	scratch_load_dwordx4 v[10:13], v8, off
	s_waitcnt vmcnt(0) lgkmcnt(0)
	v_mul_f64 v[6:7], v[4:5], v[12:13]
	v_mul_f64 v[12:13], v[2:3], v[12:13]
	v_fmac_f64_e32 v[12:13], v[4:5], v[10:11]
	v_fma_f64 v[2:3], v[2:3], v[10:11], -v[6:7]
	v_mov_b64_e32 v[4:5], v[12:13]
.LBB88_16:
	s_and_saveexec_b64 s[8:9], s[0:1]
	s_cbranch_execz .LBB88_18
; %bb.17:
	scratch_load_dwordx4 v[10:13], off, off offset:368
	v_mov_b32_e32 v6, 0
	ds_read_b128 v[88:91], v6 offset:768
	s_waitcnt vmcnt(0) lgkmcnt(0)
	v_mul_f64 v[6:7], v[88:89], v[12:13]
	v_mul_f64 v[12:13], v[90:91], v[12:13]
	v_fmac_f64_e32 v[6:7], v[90:91], v[10:11]
	v_fma_f64 v[10:11], v[88:89], v[10:11], -v[12:13]
	v_add_f64 v[4:5], v[4:5], v[6:7]
	v_add_f64 v[2:3], v[2:3], v[10:11]
.LBB88_18:
	s_or_b64 exec, exec, s[8:9]
	v_mov_b32_e32 v6, 0
	ds_read_b128 v[10:13], v6 offset:352
	s_waitcnt lgkmcnt(0)
	v_mul_f64 v[6:7], v[4:5], v[12:13]
	v_mul_f64 v[90:91], v[2:3], v[12:13]
	v_fma_f64 v[88:89], v[2:3], v[10:11], -v[6:7]
	v_fmac_f64_e32 v[90:91], v[4:5], v[10:11]
	scratch_store_dwordx4 off, v[88:91], off offset:352
.LBB88_19:
	s_or_b64 exec, exec, s[4:5]
	scratch_load_dwordx4 v[2:5], v67, off
	v_cmp_lt_u32_e64 s[0:1], 21, v0
	s_waitcnt vmcnt(0)
	ds_write_b128 v9, v[2:5]
	s_waitcnt lgkmcnt(0)
	; wave barrier
	s_waitcnt lgkmcnt(0)
	s_and_saveexec_b64 s[4:5], s[0:1]
	s_cbranch_execz .LBB88_27
; %bb.20:
	ds_read_b128 v[2:5], v9
	s_andn2_b64 vcc, exec, s[6:7]
	s_cbranch_vccnz .LBB88_22
; %bb.21:
	scratch_load_dwordx4 v[10:13], v8, off
	s_waitcnt vmcnt(0) lgkmcnt(0)
	v_mul_f64 v[6:7], v[4:5], v[12:13]
	v_mul_f64 v[12:13], v[2:3], v[12:13]
	v_fmac_f64_e32 v[12:13], v[4:5], v[10:11]
	v_fma_f64 v[2:3], v[2:3], v[10:11], -v[6:7]
	v_mov_b64_e32 v[4:5], v[12:13]
.LBB88_22:
	s_and_saveexec_b64 s[8:9], s[2:3]
	s_cbranch_execz .LBB88_26
; %bb.23:
	v_mov_b32_e32 v7, 0
	v_subrev_u32_e32 v6, 22, v0
	v_add_u32_e32 v7, 0x168, v7
	s_movk_i32 s10, 0x2f0
	s_mov_b64 s[2:3], 0
.LBB88_24:                              ; =>This Inner Loop Header: Depth=1
	v_add_u32_e32 v10, -8, v7
	scratch_load_dwordx4 v[10:13], v10, off
	v_mov_b32_e32 v88, s10
	ds_read_b128 v[88:91], v88
	v_add_u32_e32 v6, -1, v6
	s_add_i32 s10, s10, 16
	v_cmp_eq_u32_e32 vcc, 0, v6
	v_add_u32_e32 v7, 16, v7
	s_or_b64 s[2:3], vcc, s[2:3]
	s_waitcnt vmcnt(0) lgkmcnt(0)
	v_mul_f64 v[92:93], v[90:91], v[12:13]
	v_mul_f64 v[12:13], v[88:89], v[12:13]
	v_fma_f64 v[88:89], v[88:89], v[10:11], -v[92:93]
	v_fmac_f64_e32 v[12:13], v[90:91], v[10:11]
	v_add_f64 v[2:3], v[2:3], v[88:89]
	v_add_f64 v[4:5], v[4:5], v[12:13]
	s_andn2_b64 exec, exec, s[2:3]
	s_cbranch_execnz .LBB88_24
; %bb.25:
	s_or_b64 exec, exec, s[2:3]
.LBB88_26:
	s_or_b64 exec, exec, s[8:9]
	v_mov_b32_e32 v6, 0
	ds_read_b128 v[10:13], v6 offset:336
	s_waitcnt lgkmcnt(0)
	v_mul_f64 v[6:7], v[4:5], v[12:13]
	v_mul_f64 v[90:91], v[2:3], v[12:13]
	v_fma_f64 v[88:89], v[2:3], v[10:11], -v[6:7]
	v_fmac_f64_e32 v[90:91], v[4:5], v[10:11]
	scratch_store_dwordx4 off, v[88:91], off offset:336
.LBB88_27:
	s_or_b64 exec, exec, s[4:5]
	scratch_load_dwordx4 v[2:5], v68, off
	v_cmp_lt_u32_e64 s[2:3], 20, v0
	s_waitcnt vmcnt(0)
	ds_write_b128 v9, v[2:5]
	s_waitcnt lgkmcnt(0)
	; wave barrier
	s_waitcnt lgkmcnt(0)
	s_and_saveexec_b64 s[4:5], s[2:3]
	s_cbranch_execz .LBB88_35
; %bb.28:
	ds_read_b128 v[2:5], v9
	s_andn2_b64 vcc, exec, s[6:7]
	s_cbranch_vccnz .LBB88_30
; %bb.29:
	scratch_load_dwordx4 v[10:13], v8, off
	s_waitcnt vmcnt(0) lgkmcnt(0)
	v_mul_f64 v[6:7], v[4:5], v[12:13]
	v_mul_f64 v[12:13], v[2:3], v[12:13]
	v_fmac_f64_e32 v[12:13], v[4:5], v[10:11]
	v_fma_f64 v[2:3], v[2:3], v[10:11], -v[6:7]
	v_mov_b64_e32 v[4:5], v[12:13]
.LBB88_30:
	s_and_saveexec_b64 s[8:9], s[0:1]
	s_cbranch_execz .LBB88_34
; %bb.31:
	v_mov_b32_e32 v7, 0
	v_subrev_u32_e32 v6, 21, v0
	v_add_u32_e32 v7, 0x158, v7
	s_movk_i32 s10, 0x2e0
	s_mov_b64 s[0:1], 0
.LBB88_32:                              ; =>This Inner Loop Header: Depth=1
	v_add_u32_e32 v10, -8, v7
	scratch_load_dwordx4 v[10:13], v10, off
	v_mov_b32_e32 v88, s10
	ds_read_b128 v[88:91], v88
	v_add_u32_e32 v6, -1, v6
	s_add_i32 s10, s10, 16
	v_cmp_eq_u32_e32 vcc, 0, v6
	v_add_u32_e32 v7, 16, v7
	s_or_b64 s[0:1], vcc, s[0:1]
	s_waitcnt vmcnt(0) lgkmcnt(0)
	v_mul_f64 v[92:93], v[90:91], v[12:13]
	v_mul_f64 v[12:13], v[88:89], v[12:13]
	v_fma_f64 v[88:89], v[88:89], v[10:11], -v[92:93]
	v_fmac_f64_e32 v[12:13], v[90:91], v[10:11]
	v_add_f64 v[2:3], v[2:3], v[88:89]
	v_add_f64 v[4:5], v[4:5], v[12:13]
	s_andn2_b64 exec, exec, s[0:1]
	s_cbranch_execnz .LBB88_32
; %bb.33:
	s_or_b64 exec, exec, s[0:1]
.LBB88_34:
	s_or_b64 exec, exec, s[8:9]
	v_mov_b32_e32 v6, 0
	ds_read_b128 v[10:13], v6 offset:320
	s_waitcnt lgkmcnt(0)
	v_mul_f64 v[6:7], v[4:5], v[12:13]
	v_mul_f64 v[90:91], v[2:3], v[12:13]
	v_fma_f64 v[88:89], v[2:3], v[10:11], -v[6:7]
	v_fmac_f64_e32 v[90:91], v[4:5], v[10:11]
	scratch_store_dwordx4 off, v[88:91], off offset:320
.LBB88_35:
	;; [unrolled: 63-line block ×6, first 2 shown]
	s_or_b64 exec, exec, s[4:5]
	scratch_load_dwordx4 v[2:5], v72, off
	v_cmp_lt_u32_e64 s[0:1], 15, v0
	s_waitcnt vmcnt(0)
	ds_write_b128 v9, v[2:5]
	s_waitcnt lgkmcnt(0)
	; wave barrier
	s_waitcnt lgkmcnt(0)
	s_and_saveexec_b64 s[4:5], s[0:1]
	s_cbranch_execz .LBB88_75
; %bb.68:
	ds_read_b128 v[2:5], v9
	s_andn2_b64 vcc, exec, s[6:7]
	s_cbranch_vccnz .LBB88_70
; %bb.69:
	scratch_load_dwordx4 v[10:13], v8, off
	s_waitcnt vmcnt(0) lgkmcnt(0)
	v_mul_f64 v[6:7], v[4:5], v[12:13]
	v_mul_f64 v[12:13], v[2:3], v[12:13]
	v_fmac_f64_e32 v[12:13], v[4:5], v[10:11]
	v_fma_f64 v[2:3], v[2:3], v[10:11], -v[6:7]
	v_mov_b64_e32 v[4:5], v[12:13]
.LBB88_70:
	s_and_saveexec_b64 s[8:9], s[2:3]
	s_cbranch_execz .LBB88_74
; %bb.71:
	v_mov_b32_e32 v7, 0
	v_add_u32_e32 v6, -16, v0
	v_add_u32_e32 v7, 0x108, v7
	s_movk_i32 s10, 0x290
	s_mov_b64 s[2:3], 0
.LBB88_72:                              ; =>This Inner Loop Header: Depth=1
	v_add_u32_e32 v10, -8, v7
	scratch_load_dwordx4 v[10:13], v10, off
	v_mov_b32_e32 v88, s10
	ds_read_b128 v[88:91], v88
	v_add_u32_e32 v6, -1, v6
	s_add_i32 s10, s10, 16
	v_cmp_eq_u32_e32 vcc, 0, v6
	v_add_u32_e32 v7, 16, v7
	s_or_b64 s[2:3], vcc, s[2:3]
	s_waitcnt vmcnt(0) lgkmcnt(0)
	v_mul_f64 v[92:93], v[90:91], v[12:13]
	v_mul_f64 v[12:13], v[88:89], v[12:13]
	v_fma_f64 v[88:89], v[88:89], v[10:11], -v[92:93]
	v_fmac_f64_e32 v[12:13], v[90:91], v[10:11]
	v_add_f64 v[2:3], v[2:3], v[88:89]
	v_add_f64 v[4:5], v[4:5], v[12:13]
	s_andn2_b64 exec, exec, s[2:3]
	s_cbranch_execnz .LBB88_72
; %bb.73:
	s_or_b64 exec, exec, s[2:3]
.LBB88_74:
	s_or_b64 exec, exec, s[8:9]
	v_mov_b32_e32 v6, 0
	ds_read_b128 v[10:13], v6 offset:240
	s_waitcnt lgkmcnt(0)
	v_mul_f64 v[6:7], v[4:5], v[12:13]
	v_mul_f64 v[90:91], v[2:3], v[12:13]
	v_fma_f64 v[88:89], v[2:3], v[10:11], -v[6:7]
	v_fmac_f64_e32 v[90:91], v[4:5], v[10:11]
	scratch_store_dwordx4 off, v[88:91], off offset:240
.LBB88_75:
	s_or_b64 exec, exec, s[4:5]
	scratch_load_dwordx4 v[2:5], v77, off
	v_cmp_lt_u32_e64 s[2:3], 14, v0
	s_waitcnt vmcnt(0)
	ds_write_b128 v9, v[2:5]
	s_waitcnt lgkmcnt(0)
	; wave barrier
	s_waitcnt lgkmcnt(0)
	s_and_saveexec_b64 s[4:5], s[2:3]
	s_cbranch_execz .LBB88_83
; %bb.76:
	ds_read_b128 v[2:5], v9
	s_andn2_b64 vcc, exec, s[6:7]
	s_cbranch_vccnz .LBB88_78
; %bb.77:
	scratch_load_dwordx4 v[10:13], v8, off
	s_waitcnt vmcnt(0) lgkmcnt(0)
	v_mul_f64 v[6:7], v[4:5], v[12:13]
	v_mul_f64 v[12:13], v[2:3], v[12:13]
	v_fmac_f64_e32 v[12:13], v[4:5], v[10:11]
	v_fma_f64 v[2:3], v[2:3], v[10:11], -v[6:7]
	v_mov_b64_e32 v[4:5], v[12:13]
.LBB88_78:
	s_and_saveexec_b64 s[8:9], s[0:1]
	s_cbranch_execz .LBB88_82
; %bb.79:
	v_mov_b32_e32 v7, 0
	v_add_u32_e32 v6, -15, v0
	v_add_u32_e32 v7, 0xf8, v7
	s_movk_i32 s10, 0x280
	s_mov_b64 s[0:1], 0
.LBB88_80:                              ; =>This Inner Loop Header: Depth=1
	v_add_u32_e32 v10, -8, v7
	scratch_load_dwordx4 v[10:13], v10, off
	v_mov_b32_e32 v88, s10
	ds_read_b128 v[88:91], v88
	v_add_u32_e32 v6, -1, v6
	s_add_i32 s10, s10, 16
	v_cmp_eq_u32_e32 vcc, 0, v6
	v_add_u32_e32 v7, 16, v7
	s_or_b64 s[0:1], vcc, s[0:1]
	s_waitcnt vmcnt(0) lgkmcnt(0)
	v_mul_f64 v[92:93], v[90:91], v[12:13]
	v_mul_f64 v[12:13], v[88:89], v[12:13]
	v_fma_f64 v[88:89], v[88:89], v[10:11], -v[92:93]
	v_fmac_f64_e32 v[12:13], v[90:91], v[10:11]
	v_add_f64 v[2:3], v[2:3], v[88:89]
	v_add_f64 v[4:5], v[4:5], v[12:13]
	s_andn2_b64 exec, exec, s[0:1]
	s_cbranch_execnz .LBB88_80
; %bb.81:
	s_or_b64 exec, exec, s[0:1]
.LBB88_82:
	s_or_b64 exec, exec, s[8:9]
	v_mov_b32_e32 v6, 0
	ds_read_b128 v[10:13], v6 offset:224
	s_waitcnt lgkmcnt(0)
	v_mul_f64 v[6:7], v[4:5], v[12:13]
	v_mul_f64 v[90:91], v[2:3], v[12:13]
	v_fma_f64 v[88:89], v[2:3], v[10:11], -v[6:7]
	v_fmac_f64_e32 v[90:91], v[4:5], v[10:11]
	scratch_store_dwordx4 off, v[88:91], off offset:224
.LBB88_83:
	;; [unrolled: 63-line block ×4, first 2 shown]
	s_or_b64 exec, exec, s[4:5]
	scratch_load_dwordx4 v[2:5], v83, off
	v_cmp_lt_u32_e64 s[0:1], 11, v0
	s_waitcnt vmcnt(0)
	ds_write_b128 v9, v[2:5]
	s_waitcnt lgkmcnt(0)
	; wave barrier
	s_waitcnt lgkmcnt(0)
	s_and_saveexec_b64 s[4:5], s[0:1]
	s_cbranch_execz .LBB88_107
; %bb.100:
	ds_read_b128 v[2:5], v9
	s_andn2_b64 vcc, exec, s[6:7]
	s_cbranch_vccnz .LBB88_102
; %bb.101:
	scratch_load_dwordx4 v[10:13], v8, off
	s_waitcnt vmcnt(0) lgkmcnt(0)
	v_mul_f64 v[6:7], v[4:5], v[12:13]
	v_mul_f64 v[12:13], v[2:3], v[12:13]
	v_fmac_f64_e32 v[12:13], v[4:5], v[10:11]
	v_fma_f64 v[2:3], v[2:3], v[10:11], -v[6:7]
	v_mov_b64_e32 v[4:5], v[12:13]
.LBB88_102:
	s_and_saveexec_b64 s[8:9], s[2:3]
	s_cbranch_execz .LBB88_106
; %bb.103:
	v_mov_b32_e32 v7, 0
	v_add_u32_e32 v6, -12, v0
	v_add_u32_e32 v7, 0xc8, v7
	s_movk_i32 s10, 0x250
	s_mov_b64 s[2:3], 0
.LBB88_104:                             ; =>This Inner Loop Header: Depth=1
	v_add_u32_e32 v10, -8, v7
	scratch_load_dwordx4 v[10:13], v10, off
	v_mov_b32_e32 v88, s10
	ds_read_b128 v[88:91], v88
	v_add_u32_e32 v6, -1, v6
	s_add_i32 s10, s10, 16
	v_cmp_eq_u32_e32 vcc, 0, v6
	v_add_u32_e32 v7, 16, v7
	s_or_b64 s[2:3], vcc, s[2:3]
	s_waitcnt vmcnt(0) lgkmcnt(0)
	v_mul_f64 v[92:93], v[90:91], v[12:13]
	v_mul_f64 v[12:13], v[88:89], v[12:13]
	v_fma_f64 v[88:89], v[88:89], v[10:11], -v[92:93]
	v_fmac_f64_e32 v[12:13], v[90:91], v[10:11]
	v_add_f64 v[2:3], v[2:3], v[88:89]
	v_add_f64 v[4:5], v[4:5], v[12:13]
	s_andn2_b64 exec, exec, s[2:3]
	s_cbranch_execnz .LBB88_104
; %bb.105:
	s_or_b64 exec, exec, s[2:3]
.LBB88_106:
	s_or_b64 exec, exec, s[8:9]
	v_mov_b32_e32 v6, 0
	ds_read_b128 v[10:13], v6 offset:176
	s_waitcnt lgkmcnt(0)
	v_mul_f64 v[6:7], v[4:5], v[12:13]
	v_mul_f64 v[90:91], v[2:3], v[12:13]
	v_fma_f64 v[88:89], v[2:3], v[10:11], -v[6:7]
	v_fmac_f64_e32 v[90:91], v[4:5], v[10:11]
	scratch_store_dwordx4 off, v[88:91], off offset:176
.LBB88_107:
	s_or_b64 exec, exec, s[4:5]
	scratch_load_dwordx4 v[2:5], v78, off
	v_cmp_lt_u32_e64 s[2:3], 10, v0
	s_waitcnt vmcnt(0)
	ds_write_b128 v9, v[2:5]
	s_waitcnt lgkmcnt(0)
	; wave barrier
	s_waitcnt lgkmcnt(0)
	s_and_saveexec_b64 s[4:5], s[2:3]
	s_cbranch_execz .LBB88_115
; %bb.108:
	ds_read_b128 v[2:5], v9
	s_andn2_b64 vcc, exec, s[6:7]
	s_cbranch_vccnz .LBB88_110
; %bb.109:
	scratch_load_dwordx4 v[10:13], v8, off
	s_waitcnt vmcnt(0) lgkmcnt(0)
	v_mul_f64 v[6:7], v[4:5], v[12:13]
	v_mul_f64 v[12:13], v[2:3], v[12:13]
	v_fmac_f64_e32 v[12:13], v[4:5], v[10:11]
	v_fma_f64 v[2:3], v[2:3], v[10:11], -v[6:7]
	v_mov_b64_e32 v[4:5], v[12:13]
.LBB88_110:
	s_and_saveexec_b64 s[8:9], s[0:1]
	s_cbranch_execz .LBB88_114
; %bb.111:
	v_mov_b32_e32 v7, 0
	v_add_u32_e32 v6, -11, v0
	v_add_u32_e32 v7, 0xb8, v7
	s_movk_i32 s10, 0x240
	s_mov_b64 s[0:1], 0
.LBB88_112:                             ; =>This Inner Loop Header: Depth=1
	v_add_u32_e32 v10, -8, v7
	scratch_load_dwordx4 v[10:13], v10, off
	v_mov_b32_e32 v88, s10
	ds_read_b128 v[88:91], v88
	v_add_u32_e32 v6, -1, v6
	s_add_i32 s10, s10, 16
	v_cmp_eq_u32_e32 vcc, 0, v6
	v_add_u32_e32 v7, 16, v7
	s_or_b64 s[0:1], vcc, s[0:1]
	s_waitcnt vmcnt(0) lgkmcnt(0)
	v_mul_f64 v[92:93], v[90:91], v[12:13]
	v_mul_f64 v[12:13], v[88:89], v[12:13]
	v_fma_f64 v[88:89], v[88:89], v[10:11], -v[92:93]
	v_fmac_f64_e32 v[12:13], v[90:91], v[10:11]
	v_add_f64 v[2:3], v[2:3], v[88:89]
	v_add_f64 v[4:5], v[4:5], v[12:13]
	s_andn2_b64 exec, exec, s[0:1]
	s_cbranch_execnz .LBB88_112
; %bb.113:
	s_or_b64 exec, exec, s[0:1]
.LBB88_114:
	s_or_b64 exec, exec, s[8:9]
	v_mov_b32_e32 v6, 0
	ds_read_b128 v[10:13], v6 offset:160
	s_waitcnt lgkmcnt(0)
	v_mul_f64 v[6:7], v[4:5], v[12:13]
	v_mul_f64 v[90:91], v[2:3], v[12:13]
	v_fma_f64 v[88:89], v[2:3], v[10:11], -v[6:7]
	v_fmac_f64_e32 v[90:91], v[4:5], v[10:11]
	scratch_store_dwordx4 off, v[88:91], off offset:160
.LBB88_115:
	;; [unrolled: 63-line block ×11, first 2 shown]
	s_or_b64 exec, exec, s[4:5]
	scratch_load_dwordx4 v[2:5], off, off
	v_cmp_ne_u32_e32 vcc, 0, v0
	s_mov_b64 s[2:3], 0
	s_mov_b64 s[4:5], 0
                                        ; implicit-def: $vgpr6_vgpr7
                                        ; implicit-def: $vgpr10
	s_waitcnt vmcnt(0)
	ds_write_b128 v9, v[2:5]
	s_waitcnt lgkmcnt(0)
	; wave barrier
	s_waitcnt lgkmcnt(0)
	s_and_saveexec_b64 s[8:9], vcc
	s_cbranch_execz .LBB88_195
; %bb.188:
	ds_read_b128 v[2:5], v9
	s_andn2_b64 vcc, exec, s[6:7]
	s_cbranch_vccnz .LBB88_190
; %bb.189:
	scratch_load_dwordx4 v[10:13], v8, off
	s_waitcnt vmcnt(0) lgkmcnt(0)
	v_mul_f64 v[6:7], v[4:5], v[12:13]
	v_mul_f64 v[12:13], v[2:3], v[12:13]
	v_fmac_f64_e32 v[12:13], v[4:5], v[10:11]
	v_fma_f64 v[2:3], v[2:3], v[10:11], -v[6:7]
	v_mov_b64_e32 v[4:5], v[12:13]
.LBB88_190:
	s_and_saveexec_b64 s[4:5], s[0:1]
	s_cbranch_execz .LBB88_194
; %bb.191:
	v_mov_b32_e32 v7, 0
	v_add_u32_e32 v6, -1, v0
	v_add_u32_e32 v7, 24, v7
	s_movk_i32 s10, 0x1a0
	s_mov_b64 s[0:1], 0
.LBB88_192:                             ; =>This Inner Loop Header: Depth=1
	v_add_u32_e32 v10, -8, v7
	scratch_load_dwordx4 v[10:13], v10, off
	v_mov_b32_e32 v88, s10
	ds_read_b128 v[88:91], v88
	v_add_u32_e32 v6, -1, v6
	s_add_i32 s10, s10, 16
	v_cmp_eq_u32_e32 vcc, 0, v6
	v_add_u32_e32 v7, 16, v7
	s_or_b64 s[0:1], vcc, s[0:1]
	s_waitcnt vmcnt(0) lgkmcnt(0)
	v_mul_f64 v[92:93], v[90:91], v[12:13]
	v_mul_f64 v[12:13], v[88:89], v[12:13]
	v_fma_f64 v[88:89], v[88:89], v[10:11], -v[92:93]
	v_fmac_f64_e32 v[12:13], v[90:91], v[10:11]
	v_add_f64 v[2:3], v[2:3], v[88:89]
	v_add_f64 v[4:5], v[4:5], v[12:13]
	s_andn2_b64 exec, exec, s[0:1]
	s_cbranch_execnz .LBB88_192
; %bb.193:
	s_or_b64 exec, exec, s[0:1]
.LBB88_194:
	s_or_b64 exec, exec, s[4:5]
	v_mov_b32_e32 v6, 0
	ds_read_b128 v[88:91], v6
	v_mov_b32_e32 v6, 0
	v_or_b32_e32 v10, 8, v6
	s_mov_b64 s[4:5], exec
	s_waitcnt lgkmcnt(0)
	v_mul_f64 v[12:13], v[4:5], v[90:91]
	v_mul_f64 v[6:7], v[2:3], v[90:91]
	v_fma_f64 v[2:3], v[2:3], v[88:89], -v[12:13]
	v_fmac_f64_e32 v[6:7], v[4:5], v[88:89]
	scratch_store_dwordx2 off, v[2:3], off
.LBB88_195:
	s_or_b64 exec, exec, s[8:9]
	s_and_b64 vcc, exec, s[2:3]
	s_cbranch_vccnz .LBB88_197
	s_branch .LBB88_384
.LBB88_196:
	s_mov_b64 s[4:5], 0
                                        ; implicit-def: $vgpr6_vgpr7
                                        ; implicit-def: $vgpr10
	s_cbranch_execz .LBB88_384
.LBB88_197:
	scratch_load_dwordx4 v[2:5], v75, off
	v_cndmask_b32_e64 v6, 0, 1, s[6:7]
	v_cmp_eq_u32_e64 s[2:3], 0, v0
	v_cmp_ne_u32_e64 s[0:1], 1, v6
	s_waitcnt vmcnt(0)
	ds_write_b128 v9, v[2:5]
	s_waitcnt lgkmcnt(0)
	; wave barrier
	s_waitcnt lgkmcnt(0)
	s_and_saveexec_b64 s[6:7], s[2:3]
	s_cbranch_execz .LBB88_201
; %bb.198:
	ds_read_b128 v[2:5], v9
	s_and_b64 vcc, exec, s[0:1]
	s_cbranch_vccnz .LBB88_200
; %bb.199:
	scratch_load_dwordx4 v[10:13], v8, off
	s_waitcnt vmcnt(0) lgkmcnt(0)
	v_mul_f64 v[6:7], v[4:5], v[12:13]
	v_mul_f64 v[12:13], v[2:3], v[12:13]
	v_fmac_f64_e32 v[12:13], v[4:5], v[10:11]
	v_fma_f64 v[2:3], v[2:3], v[10:11], -v[6:7]
	v_mov_b64_e32 v[4:5], v[12:13]
.LBB88_200:
	v_mov_b32_e32 v6, 0
	ds_read_b128 v[10:13], v6 offset:16
	s_waitcnt lgkmcnt(0)
	v_mul_f64 v[6:7], v[4:5], v[12:13]
	v_mul_f64 v[90:91], v[2:3], v[12:13]
	v_fma_f64 v[88:89], v[2:3], v[10:11], -v[6:7]
	v_fmac_f64_e32 v[90:91], v[4:5], v[10:11]
	scratch_store_dwordx4 off, v[88:91], off offset:16
.LBB88_201:
	s_or_b64 exec, exec, s[6:7]
	scratch_load_dwordx4 v[2:5], v82, off
	v_cmp_gt_u32_e32 vcc, 2, v0
	s_waitcnt vmcnt(0)
	ds_write_b128 v9, v[2:5]
	s_waitcnt lgkmcnt(0)
	; wave barrier
	s_waitcnt lgkmcnt(0)
	s_and_saveexec_b64 s[6:7], vcc
	s_cbranch_execz .LBB88_207
; %bb.202:
	ds_read_b128 v[2:5], v9
	s_and_b64 vcc, exec, s[0:1]
	s_cbranch_vccnz .LBB88_204
; %bb.203:
	scratch_load_dwordx4 v[10:13], v8, off
	s_waitcnt vmcnt(0) lgkmcnt(0)
	v_mul_f64 v[6:7], v[4:5], v[12:13]
	v_mul_f64 v[12:13], v[2:3], v[12:13]
	v_fmac_f64_e32 v[12:13], v[4:5], v[10:11]
	v_fma_f64 v[2:3], v[2:3], v[10:11], -v[6:7]
	v_mov_b64_e32 v[4:5], v[12:13]
.LBB88_204:
	s_and_saveexec_b64 s[8:9], s[2:3]
	s_cbranch_execz .LBB88_206
; %bb.205:
	scratch_load_dwordx4 v[10:13], v8, off offset:16
	ds_read_b128 v[88:91], v9 offset:16
	s_waitcnt vmcnt(0) lgkmcnt(0)
	v_mul_f64 v[6:7], v[90:91], v[12:13]
	v_mul_f64 v[12:13], v[88:89], v[12:13]
	v_fma_f64 v[6:7], v[88:89], v[10:11], -v[6:7]
	v_fmac_f64_e32 v[12:13], v[90:91], v[10:11]
	v_add_f64 v[2:3], v[2:3], v[6:7]
	v_add_f64 v[4:5], v[4:5], v[12:13]
.LBB88_206:
	s_or_b64 exec, exec, s[8:9]
	v_mov_b32_e32 v6, 0
	ds_read_b128 v[10:13], v6 offset:32
	s_waitcnt lgkmcnt(0)
	v_mul_f64 v[6:7], v[4:5], v[12:13]
	v_mul_f64 v[90:91], v[2:3], v[12:13]
	v_fma_f64 v[88:89], v[2:3], v[10:11], -v[6:7]
	v_fmac_f64_e32 v[90:91], v[4:5], v[10:11]
	scratch_store_dwordx4 off, v[88:91], off offset:32
.LBB88_207:
	s_or_b64 exec, exec, s[6:7]
	scratch_load_dwordx4 v[2:5], v74, off
	v_cmp_gt_u32_e32 vcc, 3, v0
	s_waitcnt vmcnt(0)
	ds_write_b128 v9, v[2:5]
	s_waitcnt lgkmcnt(0)
	; wave barrier
	s_waitcnt lgkmcnt(0)
	s_and_saveexec_b64 s[6:7], vcc
	s_cbranch_execz .LBB88_215
; %bb.208:
	ds_read_b128 v[2:5], v9
	s_and_b64 vcc, exec, s[0:1]
	s_cbranch_vccnz .LBB88_210
; %bb.209:
	scratch_load_dwordx4 v[10:13], v8, off
	s_waitcnt vmcnt(0) lgkmcnt(0)
	v_mul_f64 v[6:7], v[4:5], v[12:13]
	v_mul_f64 v[12:13], v[2:3], v[12:13]
	v_fmac_f64_e32 v[12:13], v[4:5], v[10:11]
	v_fma_f64 v[2:3], v[2:3], v[10:11], -v[6:7]
	v_mov_b64_e32 v[4:5], v[12:13]
.LBB88_210:
	v_cmp_ne_u32_e32 vcc, 2, v0
	s_and_saveexec_b64 s[8:9], vcc
	s_cbranch_execz .LBB88_214
; %bb.211:
	scratch_load_dwordx4 v[10:13], v8, off offset:16
	ds_read_b128 v[88:91], v9 offset:16
	s_waitcnt vmcnt(0) lgkmcnt(0)
	v_mul_f64 v[6:7], v[90:91], v[12:13]
	v_mul_f64 v[12:13], v[88:89], v[12:13]
	v_fma_f64 v[6:7], v[88:89], v[10:11], -v[6:7]
	v_fmac_f64_e32 v[12:13], v[90:91], v[10:11]
	v_add_f64 v[2:3], v[2:3], v[6:7]
	v_add_f64 v[4:5], v[4:5], v[12:13]
	s_and_saveexec_b64 s[10:11], s[2:3]
	s_cbranch_execz .LBB88_213
; %bb.212:
	scratch_load_dwordx4 v[10:13], off, off offset:32
	v_mov_b32_e32 v6, 0
	ds_read_b128 v[88:91], v6 offset:432
	s_waitcnt vmcnt(0) lgkmcnt(0)
	v_mul_f64 v[6:7], v[88:89], v[12:13]
	v_mul_f64 v[12:13], v[90:91], v[12:13]
	v_fmac_f64_e32 v[6:7], v[90:91], v[10:11]
	v_fma_f64 v[10:11], v[88:89], v[10:11], -v[12:13]
	v_add_f64 v[4:5], v[4:5], v[6:7]
	v_add_f64 v[2:3], v[2:3], v[10:11]
.LBB88_213:
	s_or_b64 exec, exec, s[10:11]
.LBB88_214:
	s_or_b64 exec, exec, s[8:9]
	v_mov_b32_e32 v6, 0
	ds_read_b128 v[10:13], v6 offset:48
	s_waitcnt lgkmcnt(0)
	v_mul_f64 v[6:7], v[4:5], v[12:13]
	v_mul_f64 v[90:91], v[2:3], v[12:13]
	v_fma_f64 v[88:89], v[2:3], v[10:11], -v[6:7]
	v_fmac_f64_e32 v[90:91], v[4:5], v[10:11]
	scratch_store_dwordx4 off, v[88:91], off offset:48
.LBB88_215:
	s_or_b64 exec, exec, s[6:7]
	scratch_load_dwordx4 v[2:5], v81, off
	v_cmp_gt_u32_e32 vcc, 4, v0
	s_waitcnt vmcnt(0)
	ds_write_b128 v9, v[2:5]
	s_waitcnt lgkmcnt(0)
	; wave barrier
	s_waitcnt lgkmcnt(0)
	s_and_saveexec_b64 s[2:3], vcc
	s_cbranch_execz .LBB88_223
; %bb.216:
	ds_read_b128 v[2:5], v9
	s_and_b64 vcc, exec, s[0:1]
	s_cbranch_vccnz .LBB88_218
; %bb.217:
	scratch_load_dwordx4 v[10:13], v8, off
	s_waitcnt vmcnt(0) lgkmcnt(0)
	v_mul_f64 v[6:7], v[4:5], v[12:13]
	v_mul_f64 v[12:13], v[2:3], v[12:13]
	v_fmac_f64_e32 v[12:13], v[4:5], v[10:11]
	v_fma_f64 v[2:3], v[2:3], v[10:11], -v[6:7]
	v_mov_b64_e32 v[4:5], v[12:13]
.LBB88_218:
	v_cmp_ne_u32_e32 vcc, 3, v0
	s_and_saveexec_b64 s[6:7], vcc
	s_cbranch_execz .LBB88_222
; %bb.219:
	v_mov_b32_e32 v7, 0
	v_add_u32_e32 v6, 0x1a0, v60
	v_add3_u32 v7, v60, v7, 24
	s_mov_b64 s[8:9], 0
	v_mov_b32_e32 v10, v0
.LBB88_220:                             ; =>This Inner Loop Header: Depth=1
	v_add_u32_e32 v11, -8, v7
	scratch_load_dwordx4 v[88:91], v11, off
	ds_read_b128 v[92:95], v6
	v_add_u32_e32 v10, 1, v10
	v_cmp_lt_u32_e32 vcc, 2, v10
	v_add_u32_e32 v6, 16, v6
	v_add_u32_e32 v7, 16, v7
	s_or_b64 s[8:9], vcc, s[8:9]
	s_waitcnt vmcnt(0) lgkmcnt(0)
	v_mul_f64 v[12:13], v[94:95], v[90:91]
	v_mul_f64 v[90:91], v[92:93], v[90:91]
	v_fma_f64 v[12:13], v[92:93], v[88:89], -v[12:13]
	v_fmac_f64_e32 v[90:91], v[94:95], v[88:89]
	v_add_f64 v[2:3], v[2:3], v[12:13]
	v_add_f64 v[4:5], v[4:5], v[90:91]
	s_andn2_b64 exec, exec, s[8:9]
	s_cbranch_execnz .LBB88_220
; %bb.221:
	s_or_b64 exec, exec, s[8:9]
.LBB88_222:
	s_or_b64 exec, exec, s[6:7]
	v_mov_b32_e32 v6, 0
	ds_read_b128 v[10:13], v6 offset:64
	s_waitcnt lgkmcnt(0)
	v_mul_f64 v[6:7], v[4:5], v[12:13]
	v_mul_f64 v[90:91], v[2:3], v[12:13]
	v_fma_f64 v[88:89], v[2:3], v[10:11], -v[6:7]
	v_fmac_f64_e32 v[90:91], v[4:5], v[10:11]
	scratch_store_dwordx4 off, v[88:91], off offset:64
.LBB88_223:
	s_or_b64 exec, exec, s[2:3]
	scratch_load_dwordx4 v[2:5], v86, off
	v_cmp_gt_u32_e32 vcc, 5, v0
	s_waitcnt vmcnt(0)
	ds_write_b128 v9, v[2:5]
	s_waitcnt lgkmcnt(0)
	; wave barrier
	s_waitcnt lgkmcnt(0)
	s_and_saveexec_b64 s[2:3], vcc
	s_cbranch_execz .LBB88_231
; %bb.224:
	ds_read_b128 v[2:5], v9
	s_and_b64 vcc, exec, s[0:1]
	s_cbranch_vccnz .LBB88_226
; %bb.225:
	scratch_load_dwordx4 v[10:13], v8, off
	s_waitcnt vmcnt(0) lgkmcnt(0)
	v_mul_f64 v[6:7], v[4:5], v[12:13]
	v_mul_f64 v[12:13], v[2:3], v[12:13]
	v_fmac_f64_e32 v[12:13], v[4:5], v[10:11]
	v_fma_f64 v[2:3], v[2:3], v[10:11], -v[6:7]
	v_mov_b64_e32 v[4:5], v[12:13]
.LBB88_226:
	v_cmp_ne_u32_e32 vcc, 4, v0
	s_and_saveexec_b64 s[6:7], vcc
	s_cbranch_execz .LBB88_230
; %bb.227:
	v_mov_b32_e32 v7, 0
	v_add_u32_e32 v6, 0x1a0, v60
	v_add3_u32 v7, v60, v7, 24
	s_mov_b64 s[8:9], 0
	v_mov_b32_e32 v10, v0
.LBB88_228:                             ; =>This Inner Loop Header: Depth=1
	v_add_u32_e32 v11, -8, v7
	scratch_load_dwordx4 v[88:91], v11, off
	ds_read_b128 v[92:95], v6
	v_add_u32_e32 v10, 1, v10
	v_cmp_lt_u32_e32 vcc, 3, v10
	v_add_u32_e32 v6, 16, v6
	v_add_u32_e32 v7, 16, v7
	s_or_b64 s[8:9], vcc, s[8:9]
	s_waitcnt vmcnt(0) lgkmcnt(0)
	v_mul_f64 v[12:13], v[94:95], v[90:91]
	v_mul_f64 v[90:91], v[92:93], v[90:91]
	v_fma_f64 v[12:13], v[92:93], v[88:89], -v[12:13]
	v_fmac_f64_e32 v[90:91], v[94:95], v[88:89]
	v_add_f64 v[2:3], v[2:3], v[12:13]
	v_add_f64 v[4:5], v[4:5], v[90:91]
	s_andn2_b64 exec, exec, s[8:9]
	s_cbranch_execnz .LBB88_228
; %bb.229:
	s_or_b64 exec, exec, s[8:9]
.LBB88_230:
	s_or_b64 exec, exec, s[6:7]
	v_mov_b32_e32 v6, 0
	ds_read_b128 v[10:13], v6 offset:80
	s_waitcnt lgkmcnt(0)
	v_mul_f64 v[6:7], v[4:5], v[12:13]
	v_mul_f64 v[90:91], v[2:3], v[12:13]
	v_fma_f64 v[88:89], v[2:3], v[10:11], -v[6:7]
	v_fmac_f64_e32 v[90:91], v[4:5], v[10:11]
	scratch_store_dwordx4 off, v[88:91], off offset:80
.LBB88_231:
	;; [unrolled: 63-line block ×19, first 2 shown]
	s_or_b64 exec, exec, s[2:3]
	scratch_load_dwordx4 v[2:5], v1, off
	v_cmp_gt_u32_e64 s[2:3], 23, v0
	s_waitcnt vmcnt(0)
	ds_write_b128 v9, v[2:5]
	s_waitcnt lgkmcnt(0)
	; wave barrier
	s_waitcnt lgkmcnt(0)
	s_and_saveexec_b64 s[6:7], s[2:3]
	s_cbranch_execz .LBB88_375
; %bb.368:
	ds_read_b128 v[2:5], v9
	s_and_b64 vcc, exec, s[0:1]
	s_cbranch_vccnz .LBB88_370
; %bb.369:
	scratch_load_dwordx4 v[10:13], v8, off
	s_waitcnt vmcnt(0) lgkmcnt(0)
	v_mul_f64 v[6:7], v[4:5], v[12:13]
	v_mul_f64 v[12:13], v[2:3], v[12:13]
	v_fmac_f64_e32 v[12:13], v[4:5], v[10:11]
	v_fma_f64 v[2:3], v[2:3], v[10:11], -v[6:7]
	v_mov_b64_e32 v[4:5], v[12:13]
.LBB88_370:
	v_cmp_ne_u32_e32 vcc, 22, v0
	s_and_saveexec_b64 s[8:9], vcc
	s_cbranch_execz .LBB88_374
; %bb.371:
	v_mov_b32_e32 v7, 0
	v_add_u32_e32 v6, 0x1a0, v60
	v_add3_u32 v7, v60, v7, 24
	s_mov_b64 s[10:11], 0
	v_mov_b32_e32 v10, v0
.LBB88_372:                             ; =>This Inner Loop Header: Depth=1
	v_add_u32_e32 v11, -8, v7
	scratch_load_dwordx4 v[88:91], v11, off
	ds_read_b128 v[92:95], v6
	v_add_u32_e32 v10, 1, v10
	v_cmp_lt_u32_e32 vcc, 21, v10
	v_add_u32_e32 v6, 16, v6
	v_add_u32_e32 v7, 16, v7
	s_or_b64 s[10:11], vcc, s[10:11]
	s_waitcnt vmcnt(0) lgkmcnt(0)
	v_mul_f64 v[12:13], v[94:95], v[90:91]
	v_mul_f64 v[90:91], v[92:93], v[90:91]
	v_fma_f64 v[12:13], v[92:93], v[88:89], -v[12:13]
	v_fmac_f64_e32 v[90:91], v[94:95], v[88:89]
	v_add_f64 v[2:3], v[2:3], v[12:13]
	v_add_f64 v[4:5], v[4:5], v[90:91]
	s_andn2_b64 exec, exec, s[10:11]
	s_cbranch_execnz .LBB88_372
; %bb.373:
	s_or_b64 exec, exec, s[10:11]
.LBB88_374:
	s_or_b64 exec, exec, s[8:9]
	v_mov_b32_e32 v6, 0
	ds_read_b128 v[10:13], v6 offset:368
	s_waitcnt lgkmcnt(0)
	v_mul_f64 v[6:7], v[4:5], v[12:13]
	v_mul_f64 v[90:91], v[2:3], v[12:13]
	v_fma_f64 v[88:89], v[2:3], v[10:11], -v[6:7]
	v_fmac_f64_e32 v[90:91], v[4:5], v[10:11]
	scratch_store_dwordx4 off, v[88:91], off offset:368
.LBB88_375:
	s_or_b64 exec, exec, s[6:7]
	scratch_load_dwordx4 v[2:5], v61, off
	v_cmp_ne_u32_e32 vcc, 24, v0
                                        ; implicit-def: $vgpr6_vgpr7
                                        ; implicit-def: $vgpr10
	s_waitcnt vmcnt(0)
	ds_write_b128 v9, v[2:5]
	s_waitcnt lgkmcnt(0)
	; wave barrier
	s_waitcnt lgkmcnt(0)
	s_and_saveexec_b64 s[6:7], vcc
	s_cbranch_execz .LBB88_383
; %bb.376:
	ds_read_b128 v[2:5], v9
	s_and_b64 vcc, exec, s[0:1]
	s_cbranch_vccnz .LBB88_378
; %bb.377:
	scratch_load_dwordx4 v[6:9], v8, off
	s_waitcnt vmcnt(0) lgkmcnt(0)
	v_mul_f64 v[10:11], v[4:5], v[8:9]
	v_mul_f64 v[8:9], v[2:3], v[8:9]
	v_fmac_f64_e32 v[8:9], v[4:5], v[6:7]
	v_fma_f64 v[2:3], v[2:3], v[6:7], -v[10:11]
	v_mov_b64_e32 v[4:5], v[8:9]
.LBB88_378:
	s_and_saveexec_b64 s[0:1], s[2:3]
	s_cbranch_execz .LBB88_382
; %bb.379:
	v_mov_b32_e32 v7, 0
	v_add_u32_e32 v6, 0x1a0, v60
	v_add3_u32 v7, v60, v7, 24
	s_mov_b64 s[2:3], 0
.LBB88_380:                             ; =>This Inner Loop Header: Depth=1
	v_add_u32_e32 v8, -8, v7
	scratch_load_dwordx4 v[8:11], v8, off
	ds_read_b128 v[88:91], v6
	v_add_u32_e32 v0, 1, v0
	v_cmp_lt_u32_e32 vcc, 22, v0
	v_add_u32_e32 v6, 16, v6
	v_add_u32_e32 v7, 16, v7
	s_or_b64 s[2:3], vcc, s[2:3]
	s_waitcnt vmcnt(0) lgkmcnt(0)
	v_mul_f64 v[12:13], v[90:91], v[10:11]
	v_mul_f64 v[10:11], v[88:89], v[10:11]
	v_fma_f64 v[12:13], v[88:89], v[8:9], -v[12:13]
	v_fmac_f64_e32 v[10:11], v[90:91], v[8:9]
	v_add_f64 v[2:3], v[2:3], v[12:13]
	v_add_f64 v[4:5], v[4:5], v[10:11]
	s_andn2_b64 exec, exec, s[2:3]
	s_cbranch_execnz .LBB88_380
; %bb.381:
	s_or_b64 exec, exec, s[2:3]
.LBB88_382:
	s_or_b64 exec, exec, s[0:1]
	v_mov_b32_e32 v0, 0
	ds_read_b128 v[88:91], v0 offset:384
	v_mov_b32_e32 v0, 0
	v_add_u32_e32 v10, 0x188, v0
	s_or_b64 s[4:5], s[4:5], exec
	s_waitcnt lgkmcnt(0)
	v_mul_f64 v[8:9], v[4:5], v[90:91]
	v_mul_f64 v[6:7], v[2:3], v[90:91]
	v_fma_f64 v[2:3], v[2:3], v[88:89], -v[8:9]
	v_fmac_f64_e32 v[6:7], v[4:5], v[88:89]
	scratch_store_dwordx2 off, v[2:3], off offset:384
.LBB88_383:
	s_or_b64 exec, exec, s[6:7]
.LBB88_384:
	s_and_saveexec_b64 s[0:1], s[4:5]
	s_cbranch_execz .LBB88_386
; %bb.385:
	scratch_store_dwordx2 v10, v[6:7], off
.LBB88_386:
	s_or_b64 exec, exec, s[0:1]
	scratch_load_dwordx4 v[2:5], off, off
	scratch_load_dwordx4 v[6:9], v75, off
	scratch_load_dwordx4 v[10:13], v82, off
	;; [unrolled: 1-line block ×12, first 2 shown]
                                        ; kill: killed $vgpr86
                                        ; kill: killed $vgpr87
                                        ; kill: killed $vgpr85
                                        ; kill: killed $vgpr82
                                        ; kill: killed $vgpr84
                                        ; kill: killed $vgpr81
                                        ; kill: killed $vgpr83
                                        ; kill: killed $vgpr80
                                        ; kill: killed $vgpr75
                                        ; kill: killed $vgpr79
                                        ; kill: killed $vgpr74
                                        ; kill: killed $vgpr78
	s_nop 0
	scratch_load_dwordx4 v[78:81], v76, off
	scratch_load_dwordx4 v[82:85], v77, off
	s_waitcnt vmcnt(14)
	global_store_dwordx4 v[16:17], v[2:5], off
	scratch_load_dwordx4 v[2:5], v72, off
	s_nop 0
	scratch_load_dwordx4 v[74:77], v73, off
	s_waitcnt vmcnt(16)
	global_store_dwordx4 v[14:15], v[6:9], off
	scratch_load_dwordx4 v[6:9], v71, off
	s_nop 0
	;; [unrolled: 5-line block ×5, first 2 shown]
	scratch_load_dwordx4 v[90:93], v61, off
	s_waitcnt vmcnt(24)
	global_store_dwordx4 v[24:25], v[96:99], off
	s_waitcnt vmcnt(24)
	global_store_dwordx4 v[26:27], v[100:103], off
	;; [unrolled: 2-line block ×20, first 2 shown]
.LBB88_387:
	s_endpgm
	.section	.rodata,"a",@progbits
	.p2align	6, 0x0
	.amdhsa_kernel _ZN9rocsolver6v33100L18trti2_kernel_smallILi25E19rocblas_complex_numIdEPKPS3_EEv13rocblas_fill_17rocblas_diagonal_T1_iil
		.amdhsa_group_segment_fixed_size 800
		.amdhsa_private_segment_fixed_size 416
		.amdhsa_kernarg_size 32
		.amdhsa_user_sgpr_count 2
		.amdhsa_user_sgpr_dispatch_ptr 0
		.amdhsa_user_sgpr_queue_ptr 0
		.amdhsa_user_sgpr_kernarg_segment_ptr 1
		.amdhsa_user_sgpr_dispatch_id 0
		.amdhsa_user_sgpr_kernarg_preload_length 0
		.amdhsa_user_sgpr_kernarg_preload_offset 0
		.amdhsa_user_sgpr_private_segment_size 0
		.amdhsa_uses_dynamic_stack 0
		.amdhsa_enable_private_segment 1
		.amdhsa_system_sgpr_workgroup_id_x 1
		.amdhsa_system_sgpr_workgroup_id_y 0
		.amdhsa_system_sgpr_workgroup_id_z 0
		.amdhsa_system_sgpr_workgroup_info 0
		.amdhsa_system_vgpr_workitem_id 0
		.amdhsa_next_free_vgpr 128
		.amdhsa_next_free_sgpr 12
		.amdhsa_accum_offset 128
		.amdhsa_reserve_vcc 1
		.amdhsa_float_round_mode_32 0
		.amdhsa_float_round_mode_16_64 0
		.amdhsa_float_denorm_mode_32 3
		.amdhsa_float_denorm_mode_16_64 3
		.amdhsa_dx10_clamp 1
		.amdhsa_ieee_mode 1
		.amdhsa_fp16_overflow 0
		.amdhsa_tg_split 0
		.amdhsa_exception_fp_ieee_invalid_op 0
		.amdhsa_exception_fp_denorm_src 0
		.amdhsa_exception_fp_ieee_div_zero 0
		.amdhsa_exception_fp_ieee_overflow 0
		.amdhsa_exception_fp_ieee_underflow 0
		.amdhsa_exception_fp_ieee_inexact 0
		.amdhsa_exception_int_div_zero 0
	.end_amdhsa_kernel
	.section	.text._ZN9rocsolver6v33100L18trti2_kernel_smallILi25E19rocblas_complex_numIdEPKPS3_EEv13rocblas_fill_17rocblas_diagonal_T1_iil,"axG",@progbits,_ZN9rocsolver6v33100L18trti2_kernel_smallILi25E19rocblas_complex_numIdEPKPS3_EEv13rocblas_fill_17rocblas_diagonal_T1_iil,comdat
.Lfunc_end88:
	.size	_ZN9rocsolver6v33100L18trti2_kernel_smallILi25E19rocblas_complex_numIdEPKPS3_EEv13rocblas_fill_17rocblas_diagonal_T1_iil, .Lfunc_end88-_ZN9rocsolver6v33100L18trti2_kernel_smallILi25E19rocblas_complex_numIdEPKPS3_EEv13rocblas_fill_17rocblas_diagonal_T1_iil
                                        ; -- End function
	.section	.AMDGPU.csdata,"",@progbits
; Kernel info:
; codeLenInByte = 16324
; NumSgprs: 18
; NumVgprs: 128
; NumAgprs: 0
; TotalNumVgprs: 128
; ScratchSize: 416
; MemoryBound: 0
; FloatMode: 240
; IeeeMode: 1
; LDSByteSize: 800 bytes/workgroup (compile time only)
; SGPRBlocks: 2
; VGPRBlocks: 15
; NumSGPRsForWavesPerEU: 18
; NumVGPRsForWavesPerEU: 128
; AccumOffset: 128
; Occupancy: 4
; WaveLimiterHint : 1
; COMPUTE_PGM_RSRC2:SCRATCH_EN: 1
; COMPUTE_PGM_RSRC2:USER_SGPR: 2
; COMPUTE_PGM_RSRC2:TRAP_HANDLER: 0
; COMPUTE_PGM_RSRC2:TGID_X_EN: 1
; COMPUTE_PGM_RSRC2:TGID_Y_EN: 0
; COMPUTE_PGM_RSRC2:TGID_Z_EN: 0
; COMPUTE_PGM_RSRC2:TIDIG_COMP_CNT: 0
; COMPUTE_PGM_RSRC3_GFX90A:ACCUM_OFFSET: 31
; COMPUTE_PGM_RSRC3_GFX90A:TG_SPLIT: 0
	.section	.text._ZN9rocsolver6v33100L18trti2_kernel_smallILi26E19rocblas_complex_numIdEPKPS3_EEv13rocblas_fill_17rocblas_diagonal_T1_iil,"axG",@progbits,_ZN9rocsolver6v33100L18trti2_kernel_smallILi26E19rocblas_complex_numIdEPKPS3_EEv13rocblas_fill_17rocblas_diagonal_T1_iil,comdat
	.globl	_ZN9rocsolver6v33100L18trti2_kernel_smallILi26E19rocblas_complex_numIdEPKPS3_EEv13rocblas_fill_17rocblas_diagonal_T1_iil ; -- Begin function _ZN9rocsolver6v33100L18trti2_kernel_smallILi26E19rocblas_complex_numIdEPKPS3_EEv13rocblas_fill_17rocblas_diagonal_T1_iil
	.p2align	8
	.type	_ZN9rocsolver6v33100L18trti2_kernel_smallILi26E19rocblas_complex_numIdEPKPS3_EEv13rocblas_fill_17rocblas_diagonal_T1_iil,@function
_ZN9rocsolver6v33100L18trti2_kernel_smallILi26E19rocblas_complex_numIdEPKPS3_EEv13rocblas_fill_17rocblas_diagonal_T1_iil: ; @_ZN9rocsolver6v33100L18trti2_kernel_smallILi26E19rocblas_complex_numIdEPKPS3_EEv13rocblas_fill_17rocblas_diagonal_T1_iil
; %bb.0:
	v_cmp_gt_u32_e32 vcc, 26, v0
	s_and_saveexec_b64 s[4:5], vcc
	s_cbranch_execz .LBB89_403
; %bb.1:
	s_load_dwordx2 s[8:9], s[0:1], 0x10
	s_load_dwordx4 s[4:7], s[0:1], 0x0
	s_ashr_i32 s3, s2, 31
	s_lshl_b64 s[0:1], s[2:3], 3
	v_lshlrev_b32_e32 v14, 4, v0
	s_waitcnt lgkmcnt(0)
	s_ashr_i32 s11, s8, 31
	s_add_u32 s0, s6, s0
	s_addc_u32 s1, s7, s1
	s_load_dwordx2 s[0:1], s[0:1], 0x0
	s_mov_b32 s10, s8
	s_lshl_b64 s[6:7], s[10:11], 4
	v_mov_b32_e32 v15, 0
	s_mov_b32 s2, s9
	s_waitcnt lgkmcnt(0)
	s_add_u32 s0, s0, s6
	s_addc_u32 s1, s1, s7
	s_add_i32 s6, s9, s9
	v_add_u32_e32 v6, s6, v0
	v_add_u32_e32 v16, s9, v6
	;; [unrolled: 1-line block ×6, first 2 shown]
	s_ashr_i32 s3, s9, 31
	v_add_u32_e32 v32, s9, v30
	v_lshl_add_u64 v[36:37], s[0:1], 0, v[14:15]
	v_ashrrev_i32_e32 v17, 31, v16
	v_ashrrev_i32_e32 v19, 31, v18
	;; [unrolled: 1-line block ×4, first 2 shown]
	global_load_dwordx4 v[2:5], v14, s[0:1]
	v_lshl_add_u64 v[34:35], s[2:3], 4, v[36:37]
	v_ashrrev_i32_e32 v7, 31, v6
	v_lshl_add_u64 v[26:27], v[16:17], 4, s[0:1]
	v_lshl_add_u64 v[22:23], v[18:19], 4, s[0:1]
	;; [unrolled: 1-line block ×3, first 2 shown]
	v_ashrrev_i32_e32 v25, 31, v24
	v_lshl_add_u64 v[20:21], v[30:31], 4, s[0:1]
	v_ashrrev_i32_e32 v33, 31, v32
	v_lshl_add_u64 v[28:29], v[6:7], 4, s[0:1]
	global_load_dwordx4 v[6:9], v[34:35], off
	global_load_dwordx4 v[10:13], v[28:29], off
	;; [unrolled: 1-line block ×4, first 2 shown]
	v_lshl_add_u64 v[16:17], v[24:25], 4, s[0:1]
	global_load_dwordx4 v[62:65], v[18:19], off
	global_load_dwordx4 v[66:69], v[16:17], off
	v_lshl_add_u64 v[24:25], v[32:33], 4, s[0:1]
	global_load_dwordx4 v[70:73], v[20:21], off
	global_load_dwordx4 v[74:77], v[24:25], off
	v_add_u32_e32 v30, s9, v32
	v_add_u32_e32 v32, s9, v30
	;; [unrolled: 1-line block ×16, first 2 shown]
	v_ashrrev_i32_e32 v31, 31, v30
	v_ashrrev_i32_e32 v39, 31, v38
	;; [unrolled: 1-line block ×3, first 2 shown]
	v_add_u32_e32 v50, s9, v122
	v_lshl_add_u64 v[30:31], v[30:31], 4, s[0:1]
	v_ashrrev_i32_e32 v33, 31, v32
	v_lshl_add_u64 v[38:39], v[38:39], 4, s[0:1]
	v_ashrrev_i32_e32 v41, 31, v40
	;; [unrolled: 2-line block ×3, first 2 shown]
	v_ashrrev_i32_e32 v47, 31, v46
	v_ashrrev_i32_e32 v51, 31, v50
	v_lshl_add_u64 v[32:33], v[32:33], 4, s[0:1]
	global_load_dwordx4 v[78:81], v[30:31], off
	global_load_dwordx4 v[82:85], v[32:33], off
	v_lshl_add_u64 v[40:41], v[40:41], 4, s[0:1]
	global_load_dwordx4 v[86:89], v[38:39], off
	global_load_dwordx4 v[90:93], v[40:41], off
	;; [unrolled: 3-line block ×3, first 2 shown]
	v_lshl_add_u64 v[46:47], v[46:47], 4, s[0:1]
	v_ashrrev_i32_e32 v49, 31, v48
	v_ashrrev_i32_e32 v53, 31, v52
	v_lshl_add_u64 v[50:51], v[50:51], 4, s[0:1]
	v_ashrrev_i32_e32 v113, 31, v112
	v_ashrrev_i32_e32 v117, 31, v116
	;; [unrolled: 1-line block ×3, first 2 shown]
	v_lshl_add_u64 v[48:49], v[48:49], 4, s[0:1]
	global_load_dwordx4 v[102:105], v[50:51], off
	v_lshl_add_u64 v[52:53], v[52:53], 4, s[0:1]
	v_ashrrev_i32_e32 v111, 31, v110
	v_ashrrev_i32_e32 v115, 31, v114
	v_ashrrev_i32_e32 v119, 31, v118
	v_ashrrev_i32_e32 v123, 31, v122
	s_cmpk_lg_i32 s5, 0x84
	v_mov_b32_e32 v1, 0
	s_cselect_b64 s[6:7], -1, 0
	s_cmpk_eq_i32 s5, 0x84
	s_waitcnt vmcnt(15)
	scratch_store_dwordx4 off, v[2:5], off
	global_load_dwordx4 v[2:5], v[46:47], off
	s_nop 0
	global_load_dwordx4 v[106:109], v[48:49], off
	s_waitcnt vmcnt(17)
	scratch_store_dwordx4 off, v[6:9], off offset:16
	s_waitcnt vmcnt(17)
	scratch_store_dwordx4 off, v[10:13], off offset:32
	;; [unrolled: 2-line block ×8, first 2 shown]
	v_lshl_add_u64 v[56:57], v[112:113], 4, s[0:1]
	v_lshl_add_u64 v[60:61], v[116:117], 4, s[0:1]
	v_lshl_add_u64 v[64:65], v[120:121], 4, s[0:1]
	v_lshl_add_u64 v[54:55], v[110:111], 4, s[0:1]
	global_load_dwordx4 v[6:9], v[52:53], off
	global_load_dwordx4 v[10:13], v[54:55], off
	v_lshl_add_u64 v[58:59], v[114:115], 4, s[0:1]
	global_load_dwordx4 v[68:71], v[56:57], off
	global_load_dwordx4 v[72:75], v[58:59], off
	v_lshl_add_u64 v[62:63], v[118:119], 4, s[0:1]
	;; [unrolled: 3-line block ×3, first 2 shown]
	global_load_dwordx4 v[118:121], v[64:65], off
	global_load_dwordx4 v[122:125], v[66:67], off
	s_waitcnt vmcnt(25)
	scratch_store_dwordx4 off, v[78:81], off offset:144
	s_waitcnt vmcnt(25)
	scratch_store_dwordx4 off, v[82:85], off offset:160
	;; [unrolled: 2-line block ×16, first 2 shown]
	scratch_store_dwordx4 off, v[102:105], off offset:400
	s_cbranch_scc1 .LBB89_7
; %bb.2:
	scratch_load_dwordx4 v[2:5], v14, off
                                        ; implicit-def: $vgpr10_vgpr11
	s_waitcnt vmcnt(0)
	v_xor_b32_e32 v7, 0x80000000, v3
	v_cmp_gt_f64_e32 vcc, 0, v[2:3]
	v_xor_b32_e32 v8, 0x80000000, v5
	v_mov_b32_e32 v6, v2
	v_cndmask_b32_e32 v7, v3, v7, vcc
	v_cmp_gt_f64_e32 vcc, 0, v[4:5]
	s_nop 1
	v_cndmask_b32_e32 v9, v5, v8, vcc
	v_mov_b32_e32 v8, v4
	v_cmp_ngt_f64_e32 vcc, v[6:7], v[8:9]
                                        ; implicit-def: $vgpr6_vgpr7
	s_and_saveexec_b64 s[0:1], vcc
	s_xor_b64 s[0:1], exec, s[0:1]
	s_cbranch_execz .LBB89_4
; %bb.3:
	v_div_scale_f64 v[6:7], s[2:3], v[4:5], v[4:5], v[2:3]
	v_rcp_f64_e32 v[8:9], v[6:7]
	v_div_scale_f64 v[10:11], vcc, v[2:3], v[4:5], v[2:3]
	v_fma_f64 v[12:13], -v[6:7], v[8:9], 1.0
	v_fmac_f64_e32 v[8:9], v[8:9], v[12:13]
	v_fma_f64 v[12:13], -v[6:7], v[8:9], 1.0
	v_fmac_f64_e32 v[8:9], v[8:9], v[12:13]
	v_mul_f64 v[12:13], v[10:11], v[8:9]
	v_fma_f64 v[6:7], -v[6:7], v[12:13], v[10:11]
	v_div_fmas_f64 v[6:7], v[6:7], v[8:9], v[12:13]
	v_div_fixup_f64 v[6:7], v[6:7], v[4:5], v[2:3]
	v_fmac_f64_e32 v[4:5], v[2:3], v[6:7]
	v_div_scale_f64 v[2:3], s[2:3], v[4:5], v[4:5], 1.0
	v_rcp_f64_e32 v[8:9], v[2:3]
	s_nop 0
	v_fma_f64 v[10:11], -v[2:3], v[8:9], 1.0
	v_fmac_f64_e32 v[8:9], v[8:9], v[10:11]
	v_fma_f64 v[10:11], -v[2:3], v[8:9], 1.0
	v_fmac_f64_e32 v[8:9], v[8:9], v[10:11]
	v_div_scale_f64 v[10:11], vcc, 1.0, v[4:5], 1.0
	v_mul_f64 v[12:13], v[10:11], v[8:9]
	v_fma_f64 v[2:3], -v[2:3], v[12:13], v[10:11]
	s_nop 1
	v_div_fmas_f64 v[2:3], v[2:3], v[8:9], v[12:13]
	v_div_fixup_f64 v[8:9], v[2:3], v[4:5], 1.0
	v_mul_f64 v[6:7], v[6:7], v[8:9]
	v_xor_b32_e32 v9, 0x80000000, v9
	v_xor_b32_e32 v11, 0x80000000, v7
	v_mov_b32_e32 v10, v6
                                        ; implicit-def: $vgpr2_vgpr3
.LBB89_4:
	s_or_saveexec_b64 s[0:1], s[0:1]
	v_add_u32_e32 v12, 0, v14
	s_xor_b64 exec, exec, s[0:1]
	s_cbranch_execz .LBB89_6
; %bb.5:
	v_div_scale_f64 v[6:7], s[2:3], v[2:3], v[2:3], v[4:5]
	v_rcp_f64_e32 v[8:9], v[6:7]
	v_div_scale_f64 v[10:11], vcc, v[4:5], v[2:3], v[4:5]
	v_fma_f64 v[68:69], -v[6:7], v[8:9], 1.0
	v_fmac_f64_e32 v[8:9], v[8:9], v[68:69]
	v_fma_f64 v[68:69], -v[6:7], v[8:9], 1.0
	v_fmac_f64_e32 v[8:9], v[8:9], v[68:69]
	v_mul_f64 v[68:69], v[10:11], v[8:9]
	v_fma_f64 v[6:7], -v[6:7], v[68:69], v[10:11]
	v_div_fmas_f64 v[6:7], v[6:7], v[8:9], v[68:69]
	v_div_fixup_f64 v[8:9], v[6:7], v[2:3], v[4:5]
	v_fmac_f64_e32 v[2:3], v[4:5], v[8:9]
	v_div_scale_f64 v[4:5], s[2:3], v[2:3], v[2:3], 1.0
	v_rcp_f64_e32 v[6:7], v[4:5]
	s_nop 0
	v_fma_f64 v[10:11], -v[4:5], v[6:7], 1.0
	v_fmac_f64_e32 v[6:7], v[6:7], v[10:11]
	v_fma_f64 v[10:11], -v[4:5], v[6:7], 1.0
	v_fmac_f64_e32 v[6:7], v[6:7], v[10:11]
	v_div_scale_f64 v[10:11], vcc, 1.0, v[2:3], 1.0
	v_mul_f64 v[68:69], v[10:11], v[6:7]
	v_fma_f64 v[4:5], -v[4:5], v[68:69], v[10:11]
	s_nop 1
	v_div_fmas_f64 v[4:5], v[4:5], v[6:7], v[68:69]
	v_div_fixup_f64 v[6:7], v[4:5], v[2:3], 1.0
	v_xor_b32_e32 v11, 0x80000000, v7
	v_mov_b32_e32 v10, v6
	v_mul_f64 v[8:9], v[8:9], -v[6:7]
.LBB89_6:
	s_or_b64 exec, exec, s[0:1]
	scratch_store_dwordx4 v12, v[6:9], off
	s_nop 1
	v_xor_b32_e32 v9, 0x80000000, v9
	s_branch .LBB89_8
.LBB89_7:
	v_mov_b64_e32 v[8:9], 0
	v_mov_b64_e32 v[10:11], -1.0
.LBB89_8:
	v_add_u32_e32 v84, 16, v1
	v_add_u32_e32 v79, 32, v1
	;; [unrolled: 1-line block ×25, first 2 shown]
	v_mov_b32_e32 v12, v8
	v_mov_b32_e32 v13, v9
	s_cmpk_eq_i32 s4, 0x79
	v_add_u32_e32 v9, 0x1a0, v14
	v_add_u32_e32 v8, 0, v14
	ds_write_b128 v14, v[10:13]
	s_cbranch_scc1 .LBB89_204
; %bb.9:
	scratch_load_dwordx4 v[2:5], v15, off
	v_cmp_eq_u32_e64 s[0:1], 25, v0
	s_waitcnt vmcnt(0)
	ds_write_b128 v9, v[2:5]
	s_waitcnt lgkmcnt(0)
	; wave barrier
	s_waitcnt lgkmcnt(0)
	s_and_saveexec_b64 s[2:3], s[0:1]
	s_cbranch_execz .LBB89_13
; %bb.10:
	ds_read_b128 v[2:5], v9
	s_andn2_b64 vcc, exec, s[6:7]
	s_cbranch_vccnz .LBB89_12
; %bb.11:
	scratch_load_dwordx4 v[10:13], v8, off
	s_waitcnt vmcnt(0) lgkmcnt(0)
	v_mul_f64 v[6:7], v[4:5], v[12:13]
	v_mul_f64 v[12:13], v[2:3], v[12:13]
	v_fmac_f64_e32 v[12:13], v[4:5], v[10:11]
	v_fma_f64 v[2:3], v[2:3], v[10:11], -v[6:7]
	v_mov_b64_e32 v[4:5], v[12:13]
.LBB89_12:
	v_mov_b32_e32 v6, 0
	ds_read_b128 v[10:13], v6 offset:384
	s_waitcnt lgkmcnt(0)
	v_mul_f64 v[6:7], v[4:5], v[12:13]
	v_mul_f64 v[94:95], v[2:3], v[12:13]
	v_fma_f64 v[92:93], v[2:3], v[10:11], -v[6:7]
	v_fmac_f64_e32 v[94:95], v[4:5], v[10:11]
	scratch_store_dwordx4 off, v[92:95], off offset:384
.LBB89_13:
	s_or_b64 exec, exec, s[2:3]
	scratch_load_dwordx4 v[2:5], v68, off
	v_cmp_lt_u32_e64 s[2:3], 23, v0
	s_waitcnt vmcnt(0)
	ds_write_b128 v9, v[2:5]
	s_waitcnt lgkmcnt(0)
	; wave barrier
	s_waitcnt lgkmcnt(0)
	s_and_saveexec_b64 s[4:5], s[2:3]
	s_cbranch_execz .LBB89_19
; %bb.14:
	ds_read_b128 v[2:5], v9
	s_andn2_b64 vcc, exec, s[6:7]
	s_cbranch_vccnz .LBB89_16
; %bb.15:
	scratch_load_dwordx4 v[10:13], v8, off
	s_waitcnt vmcnt(0) lgkmcnt(0)
	v_mul_f64 v[6:7], v[4:5], v[12:13]
	v_mul_f64 v[12:13], v[2:3], v[12:13]
	v_fmac_f64_e32 v[12:13], v[4:5], v[10:11]
	v_fma_f64 v[2:3], v[2:3], v[10:11], -v[6:7]
	v_mov_b64_e32 v[4:5], v[12:13]
.LBB89_16:
	s_and_saveexec_b64 s[8:9], s[0:1]
	s_cbranch_execz .LBB89_18
; %bb.17:
	scratch_load_dwordx4 v[10:13], off, off offset:384
	v_mov_b32_e32 v6, 0
	ds_read_b128 v[92:95], v6 offset:800
	s_waitcnt vmcnt(0) lgkmcnt(0)
	v_mul_f64 v[6:7], v[92:93], v[12:13]
	v_mul_f64 v[12:13], v[94:95], v[12:13]
	v_fmac_f64_e32 v[6:7], v[94:95], v[10:11]
	v_fma_f64 v[10:11], v[92:93], v[10:11], -v[12:13]
	v_add_f64 v[4:5], v[4:5], v[6:7]
	v_add_f64 v[2:3], v[2:3], v[10:11]
.LBB89_18:
	s_or_b64 exec, exec, s[8:9]
	v_mov_b32_e32 v6, 0
	ds_read_b128 v[10:13], v6 offset:368
	s_waitcnt lgkmcnt(0)
	v_mul_f64 v[6:7], v[4:5], v[12:13]
	v_mul_f64 v[94:95], v[2:3], v[12:13]
	v_fma_f64 v[92:93], v[2:3], v[10:11], -v[6:7]
	v_fmac_f64_e32 v[94:95], v[4:5], v[10:11]
	scratch_store_dwordx4 off, v[92:95], off offset:368
.LBB89_19:
	s_or_b64 exec, exec, s[4:5]
	scratch_load_dwordx4 v[2:5], v69, off
	v_cmp_lt_u32_e64 s[0:1], 22, v0
	s_waitcnt vmcnt(0)
	ds_write_b128 v9, v[2:5]
	s_waitcnt lgkmcnt(0)
	; wave barrier
	s_waitcnt lgkmcnt(0)
	s_and_saveexec_b64 s[4:5], s[0:1]
	s_cbranch_execz .LBB89_27
; %bb.20:
	ds_read_b128 v[2:5], v9
	s_andn2_b64 vcc, exec, s[6:7]
	s_cbranch_vccnz .LBB89_22
; %bb.21:
	scratch_load_dwordx4 v[10:13], v8, off
	s_waitcnt vmcnt(0) lgkmcnt(0)
	v_mul_f64 v[6:7], v[4:5], v[12:13]
	v_mul_f64 v[12:13], v[2:3], v[12:13]
	v_fmac_f64_e32 v[12:13], v[4:5], v[10:11]
	v_fma_f64 v[2:3], v[2:3], v[10:11], -v[6:7]
	v_mov_b64_e32 v[4:5], v[12:13]
.LBB89_22:
	s_and_saveexec_b64 s[8:9], s[2:3]
	s_cbranch_execz .LBB89_26
; %bb.23:
	v_mov_b32_e32 v7, 0
	v_subrev_u32_e32 v6, 23, v0
	v_add_u32_e32 v7, 0x178, v7
	s_movk_i32 s10, 0x310
	s_mov_b64 s[2:3], 0
.LBB89_24:                              ; =>This Inner Loop Header: Depth=1
	v_add_u32_e32 v10, -8, v7
	scratch_load_dwordx4 v[10:13], v10, off
	v_mov_b32_e32 v91, s10
	ds_read_b128 v[92:95], v91
	v_add_u32_e32 v6, -1, v6
	s_add_i32 s10, s10, 16
	v_cmp_eq_u32_e32 vcc, 0, v6
	v_add_u32_e32 v7, 16, v7
	s_or_b64 s[2:3], vcc, s[2:3]
	s_waitcnt vmcnt(0) lgkmcnt(0)
	v_mul_f64 v[96:97], v[94:95], v[12:13]
	v_mul_f64 v[12:13], v[92:93], v[12:13]
	v_fma_f64 v[92:93], v[92:93], v[10:11], -v[96:97]
	v_fmac_f64_e32 v[12:13], v[94:95], v[10:11]
	v_add_f64 v[2:3], v[2:3], v[92:93]
	v_add_f64 v[4:5], v[4:5], v[12:13]
	s_andn2_b64 exec, exec, s[2:3]
	s_cbranch_execnz .LBB89_24
; %bb.25:
	s_or_b64 exec, exec, s[2:3]
.LBB89_26:
	s_or_b64 exec, exec, s[8:9]
	v_mov_b32_e32 v6, 0
	ds_read_b128 v[10:13], v6 offset:352
	s_waitcnt lgkmcnt(0)
	v_mul_f64 v[6:7], v[4:5], v[12:13]
	v_mul_f64 v[94:95], v[2:3], v[12:13]
	v_fma_f64 v[92:93], v[2:3], v[10:11], -v[6:7]
	v_fmac_f64_e32 v[94:95], v[4:5], v[10:11]
	scratch_store_dwordx4 off, v[92:95], off offset:352
.LBB89_27:
	s_or_b64 exec, exec, s[4:5]
	scratch_load_dwordx4 v[2:5], v70, off
	v_cmp_lt_u32_e64 s[2:3], 21, v0
	s_waitcnt vmcnt(0)
	ds_write_b128 v9, v[2:5]
	s_waitcnt lgkmcnt(0)
	; wave barrier
	s_waitcnt lgkmcnt(0)
	s_and_saveexec_b64 s[4:5], s[2:3]
	s_cbranch_execz .LBB89_35
; %bb.28:
	ds_read_b128 v[2:5], v9
	s_andn2_b64 vcc, exec, s[6:7]
	s_cbranch_vccnz .LBB89_30
; %bb.29:
	scratch_load_dwordx4 v[10:13], v8, off
	s_waitcnt vmcnt(0) lgkmcnt(0)
	v_mul_f64 v[6:7], v[4:5], v[12:13]
	v_mul_f64 v[12:13], v[2:3], v[12:13]
	v_fmac_f64_e32 v[12:13], v[4:5], v[10:11]
	v_fma_f64 v[2:3], v[2:3], v[10:11], -v[6:7]
	v_mov_b64_e32 v[4:5], v[12:13]
.LBB89_30:
	s_and_saveexec_b64 s[8:9], s[0:1]
	s_cbranch_execz .LBB89_34
; %bb.31:
	v_mov_b32_e32 v7, 0
	v_subrev_u32_e32 v6, 22, v0
	v_add_u32_e32 v7, 0x168, v7
	s_movk_i32 s10, 0x300
	s_mov_b64 s[0:1], 0
.LBB89_32:                              ; =>This Inner Loop Header: Depth=1
	v_add_u32_e32 v10, -8, v7
	scratch_load_dwordx4 v[10:13], v10, off
	v_mov_b32_e32 v91, s10
	ds_read_b128 v[92:95], v91
	v_add_u32_e32 v6, -1, v6
	s_add_i32 s10, s10, 16
	v_cmp_eq_u32_e32 vcc, 0, v6
	v_add_u32_e32 v7, 16, v7
	s_or_b64 s[0:1], vcc, s[0:1]
	s_waitcnt vmcnt(0) lgkmcnt(0)
	v_mul_f64 v[96:97], v[94:95], v[12:13]
	v_mul_f64 v[12:13], v[92:93], v[12:13]
	v_fma_f64 v[92:93], v[92:93], v[10:11], -v[96:97]
	v_fmac_f64_e32 v[12:13], v[94:95], v[10:11]
	v_add_f64 v[2:3], v[2:3], v[92:93]
	v_add_f64 v[4:5], v[4:5], v[12:13]
	s_andn2_b64 exec, exec, s[0:1]
	s_cbranch_execnz .LBB89_32
; %bb.33:
	s_or_b64 exec, exec, s[0:1]
.LBB89_34:
	s_or_b64 exec, exec, s[8:9]
	v_mov_b32_e32 v6, 0
	ds_read_b128 v[10:13], v6 offset:336
	s_waitcnt lgkmcnt(0)
	v_mul_f64 v[6:7], v[4:5], v[12:13]
	v_mul_f64 v[94:95], v[2:3], v[12:13]
	v_fma_f64 v[92:93], v[2:3], v[10:11], -v[6:7]
	v_fmac_f64_e32 v[94:95], v[4:5], v[10:11]
	scratch_store_dwordx4 off, v[92:95], off offset:336
.LBB89_35:
	;; [unrolled: 63-line block ×7, first 2 shown]
	s_or_b64 exec, exec, s[4:5]
	scratch_load_dwordx4 v[2:5], v77, off
	v_cmp_lt_u32_e64 s[2:3], 15, v0
	s_waitcnt vmcnt(0)
	ds_write_b128 v9, v[2:5]
	s_waitcnt lgkmcnt(0)
	; wave barrier
	s_waitcnt lgkmcnt(0)
	s_and_saveexec_b64 s[4:5], s[2:3]
	s_cbranch_execz .LBB89_83
; %bb.76:
	ds_read_b128 v[2:5], v9
	s_andn2_b64 vcc, exec, s[6:7]
	s_cbranch_vccnz .LBB89_78
; %bb.77:
	scratch_load_dwordx4 v[10:13], v8, off
	s_waitcnt vmcnt(0) lgkmcnt(0)
	v_mul_f64 v[6:7], v[4:5], v[12:13]
	v_mul_f64 v[12:13], v[2:3], v[12:13]
	v_fmac_f64_e32 v[12:13], v[4:5], v[10:11]
	v_fma_f64 v[2:3], v[2:3], v[10:11], -v[6:7]
	v_mov_b64_e32 v[4:5], v[12:13]
.LBB89_78:
	s_and_saveexec_b64 s[8:9], s[0:1]
	s_cbranch_execz .LBB89_82
; %bb.79:
	v_mov_b32_e32 v7, 0
	v_add_u32_e32 v6, -16, v0
	v_add_u32_e32 v7, 0x108, v7
	s_movk_i32 s10, 0x2a0
	s_mov_b64 s[0:1], 0
.LBB89_80:                              ; =>This Inner Loop Header: Depth=1
	v_add_u32_e32 v10, -8, v7
	scratch_load_dwordx4 v[10:13], v10, off
	v_mov_b32_e32 v91, s10
	ds_read_b128 v[92:95], v91
	v_add_u32_e32 v6, -1, v6
	s_add_i32 s10, s10, 16
	v_cmp_eq_u32_e32 vcc, 0, v6
	v_add_u32_e32 v7, 16, v7
	s_or_b64 s[0:1], vcc, s[0:1]
	s_waitcnt vmcnt(0) lgkmcnt(0)
	v_mul_f64 v[96:97], v[94:95], v[12:13]
	v_mul_f64 v[12:13], v[92:93], v[12:13]
	v_fma_f64 v[92:93], v[92:93], v[10:11], -v[96:97]
	v_fmac_f64_e32 v[12:13], v[94:95], v[10:11]
	v_add_f64 v[2:3], v[2:3], v[92:93]
	v_add_f64 v[4:5], v[4:5], v[12:13]
	s_andn2_b64 exec, exec, s[0:1]
	s_cbranch_execnz .LBB89_80
; %bb.81:
	s_or_b64 exec, exec, s[0:1]
.LBB89_82:
	s_or_b64 exec, exec, s[8:9]
	v_mov_b32_e32 v6, 0
	ds_read_b128 v[10:13], v6 offset:240
	s_waitcnt lgkmcnt(0)
	v_mul_f64 v[6:7], v[4:5], v[12:13]
	v_mul_f64 v[94:95], v[2:3], v[12:13]
	v_fma_f64 v[92:93], v[2:3], v[10:11], -v[6:7]
	v_fmac_f64_e32 v[94:95], v[4:5], v[10:11]
	scratch_store_dwordx4 off, v[92:95], off offset:240
.LBB89_83:
	s_or_b64 exec, exec, s[4:5]
	scratch_load_dwordx4 v[2:5], v76, off
	v_cmp_lt_u32_e64 s[0:1], 14, v0
	s_waitcnt vmcnt(0)
	ds_write_b128 v9, v[2:5]
	s_waitcnt lgkmcnt(0)
	; wave barrier
	s_waitcnt lgkmcnt(0)
	s_and_saveexec_b64 s[4:5], s[0:1]
	s_cbranch_execz .LBB89_91
; %bb.84:
	ds_read_b128 v[2:5], v9
	s_andn2_b64 vcc, exec, s[6:7]
	s_cbranch_vccnz .LBB89_86
; %bb.85:
	scratch_load_dwordx4 v[10:13], v8, off
	s_waitcnt vmcnt(0) lgkmcnt(0)
	v_mul_f64 v[6:7], v[4:5], v[12:13]
	v_mul_f64 v[12:13], v[2:3], v[12:13]
	v_fmac_f64_e32 v[12:13], v[4:5], v[10:11]
	v_fma_f64 v[2:3], v[2:3], v[10:11], -v[6:7]
	v_mov_b64_e32 v[4:5], v[12:13]
.LBB89_86:
	s_and_saveexec_b64 s[8:9], s[2:3]
	s_cbranch_execz .LBB89_90
; %bb.87:
	v_mov_b32_e32 v7, 0
	v_add_u32_e32 v6, -15, v0
	v_add_u32_e32 v7, 0xf8, v7
	s_movk_i32 s10, 0x290
	s_mov_b64 s[2:3], 0
.LBB89_88:                              ; =>This Inner Loop Header: Depth=1
	v_add_u32_e32 v10, -8, v7
	scratch_load_dwordx4 v[10:13], v10, off
	v_mov_b32_e32 v91, s10
	ds_read_b128 v[92:95], v91
	v_add_u32_e32 v6, -1, v6
	s_add_i32 s10, s10, 16
	v_cmp_eq_u32_e32 vcc, 0, v6
	v_add_u32_e32 v7, 16, v7
	s_or_b64 s[2:3], vcc, s[2:3]
	s_waitcnt vmcnt(0) lgkmcnt(0)
	v_mul_f64 v[96:97], v[94:95], v[12:13]
	v_mul_f64 v[12:13], v[92:93], v[12:13]
	v_fma_f64 v[92:93], v[92:93], v[10:11], -v[96:97]
	v_fmac_f64_e32 v[12:13], v[94:95], v[10:11]
	v_add_f64 v[2:3], v[2:3], v[92:93]
	v_add_f64 v[4:5], v[4:5], v[12:13]
	s_andn2_b64 exec, exec, s[2:3]
	s_cbranch_execnz .LBB89_88
; %bb.89:
	s_or_b64 exec, exec, s[2:3]
.LBB89_90:
	s_or_b64 exec, exec, s[8:9]
	v_mov_b32_e32 v6, 0
	ds_read_b128 v[10:13], v6 offset:224
	s_waitcnt lgkmcnt(0)
	v_mul_f64 v[6:7], v[4:5], v[12:13]
	v_mul_f64 v[94:95], v[2:3], v[12:13]
	v_fma_f64 v[92:93], v[2:3], v[10:11], -v[6:7]
	v_fmac_f64_e32 v[94:95], v[4:5], v[10:11]
	scratch_store_dwordx4 off, v[92:95], off offset:224
.LBB89_91:
	;; [unrolled: 63-line block ×3, first 2 shown]
	s_or_b64 exec, exec, s[4:5]
	scratch_load_dwordx4 v[2:5], v80, off
	v_cmp_lt_u32_e64 s[0:1], 12, v0
	s_waitcnt vmcnt(0)
	ds_write_b128 v9, v[2:5]
	s_waitcnt lgkmcnt(0)
	; wave barrier
	s_waitcnt lgkmcnt(0)
	s_and_saveexec_b64 s[4:5], s[0:1]
	s_cbranch_execz .LBB89_107
; %bb.100:
	ds_read_b128 v[2:5], v9
	s_andn2_b64 vcc, exec, s[6:7]
	s_cbranch_vccnz .LBB89_102
; %bb.101:
	scratch_load_dwordx4 v[10:13], v8, off
	s_waitcnt vmcnt(0) lgkmcnt(0)
	v_mul_f64 v[6:7], v[4:5], v[12:13]
	v_mul_f64 v[12:13], v[2:3], v[12:13]
	v_fmac_f64_e32 v[12:13], v[4:5], v[10:11]
	v_fma_f64 v[2:3], v[2:3], v[10:11], -v[6:7]
	v_mov_b64_e32 v[4:5], v[12:13]
.LBB89_102:
	s_and_saveexec_b64 s[8:9], s[2:3]
	s_cbranch_execz .LBB89_106
; %bb.103:
	v_mov_b32_e32 v7, 0
	v_add_u32_e32 v6, -13, v0
	v_add_u32_e32 v7, 0xd8, v7
	s_movk_i32 s10, 0x270
	s_mov_b64 s[2:3], 0
.LBB89_104:                             ; =>This Inner Loop Header: Depth=1
	v_add_u32_e32 v10, -8, v7
	scratch_load_dwordx4 v[10:13], v10, off
	v_mov_b32_e32 v91, s10
	ds_read_b128 v[92:95], v91
	v_add_u32_e32 v6, -1, v6
	s_add_i32 s10, s10, 16
	v_cmp_eq_u32_e32 vcc, 0, v6
	v_add_u32_e32 v7, 16, v7
	s_or_b64 s[2:3], vcc, s[2:3]
	s_waitcnt vmcnt(0) lgkmcnt(0)
	v_mul_f64 v[96:97], v[94:95], v[12:13]
	v_mul_f64 v[12:13], v[92:93], v[12:13]
	v_fma_f64 v[92:93], v[92:93], v[10:11], -v[96:97]
	v_fmac_f64_e32 v[12:13], v[94:95], v[10:11]
	v_add_f64 v[2:3], v[2:3], v[92:93]
	v_add_f64 v[4:5], v[4:5], v[12:13]
	s_andn2_b64 exec, exec, s[2:3]
	s_cbranch_execnz .LBB89_104
; %bb.105:
	s_or_b64 exec, exec, s[2:3]
.LBB89_106:
	s_or_b64 exec, exec, s[8:9]
	v_mov_b32_e32 v6, 0
	ds_read_b128 v[10:13], v6 offset:192
	s_waitcnt lgkmcnt(0)
	v_mul_f64 v[6:7], v[4:5], v[12:13]
	v_mul_f64 v[94:95], v[2:3], v[12:13]
	v_fma_f64 v[92:93], v[2:3], v[10:11], -v[6:7]
	v_fmac_f64_e32 v[94:95], v[4:5], v[10:11]
	scratch_store_dwordx4 off, v[92:95], off offset:192
.LBB89_107:
	s_or_b64 exec, exec, s[4:5]
	scratch_load_dwordx4 v[2:5], v85, off
	v_cmp_lt_u32_e64 s[2:3], 11, v0
	s_waitcnt vmcnt(0)
	ds_write_b128 v9, v[2:5]
	s_waitcnt lgkmcnt(0)
	; wave barrier
	s_waitcnt lgkmcnt(0)
	s_and_saveexec_b64 s[4:5], s[2:3]
	s_cbranch_execz .LBB89_115
; %bb.108:
	ds_read_b128 v[2:5], v9
	s_andn2_b64 vcc, exec, s[6:7]
	s_cbranch_vccnz .LBB89_110
; %bb.109:
	scratch_load_dwordx4 v[10:13], v8, off
	s_waitcnt vmcnt(0) lgkmcnt(0)
	v_mul_f64 v[6:7], v[4:5], v[12:13]
	v_mul_f64 v[12:13], v[2:3], v[12:13]
	v_fmac_f64_e32 v[12:13], v[4:5], v[10:11]
	v_fma_f64 v[2:3], v[2:3], v[10:11], -v[6:7]
	v_mov_b64_e32 v[4:5], v[12:13]
.LBB89_110:
	s_and_saveexec_b64 s[8:9], s[0:1]
	s_cbranch_execz .LBB89_114
; %bb.111:
	v_mov_b32_e32 v7, 0
	v_add_u32_e32 v6, -12, v0
	v_add_u32_e32 v7, 0xc8, v7
	s_movk_i32 s10, 0x260
	s_mov_b64 s[0:1], 0
.LBB89_112:                             ; =>This Inner Loop Header: Depth=1
	v_add_u32_e32 v10, -8, v7
	scratch_load_dwordx4 v[10:13], v10, off
	v_mov_b32_e32 v91, s10
	ds_read_b128 v[92:95], v91
	v_add_u32_e32 v6, -1, v6
	s_add_i32 s10, s10, 16
	v_cmp_eq_u32_e32 vcc, 0, v6
	v_add_u32_e32 v7, 16, v7
	s_or_b64 s[0:1], vcc, s[0:1]
	s_waitcnt vmcnt(0) lgkmcnt(0)
	v_mul_f64 v[96:97], v[94:95], v[12:13]
	v_mul_f64 v[12:13], v[92:93], v[12:13]
	v_fma_f64 v[92:93], v[92:93], v[10:11], -v[96:97]
	v_fmac_f64_e32 v[12:13], v[94:95], v[10:11]
	v_add_f64 v[2:3], v[2:3], v[92:93]
	v_add_f64 v[4:5], v[4:5], v[12:13]
	s_andn2_b64 exec, exec, s[0:1]
	s_cbranch_execnz .LBB89_112
; %bb.113:
	s_or_b64 exec, exec, s[0:1]
.LBB89_114:
	s_or_b64 exec, exec, s[8:9]
	v_mov_b32_e32 v6, 0
	ds_read_b128 v[10:13], v6 offset:176
	s_waitcnt lgkmcnt(0)
	v_mul_f64 v[6:7], v[4:5], v[12:13]
	v_mul_f64 v[94:95], v[2:3], v[12:13]
	v_fma_f64 v[92:93], v[2:3], v[10:11], -v[6:7]
	v_fmac_f64_e32 v[94:95], v[4:5], v[10:11]
	scratch_store_dwordx4 off, v[92:95], off offset:176
.LBB89_115:
	;; [unrolled: 63-line block ×12, first 2 shown]
	s_or_b64 exec, exec, s[2:3]
	scratch_load_dwordx4 v[2:5], off, off
	v_cmp_ne_u32_e32 vcc, 0, v0
	s_mov_b64 s[2:3], 0
	s_mov_b64 s[4:5], 0
                                        ; implicit-def: $vgpr6_vgpr7
                                        ; implicit-def: $vgpr10
	s_waitcnt vmcnt(0)
	ds_write_b128 v9, v[2:5]
	s_waitcnt lgkmcnt(0)
	; wave barrier
	s_waitcnt lgkmcnt(0)
	s_and_saveexec_b64 s[8:9], vcc
	s_cbranch_execz .LBB89_203
; %bb.196:
	ds_read_b128 v[2:5], v9
	s_andn2_b64 vcc, exec, s[6:7]
	s_cbranch_vccnz .LBB89_198
; %bb.197:
	scratch_load_dwordx4 v[10:13], v8, off
	s_waitcnt vmcnt(0) lgkmcnt(0)
	v_mul_f64 v[6:7], v[4:5], v[12:13]
	v_mul_f64 v[12:13], v[2:3], v[12:13]
	v_fmac_f64_e32 v[12:13], v[4:5], v[10:11]
	v_fma_f64 v[2:3], v[2:3], v[10:11], -v[6:7]
	v_mov_b64_e32 v[4:5], v[12:13]
.LBB89_198:
	s_and_saveexec_b64 s[4:5], s[0:1]
	s_cbranch_execz .LBB89_202
; %bb.199:
	v_mov_b32_e32 v7, 0
	v_add_u32_e32 v6, -1, v0
	v_add_u32_e32 v7, 24, v7
	s_movk_i32 s10, 0x1b0
	s_mov_b64 s[0:1], 0
.LBB89_200:                             ; =>This Inner Loop Header: Depth=1
	v_add_u32_e32 v10, -8, v7
	scratch_load_dwordx4 v[10:13], v10, off
	v_mov_b32_e32 v91, s10
	ds_read_b128 v[92:95], v91
	v_add_u32_e32 v6, -1, v6
	s_add_i32 s10, s10, 16
	v_cmp_eq_u32_e32 vcc, 0, v6
	v_add_u32_e32 v7, 16, v7
	s_or_b64 s[0:1], vcc, s[0:1]
	s_waitcnt vmcnt(0) lgkmcnt(0)
	v_mul_f64 v[96:97], v[94:95], v[12:13]
	v_mul_f64 v[12:13], v[92:93], v[12:13]
	v_fma_f64 v[92:93], v[92:93], v[10:11], -v[96:97]
	v_fmac_f64_e32 v[12:13], v[94:95], v[10:11]
	v_add_f64 v[2:3], v[2:3], v[92:93]
	v_add_f64 v[4:5], v[4:5], v[12:13]
	s_andn2_b64 exec, exec, s[0:1]
	s_cbranch_execnz .LBB89_200
; %bb.201:
	s_or_b64 exec, exec, s[0:1]
.LBB89_202:
	s_or_b64 exec, exec, s[4:5]
	v_mov_b32_e32 v6, 0
	ds_read_b128 v[92:95], v6
	v_mov_b32_e32 v6, 0
	v_or_b32_e32 v10, 8, v6
	s_mov_b64 s[4:5], exec
	s_waitcnt lgkmcnt(0)
	v_mul_f64 v[12:13], v[4:5], v[94:95]
	v_mul_f64 v[6:7], v[2:3], v[94:95]
	v_fma_f64 v[2:3], v[2:3], v[92:93], -v[12:13]
	v_fmac_f64_e32 v[6:7], v[4:5], v[92:93]
	scratch_store_dwordx2 off, v[2:3], off
.LBB89_203:
	s_or_b64 exec, exec, s[8:9]
	s_and_b64 vcc, exec, s[2:3]
	s_cbranch_vccnz .LBB89_205
	s_branch .LBB89_400
.LBB89_204:
	s_mov_b64 s[4:5], 0
                                        ; implicit-def: $vgpr6_vgpr7
                                        ; implicit-def: $vgpr10
	s_cbranch_execz .LBB89_400
.LBB89_205:
	scratch_load_dwordx4 v[2:5], v84, off
	v_cndmask_b32_e64 v6, 0, 1, s[6:7]
	v_cmp_eq_u32_e64 s[2:3], 0, v0
	v_cmp_ne_u32_e64 s[0:1], 1, v6
	s_waitcnt vmcnt(0)
	ds_write_b128 v9, v[2:5]
	s_waitcnt lgkmcnt(0)
	; wave barrier
	s_waitcnt lgkmcnt(0)
	s_and_saveexec_b64 s[6:7], s[2:3]
	s_cbranch_execz .LBB89_209
; %bb.206:
	ds_read_b128 v[2:5], v9
	s_and_b64 vcc, exec, s[0:1]
	s_cbranch_vccnz .LBB89_208
; %bb.207:
	scratch_load_dwordx4 v[10:13], v8, off
	s_waitcnt vmcnt(0) lgkmcnt(0)
	v_mul_f64 v[6:7], v[4:5], v[12:13]
	v_mul_f64 v[12:13], v[2:3], v[12:13]
	v_fmac_f64_e32 v[12:13], v[4:5], v[10:11]
	v_fma_f64 v[2:3], v[2:3], v[10:11], -v[6:7]
	v_mov_b64_e32 v[4:5], v[12:13]
.LBB89_208:
	v_mov_b32_e32 v6, 0
	ds_read_b128 v[10:13], v6 offset:16
	s_waitcnt lgkmcnt(0)
	v_mul_f64 v[6:7], v[4:5], v[12:13]
	v_mul_f64 v[94:95], v[2:3], v[12:13]
	v_fma_f64 v[92:93], v[2:3], v[10:11], -v[6:7]
	v_fmac_f64_e32 v[94:95], v[4:5], v[10:11]
	scratch_store_dwordx4 off, v[92:95], off offset:16
.LBB89_209:
	s_or_b64 exec, exec, s[6:7]
	scratch_load_dwordx4 v[2:5], v79, off
	v_cmp_gt_u32_e32 vcc, 2, v0
	s_waitcnt vmcnt(0)
	ds_write_b128 v9, v[2:5]
	s_waitcnt lgkmcnt(0)
	; wave barrier
	s_waitcnt lgkmcnt(0)
	s_and_saveexec_b64 s[6:7], vcc
	s_cbranch_execz .LBB89_215
; %bb.210:
	ds_read_b128 v[2:5], v9
	s_and_b64 vcc, exec, s[0:1]
	s_cbranch_vccnz .LBB89_212
; %bb.211:
	scratch_load_dwordx4 v[10:13], v8, off
	s_waitcnt vmcnt(0) lgkmcnt(0)
	v_mul_f64 v[6:7], v[4:5], v[12:13]
	v_mul_f64 v[12:13], v[2:3], v[12:13]
	v_fmac_f64_e32 v[12:13], v[4:5], v[10:11]
	v_fma_f64 v[2:3], v[2:3], v[10:11], -v[6:7]
	v_mov_b64_e32 v[4:5], v[12:13]
.LBB89_212:
	s_and_saveexec_b64 s[8:9], s[2:3]
	s_cbranch_execz .LBB89_214
; %bb.213:
	scratch_load_dwordx4 v[10:13], v8, off offset:16
	ds_read_b128 v[92:95], v9 offset:16
	s_waitcnt vmcnt(0) lgkmcnt(0)
	v_mul_f64 v[6:7], v[94:95], v[12:13]
	v_mul_f64 v[12:13], v[92:93], v[12:13]
	v_fma_f64 v[6:7], v[92:93], v[10:11], -v[6:7]
	v_fmac_f64_e32 v[12:13], v[94:95], v[10:11]
	v_add_f64 v[2:3], v[2:3], v[6:7]
	v_add_f64 v[4:5], v[4:5], v[12:13]
.LBB89_214:
	s_or_b64 exec, exec, s[8:9]
	v_mov_b32_e32 v6, 0
	ds_read_b128 v[10:13], v6 offset:32
	s_waitcnt lgkmcnt(0)
	v_mul_f64 v[6:7], v[4:5], v[12:13]
	v_mul_f64 v[94:95], v[2:3], v[12:13]
	v_fma_f64 v[92:93], v[2:3], v[10:11], -v[6:7]
	v_fmac_f64_e32 v[94:95], v[4:5], v[10:11]
	scratch_store_dwordx4 off, v[92:95], off offset:32
.LBB89_215:
	s_or_b64 exec, exec, s[6:7]
	scratch_load_dwordx4 v[2:5], v83, off
	v_cmp_gt_u32_e32 vcc, 3, v0
	s_waitcnt vmcnt(0)
	ds_write_b128 v9, v[2:5]
	s_waitcnt lgkmcnt(0)
	; wave barrier
	s_waitcnt lgkmcnt(0)
	s_and_saveexec_b64 s[6:7], vcc
	s_cbranch_execz .LBB89_223
; %bb.216:
	ds_read_b128 v[2:5], v9
	s_and_b64 vcc, exec, s[0:1]
	s_cbranch_vccnz .LBB89_218
; %bb.217:
	scratch_load_dwordx4 v[10:13], v8, off
	s_waitcnt vmcnt(0) lgkmcnt(0)
	v_mul_f64 v[6:7], v[4:5], v[12:13]
	v_mul_f64 v[12:13], v[2:3], v[12:13]
	v_fmac_f64_e32 v[12:13], v[4:5], v[10:11]
	v_fma_f64 v[2:3], v[2:3], v[10:11], -v[6:7]
	v_mov_b64_e32 v[4:5], v[12:13]
.LBB89_218:
	v_cmp_ne_u32_e32 vcc, 2, v0
	s_and_saveexec_b64 s[8:9], vcc
	s_cbranch_execz .LBB89_222
; %bb.219:
	scratch_load_dwordx4 v[10:13], v8, off offset:16
	ds_read_b128 v[92:95], v9 offset:16
	s_waitcnt vmcnt(0) lgkmcnt(0)
	v_mul_f64 v[6:7], v[94:95], v[12:13]
	v_mul_f64 v[12:13], v[92:93], v[12:13]
	v_fma_f64 v[6:7], v[92:93], v[10:11], -v[6:7]
	v_fmac_f64_e32 v[12:13], v[94:95], v[10:11]
	v_add_f64 v[2:3], v[2:3], v[6:7]
	v_add_f64 v[4:5], v[4:5], v[12:13]
	s_and_saveexec_b64 s[10:11], s[2:3]
	s_cbranch_execz .LBB89_221
; %bb.220:
	scratch_load_dwordx4 v[10:13], off, off offset:32
	v_mov_b32_e32 v6, 0
	ds_read_b128 v[92:95], v6 offset:448
	s_waitcnt vmcnt(0) lgkmcnt(0)
	v_mul_f64 v[6:7], v[92:93], v[12:13]
	v_mul_f64 v[12:13], v[94:95], v[12:13]
	v_fmac_f64_e32 v[6:7], v[94:95], v[10:11]
	v_fma_f64 v[10:11], v[92:93], v[10:11], -v[12:13]
	v_add_f64 v[4:5], v[4:5], v[6:7]
	v_add_f64 v[2:3], v[2:3], v[10:11]
.LBB89_221:
	s_or_b64 exec, exec, s[10:11]
.LBB89_222:
	s_or_b64 exec, exec, s[8:9]
	v_mov_b32_e32 v6, 0
	ds_read_b128 v[10:13], v6 offset:48
	s_waitcnt lgkmcnt(0)
	v_mul_f64 v[6:7], v[4:5], v[12:13]
	v_mul_f64 v[94:95], v[2:3], v[12:13]
	v_fma_f64 v[92:93], v[2:3], v[10:11], -v[6:7]
	v_fmac_f64_e32 v[94:95], v[4:5], v[10:11]
	scratch_store_dwordx4 off, v[92:95], off offset:48
.LBB89_223:
	s_or_b64 exec, exec, s[6:7]
	scratch_load_dwordx4 v[2:5], v78, off
	v_cmp_gt_u32_e32 vcc, 4, v0
	s_waitcnt vmcnt(0)
	ds_write_b128 v9, v[2:5]
	s_waitcnt lgkmcnt(0)
	; wave barrier
	s_waitcnt lgkmcnt(0)
	s_and_saveexec_b64 s[2:3], vcc
	s_cbranch_execz .LBB89_231
; %bb.224:
	ds_read_b128 v[2:5], v9
	s_and_b64 vcc, exec, s[0:1]
	s_cbranch_vccnz .LBB89_226
; %bb.225:
	scratch_load_dwordx4 v[10:13], v8, off
	s_waitcnt vmcnt(0) lgkmcnt(0)
	v_mul_f64 v[6:7], v[4:5], v[12:13]
	v_mul_f64 v[12:13], v[2:3], v[12:13]
	v_fmac_f64_e32 v[12:13], v[4:5], v[10:11]
	v_fma_f64 v[2:3], v[2:3], v[10:11], -v[6:7]
	v_mov_b64_e32 v[4:5], v[12:13]
.LBB89_226:
	v_cmp_ne_u32_e32 vcc, 3, v0
	s_and_saveexec_b64 s[6:7], vcc
	s_cbranch_execz .LBB89_230
; %bb.227:
	v_mov_b32_e32 v7, 0
	v_add_u32_e32 v6, 0x1b0, v14
	v_add3_u32 v7, v14, v7, 24
	s_mov_b64 s[8:9], 0
	v_mov_b32_e32 v10, v0
.LBB89_228:                             ; =>This Inner Loop Header: Depth=1
	v_add_u32_e32 v11, -8, v7
	scratch_load_dwordx4 v[92:95], v11, off
	ds_read_b128 v[96:99], v6
	v_add_u32_e32 v10, 1, v10
	v_cmp_lt_u32_e32 vcc, 2, v10
	v_add_u32_e32 v6, 16, v6
	v_add_u32_e32 v7, 16, v7
	s_or_b64 s[8:9], vcc, s[8:9]
	s_waitcnt vmcnt(0) lgkmcnt(0)
	v_mul_f64 v[12:13], v[98:99], v[94:95]
	v_mul_f64 v[94:95], v[96:97], v[94:95]
	v_fma_f64 v[12:13], v[96:97], v[92:93], -v[12:13]
	v_fmac_f64_e32 v[94:95], v[98:99], v[92:93]
	v_add_f64 v[2:3], v[2:3], v[12:13]
	v_add_f64 v[4:5], v[4:5], v[94:95]
	s_andn2_b64 exec, exec, s[8:9]
	s_cbranch_execnz .LBB89_228
; %bb.229:
	s_or_b64 exec, exec, s[8:9]
.LBB89_230:
	s_or_b64 exec, exec, s[6:7]
	v_mov_b32_e32 v6, 0
	ds_read_b128 v[10:13], v6 offset:64
	s_waitcnt lgkmcnt(0)
	v_mul_f64 v[6:7], v[4:5], v[12:13]
	v_mul_f64 v[94:95], v[2:3], v[12:13]
	v_fma_f64 v[92:93], v[2:3], v[10:11], -v[6:7]
	v_fmac_f64_e32 v[94:95], v[4:5], v[10:11]
	scratch_store_dwordx4 off, v[92:95], off offset:64
.LBB89_231:
	s_or_b64 exec, exec, s[2:3]
	scratch_load_dwordx4 v[2:5], v82, off
	v_cmp_gt_u32_e32 vcc, 5, v0
	s_waitcnt vmcnt(0)
	ds_write_b128 v9, v[2:5]
	s_waitcnt lgkmcnt(0)
	; wave barrier
	s_waitcnt lgkmcnt(0)
	s_and_saveexec_b64 s[2:3], vcc
	s_cbranch_execz .LBB89_239
; %bb.232:
	ds_read_b128 v[2:5], v9
	s_and_b64 vcc, exec, s[0:1]
	s_cbranch_vccnz .LBB89_234
; %bb.233:
	scratch_load_dwordx4 v[10:13], v8, off
	s_waitcnt vmcnt(0) lgkmcnt(0)
	v_mul_f64 v[6:7], v[4:5], v[12:13]
	v_mul_f64 v[12:13], v[2:3], v[12:13]
	v_fmac_f64_e32 v[12:13], v[4:5], v[10:11]
	v_fma_f64 v[2:3], v[2:3], v[10:11], -v[6:7]
	v_mov_b64_e32 v[4:5], v[12:13]
.LBB89_234:
	v_cmp_ne_u32_e32 vcc, 4, v0
	s_and_saveexec_b64 s[6:7], vcc
	s_cbranch_execz .LBB89_238
; %bb.235:
	v_mov_b32_e32 v7, 0
	v_add_u32_e32 v6, 0x1b0, v14
	v_add3_u32 v7, v14, v7, 24
	s_mov_b64 s[8:9], 0
	v_mov_b32_e32 v10, v0
.LBB89_236:                             ; =>This Inner Loop Header: Depth=1
	v_add_u32_e32 v11, -8, v7
	scratch_load_dwordx4 v[92:95], v11, off
	ds_read_b128 v[96:99], v6
	v_add_u32_e32 v10, 1, v10
	v_cmp_lt_u32_e32 vcc, 3, v10
	v_add_u32_e32 v6, 16, v6
	v_add_u32_e32 v7, 16, v7
	s_or_b64 s[8:9], vcc, s[8:9]
	s_waitcnt vmcnt(0) lgkmcnt(0)
	v_mul_f64 v[12:13], v[98:99], v[94:95]
	v_mul_f64 v[94:95], v[96:97], v[94:95]
	v_fma_f64 v[12:13], v[96:97], v[92:93], -v[12:13]
	v_fmac_f64_e32 v[94:95], v[98:99], v[92:93]
	v_add_f64 v[2:3], v[2:3], v[12:13]
	v_add_f64 v[4:5], v[4:5], v[94:95]
	s_andn2_b64 exec, exec, s[8:9]
	s_cbranch_execnz .LBB89_236
; %bb.237:
	s_or_b64 exec, exec, s[8:9]
.LBB89_238:
	s_or_b64 exec, exec, s[6:7]
	v_mov_b32_e32 v6, 0
	ds_read_b128 v[10:13], v6 offset:80
	s_waitcnt lgkmcnt(0)
	v_mul_f64 v[6:7], v[4:5], v[12:13]
	v_mul_f64 v[94:95], v[2:3], v[12:13]
	v_fma_f64 v[92:93], v[2:3], v[10:11], -v[6:7]
	v_fmac_f64_e32 v[94:95], v[4:5], v[10:11]
	scratch_store_dwordx4 off, v[92:95], off offset:80
.LBB89_239:
	;; [unrolled: 63-line block ×20, first 2 shown]
	s_or_b64 exec, exec, s[2:3]
	scratch_load_dwordx4 v[2:5], v15, off
	v_cmp_gt_u32_e64 s[2:3], 24, v0
	s_waitcnt vmcnt(0)
	ds_write_b128 v9, v[2:5]
	s_waitcnt lgkmcnt(0)
	; wave barrier
	s_waitcnt lgkmcnt(0)
	s_and_saveexec_b64 s[6:7], s[2:3]
	s_cbranch_execz .LBB89_391
; %bb.384:
	ds_read_b128 v[2:5], v9
	s_and_b64 vcc, exec, s[0:1]
	s_cbranch_vccnz .LBB89_386
; %bb.385:
	scratch_load_dwordx4 v[10:13], v8, off
	s_waitcnt vmcnt(0) lgkmcnt(0)
	v_mul_f64 v[6:7], v[4:5], v[12:13]
	v_mul_f64 v[12:13], v[2:3], v[12:13]
	v_fmac_f64_e32 v[12:13], v[4:5], v[10:11]
	v_fma_f64 v[2:3], v[2:3], v[10:11], -v[6:7]
	v_mov_b64_e32 v[4:5], v[12:13]
.LBB89_386:
	v_cmp_ne_u32_e32 vcc, 23, v0
	s_and_saveexec_b64 s[8:9], vcc
	s_cbranch_execz .LBB89_390
; %bb.387:
	v_mov_b32_e32 v7, 0
	v_add_u32_e32 v6, 0x1b0, v14
	v_add3_u32 v7, v14, v7, 24
	s_mov_b64 s[10:11], 0
	v_mov_b32_e32 v10, v0
.LBB89_388:                             ; =>This Inner Loop Header: Depth=1
	v_add_u32_e32 v11, -8, v7
	scratch_load_dwordx4 v[92:95], v11, off
	ds_read_b128 v[96:99], v6
	v_add_u32_e32 v10, 1, v10
	v_cmp_lt_u32_e32 vcc, 22, v10
	v_add_u32_e32 v6, 16, v6
	v_add_u32_e32 v7, 16, v7
	s_or_b64 s[10:11], vcc, s[10:11]
	s_waitcnt vmcnt(0) lgkmcnt(0)
	v_mul_f64 v[12:13], v[98:99], v[94:95]
	v_mul_f64 v[94:95], v[96:97], v[94:95]
	v_fma_f64 v[12:13], v[96:97], v[92:93], -v[12:13]
	v_fmac_f64_e32 v[94:95], v[98:99], v[92:93]
	v_add_f64 v[2:3], v[2:3], v[12:13]
	v_add_f64 v[4:5], v[4:5], v[94:95]
	s_andn2_b64 exec, exec, s[10:11]
	s_cbranch_execnz .LBB89_388
; %bb.389:
	s_or_b64 exec, exec, s[10:11]
.LBB89_390:
	s_or_b64 exec, exec, s[8:9]
	v_mov_b32_e32 v6, 0
	ds_read_b128 v[10:13], v6 offset:384
	s_waitcnt lgkmcnt(0)
	v_mul_f64 v[6:7], v[4:5], v[12:13]
	v_mul_f64 v[94:95], v[2:3], v[12:13]
	v_fma_f64 v[92:93], v[2:3], v[10:11], -v[6:7]
	v_fmac_f64_e32 v[94:95], v[4:5], v[10:11]
	scratch_store_dwordx4 off, v[92:95], off offset:384
.LBB89_391:
	s_or_b64 exec, exec, s[6:7]
	scratch_load_dwordx4 v[2:5], v1, off
	v_cmp_ne_u32_e32 vcc, 25, v0
                                        ; implicit-def: $vgpr6_vgpr7
                                        ; implicit-def: $vgpr10
	s_waitcnt vmcnt(0)
	ds_write_b128 v9, v[2:5]
	s_waitcnt lgkmcnt(0)
	; wave barrier
	s_waitcnt lgkmcnt(0)
	s_and_saveexec_b64 s[6:7], vcc
	s_cbranch_execz .LBB89_399
; %bb.392:
	ds_read_b128 v[2:5], v9
	s_and_b64 vcc, exec, s[0:1]
	s_cbranch_vccnz .LBB89_394
; %bb.393:
	scratch_load_dwordx4 v[6:9], v8, off
	s_waitcnt vmcnt(0) lgkmcnt(0)
	v_mul_f64 v[10:11], v[4:5], v[8:9]
	v_mul_f64 v[8:9], v[2:3], v[8:9]
	v_fmac_f64_e32 v[8:9], v[4:5], v[6:7]
	v_fma_f64 v[2:3], v[2:3], v[6:7], -v[10:11]
	v_mov_b64_e32 v[4:5], v[8:9]
.LBB89_394:
	s_and_saveexec_b64 s[0:1], s[2:3]
	s_cbranch_execz .LBB89_398
; %bb.395:
	v_mov_b32_e32 v7, 0
	v_add_u32_e32 v6, 0x1b0, v14
	v_add3_u32 v7, v14, v7, 24
	s_mov_b64 s[2:3], 0
.LBB89_396:                             ; =>This Inner Loop Header: Depth=1
	v_add_u32_e32 v8, -8, v7
	scratch_load_dwordx4 v[8:11], v8, off
	ds_read_b128 v[92:95], v6
	v_add_u32_e32 v0, 1, v0
	v_cmp_lt_u32_e32 vcc, 23, v0
	v_add_u32_e32 v6, 16, v6
	v_add_u32_e32 v7, 16, v7
	s_or_b64 s[2:3], vcc, s[2:3]
	s_waitcnt vmcnt(0) lgkmcnt(0)
	v_mul_f64 v[12:13], v[94:95], v[10:11]
	v_mul_f64 v[10:11], v[92:93], v[10:11]
	v_fma_f64 v[12:13], v[92:93], v[8:9], -v[12:13]
	v_fmac_f64_e32 v[10:11], v[94:95], v[8:9]
	v_add_f64 v[2:3], v[2:3], v[12:13]
	v_add_f64 v[4:5], v[4:5], v[10:11]
	s_andn2_b64 exec, exec, s[2:3]
	s_cbranch_execnz .LBB89_396
; %bb.397:
	s_or_b64 exec, exec, s[2:3]
.LBB89_398:
	s_or_b64 exec, exec, s[0:1]
	v_mov_b32_e32 v0, 0
	ds_read_b128 v[92:95], v0 offset:400
	v_mov_b32_e32 v0, 0
	v_add_u32_e32 v10, 0x198, v0
	s_or_b64 s[4:5], s[4:5], exec
	s_waitcnt lgkmcnt(0)
	v_mul_f64 v[8:9], v[4:5], v[94:95]
	v_mul_f64 v[6:7], v[2:3], v[94:95]
	v_fma_f64 v[2:3], v[2:3], v[92:93], -v[8:9]
	v_fmac_f64_e32 v[6:7], v[4:5], v[92:93]
	scratch_store_dwordx2 off, v[2:3], off offset:400
.LBB89_399:
	s_or_b64 exec, exec, s[6:7]
.LBB89_400:
	s_and_saveexec_b64 s[0:1], s[4:5]
	s_cbranch_execz .LBB89_402
; %bb.401:
	scratch_store_dwordx2 v10, v[6:7], off
.LBB89_402:
	s_or_b64 exec, exec, s[0:1]
	scratch_load_dwordx4 v[2:5], off, off
	scratch_load_dwordx4 v[6:9], v84, off
	scratch_load_dwordx4 v[10:13], v79, off
	;; [unrolled: 1-line block ×11, first 2 shown]
                                        ; kill: killed $vgpr90
                                        ; kill: killed $vgpr84
                                        ; kill: killed $vgpr89
                                        ; kill: killed $vgpr83
                                        ; kill: killed $vgpr88
                                        ; kill: killed $vgpr82
                                        ; kill: killed $vgpr87
                                        ; kill: killed $vgpr79
                                        ; kill: killed $vgpr86
                                        ; kill: killed $vgpr78
                                        ; kill: killed $vgpr85
	s_nop 0
	scratch_load_dwordx4 v[82:85], v80, off
	scratch_load_dwordx4 v[86:89], v81, off
	s_waitcnt vmcnt(13)
	global_store_dwordx4 v[36:37], v[2:5], off
	scratch_load_dwordx4 v[2:5], v76, off
	s_nop 0
	scratch_load_dwordx4 v[78:81], v77, off
	s_waitcnt vmcnt(15)
	global_store_dwordx4 v[34:35], v[6:9], off
	scratch_load_dwordx4 v[6:9], v74, off
	s_nop 0
	;; [unrolled: 5-line block ×6, first 2 shown]
	scratch_load_dwordx4 v[128:131], v1, off
	s_waitcnt vmcnt(25)
	global_store_dwordx4 v[16:17], v[104:107], off
	s_waitcnt vmcnt(25)
	global_store_dwordx4 v[20:21], v[108:111], off
	;; [unrolled: 2-line block ×20, first 2 shown]
.LBB89_403:
	s_endpgm
	.section	.rodata,"a",@progbits
	.p2align	6, 0x0
	.amdhsa_kernel _ZN9rocsolver6v33100L18trti2_kernel_smallILi26E19rocblas_complex_numIdEPKPS3_EEv13rocblas_fill_17rocblas_diagonal_T1_iil
		.amdhsa_group_segment_fixed_size 832
		.amdhsa_private_segment_fixed_size 432
		.amdhsa_kernarg_size 32
		.amdhsa_user_sgpr_count 2
		.amdhsa_user_sgpr_dispatch_ptr 0
		.amdhsa_user_sgpr_queue_ptr 0
		.amdhsa_user_sgpr_kernarg_segment_ptr 1
		.amdhsa_user_sgpr_dispatch_id 0
		.amdhsa_user_sgpr_kernarg_preload_length 0
		.amdhsa_user_sgpr_kernarg_preload_offset 0
		.amdhsa_user_sgpr_private_segment_size 0
		.amdhsa_uses_dynamic_stack 0
		.amdhsa_enable_private_segment 1
		.amdhsa_system_sgpr_workgroup_id_x 1
		.amdhsa_system_sgpr_workgroup_id_y 0
		.amdhsa_system_sgpr_workgroup_id_z 0
		.amdhsa_system_sgpr_workgroup_info 0
		.amdhsa_system_vgpr_workitem_id 0
		.amdhsa_next_free_vgpr 132
		.amdhsa_next_free_sgpr 12
		.amdhsa_accum_offset 132
		.amdhsa_reserve_vcc 1
		.amdhsa_float_round_mode_32 0
		.amdhsa_float_round_mode_16_64 0
		.amdhsa_float_denorm_mode_32 3
		.amdhsa_float_denorm_mode_16_64 3
		.amdhsa_dx10_clamp 1
		.amdhsa_ieee_mode 1
		.amdhsa_fp16_overflow 0
		.amdhsa_tg_split 0
		.amdhsa_exception_fp_ieee_invalid_op 0
		.amdhsa_exception_fp_denorm_src 0
		.amdhsa_exception_fp_ieee_div_zero 0
		.amdhsa_exception_fp_ieee_overflow 0
		.amdhsa_exception_fp_ieee_underflow 0
		.amdhsa_exception_fp_ieee_inexact 0
		.amdhsa_exception_int_div_zero 0
	.end_amdhsa_kernel
	.section	.text._ZN9rocsolver6v33100L18trti2_kernel_smallILi26E19rocblas_complex_numIdEPKPS3_EEv13rocblas_fill_17rocblas_diagonal_T1_iil,"axG",@progbits,_ZN9rocsolver6v33100L18trti2_kernel_smallILi26E19rocblas_complex_numIdEPKPS3_EEv13rocblas_fill_17rocblas_diagonal_T1_iil,comdat
.Lfunc_end89:
	.size	_ZN9rocsolver6v33100L18trti2_kernel_smallILi26E19rocblas_complex_numIdEPKPS3_EEv13rocblas_fill_17rocblas_diagonal_T1_iil, .Lfunc_end89-_ZN9rocsolver6v33100L18trti2_kernel_smallILi26E19rocblas_complex_numIdEPKPS3_EEv13rocblas_fill_17rocblas_diagonal_T1_iil
                                        ; -- End function
	.section	.AMDGPU.csdata,"",@progbits
; Kernel info:
; codeLenInByte = 16992
; NumSgprs: 18
; NumVgprs: 132
; NumAgprs: 0
; TotalNumVgprs: 132
; ScratchSize: 432
; MemoryBound: 0
; FloatMode: 240
; IeeeMode: 1
; LDSByteSize: 832 bytes/workgroup (compile time only)
; SGPRBlocks: 2
; VGPRBlocks: 16
; NumSGPRsForWavesPerEU: 18
; NumVGPRsForWavesPerEU: 132
; AccumOffset: 132
; Occupancy: 3
; WaveLimiterHint : 1
; COMPUTE_PGM_RSRC2:SCRATCH_EN: 1
; COMPUTE_PGM_RSRC2:USER_SGPR: 2
; COMPUTE_PGM_RSRC2:TRAP_HANDLER: 0
; COMPUTE_PGM_RSRC2:TGID_X_EN: 1
; COMPUTE_PGM_RSRC2:TGID_Y_EN: 0
; COMPUTE_PGM_RSRC2:TGID_Z_EN: 0
; COMPUTE_PGM_RSRC2:TIDIG_COMP_CNT: 0
; COMPUTE_PGM_RSRC3_GFX90A:ACCUM_OFFSET: 32
; COMPUTE_PGM_RSRC3_GFX90A:TG_SPLIT: 0
	.section	.text._ZN9rocsolver6v33100L18trti2_kernel_smallILi27E19rocblas_complex_numIdEPKPS3_EEv13rocblas_fill_17rocblas_diagonal_T1_iil,"axG",@progbits,_ZN9rocsolver6v33100L18trti2_kernel_smallILi27E19rocblas_complex_numIdEPKPS3_EEv13rocblas_fill_17rocblas_diagonal_T1_iil,comdat
	.globl	_ZN9rocsolver6v33100L18trti2_kernel_smallILi27E19rocblas_complex_numIdEPKPS3_EEv13rocblas_fill_17rocblas_diagonal_T1_iil ; -- Begin function _ZN9rocsolver6v33100L18trti2_kernel_smallILi27E19rocblas_complex_numIdEPKPS3_EEv13rocblas_fill_17rocblas_diagonal_T1_iil
	.p2align	8
	.type	_ZN9rocsolver6v33100L18trti2_kernel_smallILi27E19rocblas_complex_numIdEPKPS3_EEv13rocblas_fill_17rocblas_diagonal_T1_iil,@function
_ZN9rocsolver6v33100L18trti2_kernel_smallILi27E19rocblas_complex_numIdEPKPS3_EEv13rocblas_fill_17rocblas_diagonal_T1_iil: ; @_ZN9rocsolver6v33100L18trti2_kernel_smallILi27E19rocblas_complex_numIdEPKPS3_EEv13rocblas_fill_17rocblas_diagonal_T1_iil
; %bb.0:
	v_cmp_gt_u32_e32 vcc, 27, v0
	s_and_saveexec_b64 s[4:5], vcc
	s_cbranch_execz .LBB90_419
; %bb.1:
	s_load_dwordx2 s[8:9], s[0:1], 0x10
	s_load_dwordx4 s[4:7], s[0:1], 0x0
	s_ashr_i32 s3, s2, 31
	s_lshl_b64 s[0:1], s[2:3], 3
	v_lshlrev_b32_e32 v58, 4, v0
	s_waitcnt lgkmcnt(0)
	s_ashr_i32 s3, s8, 31
	s_add_u32 s0, s6, s0
	s_addc_u32 s1, s7, s1
	s_load_dwordx2 s[0:1], s[0:1], 0x0
	s_mov_b32 s2, s8
	s_lshl_b64 s[2:3], s[2:3], 4
	v_mov_b32_e32 v59, 0
	v_mov_b32_e32 v1, 0
	s_waitcnt lgkmcnt(0)
	s_add_u32 s0, s0, s2
	s_addc_u32 s1, s1, s3
	v_lshl_add_u64 v[16:17], s[0:1], 0, v[58:59]
	s_ashr_i32 s3, s9, 31
	s_mov_b32 s2, s9
	v_lshl_add_u64 v[14:15], s[2:3], 4, v[16:17]
	s_add_i32 s2, s9, s9
	v_add_u32_e32 v20, s2, v0
	v_add_u32_e32 v22, s9, v20
	;; [unrolled: 1-line block ×6, first 2 shown]
	v_ashrrev_i32_e32 v21, 31, v20
	v_ashrrev_i32_e32 v23, 31, v22
	;; [unrolled: 1-line block ×6, first 2 shown]
	v_lshl_add_u64 v[18:19], v[20:21], 4, s[0:1]
	v_lshl_add_u64 v[20:21], v[22:23], 4, s[0:1]
	;; [unrolled: 1-line block ×6, first 2 shown]
	v_add_u32_e32 v30, s9, v30
	v_add_u32_e32 v32, s9, v30
	v_ashrrev_i32_e32 v33, 31, v32
	v_add_u32_e32 v36, s9, v32
	v_ashrrev_i32_e32 v31, 31, v30
	v_lshl_add_u64 v[32:33], v[32:33], 4, s[0:1]
	v_ashrrev_i32_e32 v37, 31, v36
	global_load_dwordx4 v[2:5], v58, s[0:1]
	global_load_dwordx4 v[6:9], v[14:15], off
	global_load_dwordx4 v[10:13], v[18:19], off
	;; [unrolled: 1-line block ×6, first 2 shown]
	v_lshl_add_u64 v[30:31], v[30:31], 4, s[0:1]
	global_load_dwordx4 v[76:79], v[28:29], off
	global_load_dwordx4 v[80:83], v[30:31], off
	v_lshl_add_u64 v[34:35], v[36:37], 4, s[0:1]
	global_load_dwordx4 v[84:87], v[32:33], off
	global_load_dwordx4 v[88:91], v[34:35], off
	v_add_u32_e32 v36, s9, v36
	v_add_u32_e32 v38, s9, v36
	;; [unrolled: 1-line block ×8, first 2 shown]
	v_ashrrev_i32_e32 v37, 31, v36
	v_ashrrev_i32_e32 v41, 31, v40
	v_ashrrev_i32_e32 v45, 31, v44
	v_ashrrev_i32_e32 v49, 31, v48
	v_add_u32_e32 v52, s9, v50
	v_lshl_add_u64 v[36:37], v[36:37], 4, s[0:1]
	v_ashrrev_i32_e32 v39, 31, v38
	v_lshl_add_u64 v[40:41], v[40:41], 4, s[0:1]
	v_ashrrev_i32_e32 v43, 31, v42
	;; [unrolled: 2-line block ×4, first 2 shown]
	v_add_u32_e32 v56, s9, v52
	v_lshl_add_u64 v[38:39], v[38:39], 4, s[0:1]
	global_load_dwordx4 v[92:95], v[36:37], off
	global_load_dwordx4 v[96:99], v[38:39], off
	v_lshl_add_u64 v[42:43], v[42:43], 4, s[0:1]
	global_load_dwordx4 v[100:103], v[40:41], off
	global_load_dwordx4 v[104:107], v[42:43], off
	;; [unrolled: 3-line block ×4, first 2 shown]
	v_ashrrev_i32_e32 v53, 31, v52
	v_ashrrev_i32_e32 v57, 31, v56
	v_lshl_add_u64 v[52:53], v[52:53], 4, s[0:1]
	v_lshl_add_u64 v[54:55], v[56:57], 4, s[0:1]
	s_cmpk_lg_i32 s5, 0x84
	s_cselect_b64 s[6:7], -1, 0
	s_cmpk_eq_i32 s5, 0x84
	s_waitcnt vmcnt(18)
	scratch_store_dwordx4 off, v[2:5], off
	s_waitcnt vmcnt(18)
	scratch_store_dwordx4 off, v[6:9], off offset:16
	s_waitcnt vmcnt(18)
	scratch_store_dwordx4 off, v[10:13], off offset:32
	;; [unrolled: 2-line block ×10, first 2 shown]
	v_add_u32_e32 v10, s9, v56
	v_add_u32_e32 v62, s9, v10
	;; [unrolled: 1-line block ×5, first 2 shown]
	v_ashrrev_i32_e32 v63, 31, v62
	v_ashrrev_i32_e32 v65, 31, v64
	;; [unrolled: 1-line block ×5, first 2 shown]
	v_lshl_add_u64 v[60:61], v[62:63], 4, s[0:1]
	v_lshl_add_u64 v[62:63], v[64:65], 4, s[0:1]
	;; [unrolled: 1-line block ×4, first 2 shown]
	v_add_u32_e32 v68, s9, v68
	v_lshl_add_u64 v[56:57], v[10:11], 4, s[0:1]
	v_ashrrev_i32_e32 v69, 31, v68
	global_load_dwordx4 v[2:5], v[52:53], off
	global_load_dwordx4 v[6:9], v[54:55], off
	global_load_dwordx4 v[10:13], v[56:57], off
	global_load_dwordx4 v[70:73], v[60:61], off
	global_load_dwordx4 v[74:77], v[62:63], off
	global_load_dwordx4 v[78:81], v[64:65], off
	v_lshl_add_u64 v[68:69], v[68:69], 4, s[0:1]
	global_load_dwordx4 v[82:85], v[66:67], off
	global_load_dwordx4 v[86:89], v[68:69], off
	s_waitcnt vmcnt(26)
	scratch_store_dwordx4 off, v[92:95], off offset:176
	s_waitcnt vmcnt(26)
	scratch_store_dwordx4 off, v[96:99], off offset:192
	;; [unrolled: 2-line block ×16, first 2 shown]
	s_cbranch_scc1 .LBB90_7
; %bb.2:
	scratch_load_dwordx4 v[2:5], v58, off
                                        ; implicit-def: $vgpr10_vgpr11
	s_waitcnt vmcnt(0)
	v_xor_b32_e32 v7, 0x80000000, v3
	v_cmp_gt_f64_e32 vcc, 0, v[2:3]
	v_xor_b32_e32 v8, 0x80000000, v5
	v_mov_b32_e32 v6, v2
	v_cndmask_b32_e32 v7, v3, v7, vcc
	v_cmp_gt_f64_e32 vcc, 0, v[4:5]
	s_nop 1
	v_cndmask_b32_e32 v9, v5, v8, vcc
	v_mov_b32_e32 v8, v4
	v_cmp_ngt_f64_e32 vcc, v[6:7], v[8:9]
                                        ; implicit-def: $vgpr6_vgpr7
	s_and_saveexec_b64 s[0:1], vcc
	s_xor_b64 s[0:1], exec, s[0:1]
	s_cbranch_execz .LBB90_4
; %bb.3:
	v_div_scale_f64 v[6:7], s[2:3], v[4:5], v[4:5], v[2:3]
	v_rcp_f64_e32 v[8:9], v[6:7]
	v_div_scale_f64 v[10:11], vcc, v[2:3], v[4:5], v[2:3]
	v_fma_f64 v[12:13], -v[6:7], v[8:9], 1.0
	v_fmac_f64_e32 v[8:9], v[8:9], v[12:13]
	v_fma_f64 v[12:13], -v[6:7], v[8:9], 1.0
	v_fmac_f64_e32 v[8:9], v[8:9], v[12:13]
	v_mul_f64 v[12:13], v[10:11], v[8:9]
	v_fma_f64 v[6:7], -v[6:7], v[12:13], v[10:11]
	v_div_fmas_f64 v[6:7], v[6:7], v[8:9], v[12:13]
	v_div_fixup_f64 v[6:7], v[6:7], v[4:5], v[2:3]
	v_fmac_f64_e32 v[4:5], v[2:3], v[6:7]
	v_div_scale_f64 v[2:3], s[2:3], v[4:5], v[4:5], 1.0
	v_rcp_f64_e32 v[8:9], v[2:3]
	s_nop 0
	v_fma_f64 v[10:11], -v[2:3], v[8:9], 1.0
	v_fmac_f64_e32 v[8:9], v[8:9], v[10:11]
	v_fma_f64 v[10:11], -v[2:3], v[8:9], 1.0
	v_fmac_f64_e32 v[8:9], v[8:9], v[10:11]
	v_div_scale_f64 v[10:11], vcc, 1.0, v[4:5], 1.0
	v_mul_f64 v[12:13], v[10:11], v[8:9]
	v_fma_f64 v[2:3], -v[2:3], v[12:13], v[10:11]
	s_nop 1
	v_div_fmas_f64 v[2:3], v[2:3], v[8:9], v[12:13]
	v_div_fixup_f64 v[8:9], v[2:3], v[4:5], 1.0
	v_mul_f64 v[6:7], v[6:7], v[8:9]
	v_xor_b32_e32 v9, 0x80000000, v9
	v_xor_b32_e32 v11, 0x80000000, v7
	v_mov_b32_e32 v10, v6
                                        ; implicit-def: $vgpr2_vgpr3
.LBB90_4:
	s_or_saveexec_b64 s[0:1], s[0:1]
	v_add_u32_e32 v12, 0, v58
	s_xor_b64 exec, exec, s[0:1]
	s_cbranch_execz .LBB90_6
; %bb.5:
	v_div_scale_f64 v[6:7], s[2:3], v[2:3], v[2:3], v[4:5]
	v_rcp_f64_e32 v[8:9], v[6:7]
	v_div_scale_f64 v[10:11], vcc, v[4:5], v[2:3], v[4:5]
	v_fma_f64 v[70:71], -v[6:7], v[8:9], 1.0
	v_fmac_f64_e32 v[8:9], v[8:9], v[70:71]
	v_fma_f64 v[70:71], -v[6:7], v[8:9], 1.0
	v_fmac_f64_e32 v[8:9], v[8:9], v[70:71]
	v_mul_f64 v[70:71], v[10:11], v[8:9]
	v_fma_f64 v[6:7], -v[6:7], v[70:71], v[10:11]
	v_div_fmas_f64 v[6:7], v[6:7], v[8:9], v[70:71]
	v_div_fixup_f64 v[8:9], v[6:7], v[2:3], v[4:5]
	v_fmac_f64_e32 v[2:3], v[4:5], v[8:9]
	v_div_scale_f64 v[4:5], s[2:3], v[2:3], v[2:3], 1.0
	v_rcp_f64_e32 v[6:7], v[4:5]
	s_nop 0
	v_fma_f64 v[10:11], -v[4:5], v[6:7], 1.0
	v_fmac_f64_e32 v[6:7], v[6:7], v[10:11]
	v_fma_f64 v[10:11], -v[4:5], v[6:7], 1.0
	v_fmac_f64_e32 v[6:7], v[6:7], v[10:11]
	v_div_scale_f64 v[10:11], vcc, 1.0, v[2:3], 1.0
	v_mul_f64 v[70:71], v[10:11], v[6:7]
	v_fma_f64 v[4:5], -v[4:5], v[70:71], v[10:11]
	s_nop 1
	v_div_fmas_f64 v[4:5], v[4:5], v[6:7], v[70:71]
	v_div_fixup_f64 v[6:7], v[4:5], v[2:3], 1.0
	v_xor_b32_e32 v11, 0x80000000, v7
	v_mov_b32_e32 v10, v6
	v_mul_f64 v[8:9], v[8:9], -v[6:7]
.LBB90_6:
	s_or_b64 exec, exec, s[0:1]
	scratch_store_dwordx4 v12, v[6:9], off
	s_nop 1
	v_xor_b32_e32 v9, 0x80000000, v9
	s_branch .LBB90_8
.LBB90_7:
	v_mov_b64_e32 v[8:9], 0
	v_mov_b64_e32 v[10:11], -1.0
.LBB90_8:
	v_add_u32_e32 v84, 16, v1
	v_add_u32_e32 v91, 32, v1
	;; [unrolled: 1-line block ×26, first 2 shown]
	v_mov_b32_e32 v12, v8
	v_mov_b32_e32 v13, v9
	s_cmpk_eq_i32 s4, 0x79
	v_add_u32_e32 v9, 0x1b0, v58
	v_add_u32_e32 v8, 0, v58
	ds_write_b128 v58, v[10:13]
	s_cbranch_scc1 .LBB90_212
; %bb.9:
	scratch_load_dwordx4 v[2:5], v59, off
	v_cmp_eq_u32_e64 s[0:1], 26, v0
	s_waitcnt vmcnt(0)
	ds_write_b128 v9, v[2:5]
	s_waitcnt lgkmcnt(0)
	; wave barrier
	s_waitcnt lgkmcnt(0)
	s_and_saveexec_b64 s[2:3], s[0:1]
	s_cbranch_execz .LBB90_13
; %bb.10:
	ds_read_b128 v[2:5], v9
	s_andn2_b64 vcc, exec, s[6:7]
	s_cbranch_vccnz .LBB90_12
; %bb.11:
	scratch_load_dwordx4 v[10:13], v8, off
	s_waitcnt vmcnt(0) lgkmcnt(0)
	v_mul_f64 v[6:7], v[4:5], v[12:13]
	v_mul_f64 v[12:13], v[2:3], v[12:13]
	v_fmac_f64_e32 v[12:13], v[4:5], v[10:11]
	v_fma_f64 v[2:3], v[2:3], v[10:11], -v[6:7]
	v_mov_b64_e32 v[4:5], v[12:13]
.LBB90_12:
	v_mov_b32_e32 v6, 0
	ds_read_b128 v[10:13], v6 offset:400
	s_waitcnt lgkmcnt(0)
	v_mul_f64 v[6:7], v[4:5], v[12:13]
	v_mul_f64 v[96:97], v[2:3], v[12:13]
	v_fma_f64 v[94:95], v[2:3], v[10:11], -v[6:7]
	v_fmac_f64_e32 v[96:97], v[4:5], v[10:11]
	scratch_store_dwordx4 off, v[94:97], off offset:400
.LBB90_13:
	s_or_b64 exec, exec, s[2:3]
	scratch_load_dwordx4 v[2:5], v70, off
	v_cmp_lt_u32_e64 s[2:3], 24, v0
	s_waitcnt vmcnt(0)
	ds_write_b128 v9, v[2:5]
	s_waitcnt lgkmcnt(0)
	; wave barrier
	s_waitcnt lgkmcnt(0)
	s_and_saveexec_b64 s[4:5], s[2:3]
	s_cbranch_execz .LBB90_19
; %bb.14:
	ds_read_b128 v[2:5], v9
	s_andn2_b64 vcc, exec, s[6:7]
	s_cbranch_vccnz .LBB90_16
; %bb.15:
	scratch_load_dwordx4 v[10:13], v8, off
	s_waitcnt vmcnt(0) lgkmcnt(0)
	v_mul_f64 v[6:7], v[4:5], v[12:13]
	v_mul_f64 v[12:13], v[2:3], v[12:13]
	v_fmac_f64_e32 v[12:13], v[4:5], v[10:11]
	v_fma_f64 v[2:3], v[2:3], v[10:11], -v[6:7]
	v_mov_b64_e32 v[4:5], v[12:13]
.LBB90_16:
	s_and_saveexec_b64 s[8:9], s[0:1]
	s_cbranch_execz .LBB90_18
; %bb.17:
	scratch_load_dwordx4 v[10:13], off, off offset:400
	v_mov_b32_e32 v6, 0
	ds_read_b128 v[94:97], v6 offset:832
	s_waitcnt vmcnt(0) lgkmcnt(0)
	v_mul_f64 v[6:7], v[94:95], v[12:13]
	v_mul_f64 v[12:13], v[96:97], v[12:13]
	v_fmac_f64_e32 v[6:7], v[96:97], v[10:11]
	v_fma_f64 v[10:11], v[94:95], v[10:11], -v[12:13]
	v_add_f64 v[4:5], v[4:5], v[6:7]
	v_add_f64 v[2:3], v[2:3], v[10:11]
.LBB90_18:
	s_or_b64 exec, exec, s[8:9]
	v_mov_b32_e32 v6, 0
	ds_read_b128 v[10:13], v6 offset:384
	s_waitcnt lgkmcnt(0)
	v_mul_f64 v[6:7], v[4:5], v[12:13]
	v_mul_f64 v[96:97], v[2:3], v[12:13]
	v_fma_f64 v[94:95], v[2:3], v[10:11], -v[6:7]
	v_fmac_f64_e32 v[96:97], v[4:5], v[10:11]
	scratch_store_dwordx4 off, v[94:97], off offset:384
.LBB90_19:
	s_or_b64 exec, exec, s[4:5]
	scratch_load_dwordx4 v[2:5], v71, off
	v_cmp_lt_u32_e64 s[0:1], 23, v0
	s_waitcnt vmcnt(0)
	ds_write_b128 v9, v[2:5]
	s_waitcnt lgkmcnt(0)
	; wave barrier
	s_waitcnt lgkmcnt(0)
	s_and_saveexec_b64 s[4:5], s[0:1]
	s_cbranch_execz .LBB90_27
; %bb.20:
	ds_read_b128 v[2:5], v9
	s_andn2_b64 vcc, exec, s[6:7]
	s_cbranch_vccnz .LBB90_22
; %bb.21:
	scratch_load_dwordx4 v[10:13], v8, off
	s_waitcnt vmcnt(0) lgkmcnt(0)
	v_mul_f64 v[6:7], v[4:5], v[12:13]
	v_mul_f64 v[12:13], v[2:3], v[12:13]
	v_fmac_f64_e32 v[12:13], v[4:5], v[10:11]
	v_fma_f64 v[2:3], v[2:3], v[10:11], -v[6:7]
	v_mov_b64_e32 v[4:5], v[12:13]
.LBB90_22:
	s_and_saveexec_b64 s[8:9], s[2:3]
	s_cbranch_execz .LBB90_26
; %bb.23:
	v_mov_b32_e32 v7, 0
	v_subrev_u32_e32 v6, 24, v0
	v_add_u32_e32 v7, 0x188, v7
	s_movk_i32 s10, 0x330
	s_mov_b64 s[2:3], 0
.LBB90_24:                              ; =>This Inner Loop Header: Depth=1
	v_add_u32_e32 v10, -8, v7
	scratch_load_dwordx4 v[10:13], v10, off
	v_mov_b32_e32 v94, s10
	ds_read_b128 v[94:97], v94
	v_add_u32_e32 v6, -1, v6
	s_add_i32 s10, s10, 16
	v_cmp_eq_u32_e32 vcc, 0, v6
	v_add_u32_e32 v7, 16, v7
	s_or_b64 s[2:3], vcc, s[2:3]
	s_waitcnt vmcnt(0) lgkmcnt(0)
	v_mul_f64 v[98:99], v[96:97], v[12:13]
	v_mul_f64 v[12:13], v[94:95], v[12:13]
	v_fma_f64 v[94:95], v[94:95], v[10:11], -v[98:99]
	v_fmac_f64_e32 v[12:13], v[96:97], v[10:11]
	v_add_f64 v[2:3], v[2:3], v[94:95]
	v_add_f64 v[4:5], v[4:5], v[12:13]
	s_andn2_b64 exec, exec, s[2:3]
	s_cbranch_execnz .LBB90_24
; %bb.25:
	s_or_b64 exec, exec, s[2:3]
.LBB90_26:
	s_or_b64 exec, exec, s[8:9]
	v_mov_b32_e32 v6, 0
	ds_read_b128 v[10:13], v6 offset:368
	s_waitcnt lgkmcnt(0)
	v_mul_f64 v[6:7], v[4:5], v[12:13]
	v_mul_f64 v[96:97], v[2:3], v[12:13]
	v_fma_f64 v[94:95], v[2:3], v[10:11], -v[6:7]
	v_fmac_f64_e32 v[96:97], v[4:5], v[10:11]
	scratch_store_dwordx4 off, v[94:97], off offset:368
.LBB90_27:
	s_or_b64 exec, exec, s[4:5]
	scratch_load_dwordx4 v[2:5], v72, off
	v_cmp_lt_u32_e64 s[2:3], 22, v0
	s_waitcnt vmcnt(0)
	ds_write_b128 v9, v[2:5]
	s_waitcnt lgkmcnt(0)
	; wave barrier
	s_waitcnt lgkmcnt(0)
	s_and_saveexec_b64 s[4:5], s[2:3]
	s_cbranch_execz .LBB90_35
; %bb.28:
	ds_read_b128 v[2:5], v9
	s_andn2_b64 vcc, exec, s[6:7]
	s_cbranch_vccnz .LBB90_30
; %bb.29:
	scratch_load_dwordx4 v[10:13], v8, off
	s_waitcnt vmcnt(0) lgkmcnt(0)
	v_mul_f64 v[6:7], v[4:5], v[12:13]
	v_mul_f64 v[12:13], v[2:3], v[12:13]
	v_fmac_f64_e32 v[12:13], v[4:5], v[10:11]
	v_fma_f64 v[2:3], v[2:3], v[10:11], -v[6:7]
	v_mov_b64_e32 v[4:5], v[12:13]
.LBB90_30:
	s_and_saveexec_b64 s[8:9], s[0:1]
	s_cbranch_execz .LBB90_34
; %bb.31:
	v_mov_b32_e32 v7, 0
	v_subrev_u32_e32 v6, 23, v0
	v_add_u32_e32 v7, 0x178, v7
	s_movk_i32 s10, 0x320
	s_mov_b64 s[0:1], 0
.LBB90_32:                              ; =>This Inner Loop Header: Depth=1
	v_add_u32_e32 v10, -8, v7
	scratch_load_dwordx4 v[10:13], v10, off
	v_mov_b32_e32 v94, s10
	ds_read_b128 v[94:97], v94
	v_add_u32_e32 v6, -1, v6
	s_add_i32 s10, s10, 16
	v_cmp_eq_u32_e32 vcc, 0, v6
	v_add_u32_e32 v7, 16, v7
	s_or_b64 s[0:1], vcc, s[0:1]
	s_waitcnt vmcnt(0) lgkmcnt(0)
	v_mul_f64 v[98:99], v[96:97], v[12:13]
	v_mul_f64 v[12:13], v[94:95], v[12:13]
	v_fma_f64 v[94:95], v[94:95], v[10:11], -v[98:99]
	v_fmac_f64_e32 v[12:13], v[96:97], v[10:11]
	v_add_f64 v[2:3], v[2:3], v[94:95]
	v_add_f64 v[4:5], v[4:5], v[12:13]
	s_andn2_b64 exec, exec, s[0:1]
	s_cbranch_execnz .LBB90_32
; %bb.33:
	s_or_b64 exec, exec, s[0:1]
.LBB90_34:
	s_or_b64 exec, exec, s[8:9]
	v_mov_b32_e32 v6, 0
	ds_read_b128 v[10:13], v6 offset:352
	s_waitcnt lgkmcnt(0)
	v_mul_f64 v[6:7], v[4:5], v[12:13]
	v_mul_f64 v[96:97], v[2:3], v[12:13]
	v_fma_f64 v[94:95], v[2:3], v[10:11], -v[6:7]
	v_fmac_f64_e32 v[96:97], v[4:5], v[10:11]
	scratch_store_dwordx4 off, v[94:97], off offset:352
.LBB90_35:
	;; [unrolled: 63-line block ×8, first 2 shown]
	s_or_b64 exec, exec, s[4:5]
	scratch_load_dwordx4 v[2:5], v78, off
	v_cmp_lt_u32_e64 s[0:1], 15, v0
	s_waitcnt vmcnt(0)
	ds_write_b128 v9, v[2:5]
	s_waitcnt lgkmcnt(0)
	; wave barrier
	s_waitcnt lgkmcnt(0)
	s_and_saveexec_b64 s[4:5], s[0:1]
	s_cbranch_execz .LBB90_91
; %bb.84:
	ds_read_b128 v[2:5], v9
	s_andn2_b64 vcc, exec, s[6:7]
	s_cbranch_vccnz .LBB90_86
; %bb.85:
	scratch_load_dwordx4 v[10:13], v8, off
	s_waitcnt vmcnt(0) lgkmcnt(0)
	v_mul_f64 v[6:7], v[4:5], v[12:13]
	v_mul_f64 v[12:13], v[2:3], v[12:13]
	v_fmac_f64_e32 v[12:13], v[4:5], v[10:11]
	v_fma_f64 v[2:3], v[2:3], v[10:11], -v[6:7]
	v_mov_b64_e32 v[4:5], v[12:13]
.LBB90_86:
	s_and_saveexec_b64 s[8:9], s[2:3]
	s_cbranch_execz .LBB90_90
; %bb.87:
	v_mov_b32_e32 v7, 0
	v_add_u32_e32 v6, -16, v0
	v_add_u32_e32 v7, 0x108, v7
	s_movk_i32 s10, 0x2b0
	s_mov_b64 s[2:3], 0
.LBB90_88:                              ; =>This Inner Loop Header: Depth=1
	v_add_u32_e32 v10, -8, v7
	scratch_load_dwordx4 v[10:13], v10, off
	v_mov_b32_e32 v94, s10
	ds_read_b128 v[94:97], v94
	v_add_u32_e32 v6, -1, v6
	s_add_i32 s10, s10, 16
	v_cmp_eq_u32_e32 vcc, 0, v6
	v_add_u32_e32 v7, 16, v7
	s_or_b64 s[2:3], vcc, s[2:3]
	s_waitcnt vmcnt(0) lgkmcnt(0)
	v_mul_f64 v[98:99], v[96:97], v[12:13]
	v_mul_f64 v[12:13], v[94:95], v[12:13]
	v_fma_f64 v[94:95], v[94:95], v[10:11], -v[98:99]
	v_fmac_f64_e32 v[12:13], v[96:97], v[10:11]
	v_add_f64 v[2:3], v[2:3], v[94:95]
	v_add_f64 v[4:5], v[4:5], v[12:13]
	s_andn2_b64 exec, exec, s[2:3]
	s_cbranch_execnz .LBB90_88
; %bb.89:
	s_or_b64 exec, exec, s[2:3]
.LBB90_90:
	s_or_b64 exec, exec, s[8:9]
	v_mov_b32_e32 v6, 0
	ds_read_b128 v[10:13], v6 offset:240
	s_waitcnt lgkmcnt(0)
	v_mul_f64 v[6:7], v[4:5], v[12:13]
	v_mul_f64 v[96:97], v[2:3], v[12:13]
	v_fma_f64 v[94:95], v[2:3], v[10:11], -v[6:7]
	v_fmac_f64_e32 v[96:97], v[4:5], v[10:11]
	scratch_store_dwordx4 off, v[94:97], off offset:240
.LBB90_91:
	s_or_b64 exec, exec, s[4:5]
	scratch_load_dwordx4 v[2:5], v80, off
	v_cmp_lt_u32_e64 s[2:3], 14, v0
	s_waitcnt vmcnt(0)
	ds_write_b128 v9, v[2:5]
	s_waitcnt lgkmcnt(0)
	; wave barrier
	s_waitcnt lgkmcnt(0)
	s_and_saveexec_b64 s[4:5], s[2:3]
	s_cbranch_execz .LBB90_99
; %bb.92:
	ds_read_b128 v[2:5], v9
	s_andn2_b64 vcc, exec, s[6:7]
	s_cbranch_vccnz .LBB90_94
; %bb.93:
	scratch_load_dwordx4 v[10:13], v8, off
	s_waitcnt vmcnt(0) lgkmcnt(0)
	v_mul_f64 v[6:7], v[4:5], v[12:13]
	v_mul_f64 v[12:13], v[2:3], v[12:13]
	v_fmac_f64_e32 v[12:13], v[4:5], v[10:11]
	v_fma_f64 v[2:3], v[2:3], v[10:11], -v[6:7]
	v_mov_b64_e32 v[4:5], v[12:13]
.LBB90_94:
	s_and_saveexec_b64 s[8:9], s[0:1]
	s_cbranch_execz .LBB90_98
; %bb.95:
	v_mov_b32_e32 v7, 0
	v_add_u32_e32 v6, -15, v0
	v_add_u32_e32 v7, 0xf8, v7
	s_movk_i32 s10, 0x2a0
	s_mov_b64 s[0:1], 0
.LBB90_96:                              ; =>This Inner Loop Header: Depth=1
	v_add_u32_e32 v10, -8, v7
	scratch_load_dwordx4 v[10:13], v10, off
	v_mov_b32_e32 v94, s10
	ds_read_b128 v[94:97], v94
	v_add_u32_e32 v6, -1, v6
	s_add_i32 s10, s10, 16
	v_cmp_eq_u32_e32 vcc, 0, v6
	v_add_u32_e32 v7, 16, v7
	s_or_b64 s[0:1], vcc, s[0:1]
	s_waitcnt vmcnt(0) lgkmcnt(0)
	v_mul_f64 v[98:99], v[96:97], v[12:13]
	v_mul_f64 v[12:13], v[94:95], v[12:13]
	v_fma_f64 v[94:95], v[94:95], v[10:11], -v[98:99]
	v_fmac_f64_e32 v[12:13], v[96:97], v[10:11]
	v_add_f64 v[2:3], v[2:3], v[94:95]
	v_add_f64 v[4:5], v[4:5], v[12:13]
	s_andn2_b64 exec, exec, s[0:1]
	s_cbranch_execnz .LBB90_96
; %bb.97:
	s_or_b64 exec, exec, s[0:1]
.LBB90_98:
	s_or_b64 exec, exec, s[8:9]
	v_mov_b32_e32 v6, 0
	ds_read_b128 v[10:13], v6 offset:224
	s_waitcnt lgkmcnt(0)
	v_mul_f64 v[6:7], v[4:5], v[12:13]
	v_mul_f64 v[96:97], v[2:3], v[12:13]
	v_fma_f64 v[94:95], v[2:3], v[10:11], -v[6:7]
	v_fmac_f64_e32 v[96:97], v[4:5], v[10:11]
	scratch_store_dwordx4 off, v[94:97], off offset:224
.LBB90_99:
	s_or_b64 exec, exec, s[4:5]
	scratch_load_dwordx4 v[2:5], v81, off
	v_cmp_lt_u32_e64 s[0:1], 13, v0
	s_waitcnt vmcnt(0)
	ds_write_b128 v9, v[2:5]
	s_waitcnt lgkmcnt(0)
	; wave barrier
	s_waitcnt lgkmcnt(0)
	s_and_saveexec_b64 s[4:5], s[0:1]
	s_cbranch_execz .LBB90_107
; %bb.100:
	ds_read_b128 v[2:5], v9
	s_andn2_b64 vcc, exec, s[6:7]
	s_cbranch_vccnz .LBB90_102
; %bb.101:
	scratch_load_dwordx4 v[10:13], v8, off
	s_waitcnt vmcnt(0) lgkmcnt(0)
	v_mul_f64 v[6:7], v[4:5], v[12:13]
	v_mul_f64 v[12:13], v[2:3], v[12:13]
	v_fmac_f64_e32 v[12:13], v[4:5], v[10:11]
	v_fma_f64 v[2:3], v[2:3], v[10:11], -v[6:7]
	v_mov_b64_e32 v[4:5], v[12:13]
.LBB90_102:
	s_and_saveexec_b64 s[8:9], s[2:3]
	s_cbranch_execz .LBB90_106
; %bb.103:
	v_mov_b32_e32 v7, 0
	v_add_u32_e32 v6, -14, v0
	v_add_u32_e32 v7, 0xe8, v7
	s_movk_i32 s10, 0x290
	s_mov_b64 s[2:3], 0
.LBB90_104:                             ; =>This Inner Loop Header: Depth=1
	v_add_u32_e32 v10, -8, v7
	scratch_load_dwordx4 v[10:13], v10, off
	v_mov_b32_e32 v94, s10
	ds_read_b128 v[94:97], v94
	v_add_u32_e32 v6, -1, v6
	s_add_i32 s10, s10, 16
	v_cmp_eq_u32_e32 vcc, 0, v6
	v_add_u32_e32 v7, 16, v7
	s_or_b64 s[2:3], vcc, s[2:3]
	s_waitcnt vmcnt(0) lgkmcnt(0)
	v_mul_f64 v[98:99], v[96:97], v[12:13]
	v_mul_f64 v[12:13], v[94:95], v[12:13]
	v_fma_f64 v[94:95], v[94:95], v[10:11], -v[98:99]
	v_fmac_f64_e32 v[12:13], v[96:97], v[10:11]
	v_add_f64 v[2:3], v[2:3], v[94:95]
	v_add_f64 v[4:5], v[4:5], v[12:13]
	s_andn2_b64 exec, exec, s[2:3]
	s_cbranch_execnz .LBB90_104
; %bb.105:
	s_or_b64 exec, exec, s[2:3]
.LBB90_106:
	s_or_b64 exec, exec, s[8:9]
	v_mov_b32_e32 v6, 0
	ds_read_b128 v[10:13], v6 offset:208
	s_waitcnt lgkmcnt(0)
	v_mul_f64 v[6:7], v[4:5], v[12:13]
	v_mul_f64 v[96:97], v[2:3], v[12:13]
	v_fma_f64 v[94:95], v[2:3], v[10:11], -v[6:7]
	v_fmac_f64_e32 v[96:97], v[4:5], v[10:11]
	scratch_store_dwordx4 off, v[94:97], off offset:208
.LBB90_107:
	s_or_b64 exec, exec, s[4:5]
	scratch_load_dwordx4 v[2:5], v86, off
	v_cmp_lt_u32_e64 s[2:3], 12, v0
	s_waitcnt vmcnt(0)
	ds_write_b128 v9, v[2:5]
	s_waitcnt lgkmcnt(0)
	; wave barrier
	s_waitcnt lgkmcnt(0)
	s_and_saveexec_b64 s[4:5], s[2:3]
	s_cbranch_execz .LBB90_115
; %bb.108:
	ds_read_b128 v[2:5], v9
	s_andn2_b64 vcc, exec, s[6:7]
	s_cbranch_vccnz .LBB90_110
; %bb.109:
	scratch_load_dwordx4 v[10:13], v8, off
	s_waitcnt vmcnt(0) lgkmcnt(0)
	v_mul_f64 v[6:7], v[4:5], v[12:13]
	v_mul_f64 v[12:13], v[2:3], v[12:13]
	v_fmac_f64_e32 v[12:13], v[4:5], v[10:11]
	v_fma_f64 v[2:3], v[2:3], v[10:11], -v[6:7]
	v_mov_b64_e32 v[4:5], v[12:13]
.LBB90_110:
	s_and_saveexec_b64 s[8:9], s[0:1]
	s_cbranch_execz .LBB90_114
; %bb.111:
	v_mov_b32_e32 v7, 0
	v_add_u32_e32 v6, -13, v0
	v_add_u32_e32 v7, 0xd8, v7
	s_movk_i32 s10, 0x280
	s_mov_b64 s[0:1], 0
.LBB90_112:                             ; =>This Inner Loop Header: Depth=1
	v_add_u32_e32 v10, -8, v7
	scratch_load_dwordx4 v[10:13], v10, off
	v_mov_b32_e32 v94, s10
	ds_read_b128 v[94:97], v94
	v_add_u32_e32 v6, -1, v6
	s_add_i32 s10, s10, 16
	v_cmp_eq_u32_e32 vcc, 0, v6
	v_add_u32_e32 v7, 16, v7
	s_or_b64 s[0:1], vcc, s[0:1]
	s_waitcnt vmcnt(0) lgkmcnt(0)
	v_mul_f64 v[98:99], v[96:97], v[12:13]
	v_mul_f64 v[12:13], v[94:95], v[12:13]
	v_fma_f64 v[94:95], v[94:95], v[10:11], -v[98:99]
	v_fmac_f64_e32 v[12:13], v[96:97], v[10:11]
	v_add_f64 v[2:3], v[2:3], v[94:95]
	v_add_f64 v[4:5], v[4:5], v[12:13]
	s_andn2_b64 exec, exec, s[0:1]
	s_cbranch_execnz .LBB90_112
; %bb.113:
	s_or_b64 exec, exec, s[0:1]
.LBB90_114:
	s_or_b64 exec, exec, s[8:9]
	v_mov_b32_e32 v6, 0
	ds_read_b128 v[10:13], v6 offset:192
	s_waitcnt lgkmcnt(0)
	v_mul_f64 v[6:7], v[4:5], v[12:13]
	v_mul_f64 v[96:97], v[2:3], v[12:13]
	v_fma_f64 v[94:95], v[2:3], v[10:11], -v[6:7]
	v_fmac_f64_e32 v[96:97], v[4:5], v[10:11]
	scratch_store_dwordx4 off, v[94:97], off offset:192
.LBB90_115:
	;; [unrolled: 63-line block ×13, first 2 shown]
	s_or_b64 exec, exec, s[4:5]
	scratch_load_dwordx4 v[2:5], off, off
	v_cmp_ne_u32_e32 vcc, 0, v0
	s_mov_b64 s[2:3], 0
	s_mov_b64 s[4:5], 0
                                        ; implicit-def: $vgpr6_vgpr7
                                        ; implicit-def: $vgpr10
	s_waitcnt vmcnt(0)
	ds_write_b128 v9, v[2:5]
	s_waitcnt lgkmcnt(0)
	; wave barrier
	s_waitcnt lgkmcnt(0)
	s_and_saveexec_b64 s[8:9], vcc
	s_cbranch_execz .LBB90_211
; %bb.204:
	ds_read_b128 v[2:5], v9
	s_andn2_b64 vcc, exec, s[6:7]
	s_cbranch_vccnz .LBB90_206
; %bb.205:
	scratch_load_dwordx4 v[10:13], v8, off
	s_waitcnt vmcnt(0) lgkmcnt(0)
	v_mul_f64 v[6:7], v[4:5], v[12:13]
	v_mul_f64 v[12:13], v[2:3], v[12:13]
	v_fmac_f64_e32 v[12:13], v[4:5], v[10:11]
	v_fma_f64 v[2:3], v[2:3], v[10:11], -v[6:7]
	v_mov_b64_e32 v[4:5], v[12:13]
.LBB90_206:
	s_and_saveexec_b64 s[4:5], s[0:1]
	s_cbranch_execz .LBB90_210
; %bb.207:
	v_mov_b32_e32 v7, 0
	v_add_u32_e32 v6, -1, v0
	v_add_u32_e32 v7, 24, v7
	s_movk_i32 s10, 0x1c0
	s_mov_b64 s[0:1], 0
.LBB90_208:                             ; =>This Inner Loop Header: Depth=1
	v_add_u32_e32 v10, -8, v7
	scratch_load_dwordx4 v[10:13], v10, off
	v_mov_b32_e32 v94, s10
	ds_read_b128 v[94:97], v94
	v_add_u32_e32 v6, -1, v6
	s_add_i32 s10, s10, 16
	v_cmp_eq_u32_e32 vcc, 0, v6
	v_add_u32_e32 v7, 16, v7
	s_or_b64 s[0:1], vcc, s[0:1]
	s_waitcnt vmcnt(0) lgkmcnt(0)
	v_mul_f64 v[98:99], v[96:97], v[12:13]
	v_mul_f64 v[12:13], v[94:95], v[12:13]
	v_fma_f64 v[94:95], v[94:95], v[10:11], -v[98:99]
	v_fmac_f64_e32 v[12:13], v[96:97], v[10:11]
	v_add_f64 v[2:3], v[2:3], v[94:95]
	v_add_f64 v[4:5], v[4:5], v[12:13]
	s_andn2_b64 exec, exec, s[0:1]
	s_cbranch_execnz .LBB90_208
; %bb.209:
	s_or_b64 exec, exec, s[0:1]
.LBB90_210:
	s_or_b64 exec, exec, s[4:5]
	v_mov_b32_e32 v6, 0
	ds_read_b128 v[94:97], v6
	v_mov_b32_e32 v6, 0
	v_or_b32_e32 v10, 8, v6
	s_mov_b64 s[4:5], exec
	s_waitcnt lgkmcnt(0)
	v_mul_f64 v[12:13], v[4:5], v[96:97]
	v_mul_f64 v[6:7], v[2:3], v[96:97]
	v_fma_f64 v[2:3], v[2:3], v[94:95], -v[12:13]
	v_fmac_f64_e32 v[6:7], v[4:5], v[94:95]
	scratch_store_dwordx2 off, v[2:3], off
.LBB90_211:
	s_or_b64 exec, exec, s[8:9]
	s_and_b64 vcc, exec, s[2:3]
	s_cbranch_vccnz .LBB90_213
	s_branch .LBB90_416
.LBB90_212:
	s_mov_b64 s[4:5], 0
                                        ; implicit-def: $vgpr6_vgpr7
                                        ; implicit-def: $vgpr10
	s_cbranch_execz .LBB90_416
.LBB90_213:
	scratch_load_dwordx4 v[2:5], v84, off
	v_cndmask_b32_e64 v6, 0, 1, s[6:7]
	v_cmp_eq_u32_e64 s[2:3], 0, v0
	v_cmp_ne_u32_e64 s[0:1], 1, v6
	s_waitcnt vmcnt(0)
	ds_write_b128 v9, v[2:5]
	s_waitcnt lgkmcnt(0)
	; wave barrier
	s_waitcnt lgkmcnt(0)
	s_and_saveexec_b64 s[6:7], s[2:3]
	s_cbranch_execz .LBB90_217
; %bb.214:
	ds_read_b128 v[2:5], v9
	s_and_b64 vcc, exec, s[0:1]
	s_cbranch_vccnz .LBB90_216
; %bb.215:
	scratch_load_dwordx4 v[10:13], v8, off
	s_waitcnt vmcnt(0) lgkmcnt(0)
	v_mul_f64 v[6:7], v[4:5], v[12:13]
	v_mul_f64 v[12:13], v[2:3], v[12:13]
	v_fmac_f64_e32 v[12:13], v[4:5], v[10:11]
	v_fma_f64 v[2:3], v[2:3], v[10:11], -v[6:7]
	v_mov_b64_e32 v[4:5], v[12:13]
.LBB90_216:
	v_mov_b32_e32 v6, 0
	ds_read_b128 v[10:13], v6 offset:16
	s_waitcnt lgkmcnt(0)
	v_mul_f64 v[6:7], v[4:5], v[12:13]
	v_mul_f64 v[96:97], v[2:3], v[12:13]
	v_fma_f64 v[94:95], v[2:3], v[10:11], -v[6:7]
	v_fmac_f64_e32 v[96:97], v[4:5], v[10:11]
	scratch_store_dwordx4 off, v[94:97], off offset:16
.LBB90_217:
	s_or_b64 exec, exec, s[6:7]
	scratch_load_dwordx4 v[2:5], v91, off
	v_cmp_gt_u32_e32 vcc, 2, v0
	s_waitcnt vmcnt(0)
	ds_write_b128 v9, v[2:5]
	s_waitcnt lgkmcnt(0)
	; wave barrier
	s_waitcnt lgkmcnt(0)
	s_and_saveexec_b64 s[6:7], vcc
	s_cbranch_execz .LBB90_223
; %bb.218:
	ds_read_b128 v[2:5], v9
	s_and_b64 vcc, exec, s[0:1]
	s_cbranch_vccnz .LBB90_220
; %bb.219:
	scratch_load_dwordx4 v[10:13], v8, off
	s_waitcnt vmcnt(0) lgkmcnt(0)
	v_mul_f64 v[6:7], v[4:5], v[12:13]
	v_mul_f64 v[12:13], v[2:3], v[12:13]
	v_fmac_f64_e32 v[12:13], v[4:5], v[10:11]
	v_fma_f64 v[2:3], v[2:3], v[10:11], -v[6:7]
	v_mov_b64_e32 v[4:5], v[12:13]
.LBB90_220:
	s_and_saveexec_b64 s[8:9], s[2:3]
	s_cbranch_execz .LBB90_222
; %bb.221:
	scratch_load_dwordx4 v[10:13], v8, off offset:16
	ds_read_b128 v[94:97], v9 offset:16
	s_waitcnt vmcnt(0) lgkmcnt(0)
	v_mul_f64 v[6:7], v[96:97], v[12:13]
	v_mul_f64 v[12:13], v[94:95], v[12:13]
	v_fma_f64 v[6:7], v[94:95], v[10:11], -v[6:7]
	v_fmac_f64_e32 v[12:13], v[96:97], v[10:11]
	v_add_f64 v[2:3], v[2:3], v[6:7]
	v_add_f64 v[4:5], v[4:5], v[12:13]
.LBB90_222:
	s_or_b64 exec, exec, s[8:9]
	v_mov_b32_e32 v6, 0
	ds_read_b128 v[10:13], v6 offset:32
	s_waitcnt lgkmcnt(0)
	v_mul_f64 v[6:7], v[4:5], v[12:13]
	v_mul_f64 v[96:97], v[2:3], v[12:13]
	v_fma_f64 v[94:95], v[2:3], v[10:11], -v[6:7]
	v_fmac_f64_e32 v[96:97], v[4:5], v[10:11]
	scratch_store_dwordx4 off, v[94:97], off offset:32
.LBB90_223:
	s_or_b64 exec, exec, s[6:7]
	scratch_load_dwordx4 v[2:5], v83, off
	v_cmp_gt_u32_e32 vcc, 3, v0
	s_waitcnt vmcnt(0)
	ds_write_b128 v9, v[2:5]
	s_waitcnt lgkmcnt(0)
	; wave barrier
	s_waitcnt lgkmcnt(0)
	s_and_saveexec_b64 s[6:7], vcc
	s_cbranch_execz .LBB90_231
; %bb.224:
	ds_read_b128 v[2:5], v9
	s_and_b64 vcc, exec, s[0:1]
	s_cbranch_vccnz .LBB90_226
; %bb.225:
	scratch_load_dwordx4 v[10:13], v8, off
	s_waitcnt vmcnt(0) lgkmcnt(0)
	v_mul_f64 v[6:7], v[4:5], v[12:13]
	v_mul_f64 v[12:13], v[2:3], v[12:13]
	v_fmac_f64_e32 v[12:13], v[4:5], v[10:11]
	v_fma_f64 v[2:3], v[2:3], v[10:11], -v[6:7]
	v_mov_b64_e32 v[4:5], v[12:13]
.LBB90_226:
	v_cmp_ne_u32_e32 vcc, 2, v0
	s_and_saveexec_b64 s[8:9], vcc
	s_cbranch_execz .LBB90_230
; %bb.227:
	scratch_load_dwordx4 v[10:13], v8, off offset:16
	ds_read_b128 v[94:97], v9 offset:16
	s_waitcnt vmcnt(0) lgkmcnt(0)
	v_mul_f64 v[6:7], v[96:97], v[12:13]
	v_mul_f64 v[12:13], v[94:95], v[12:13]
	v_fma_f64 v[6:7], v[94:95], v[10:11], -v[6:7]
	v_fmac_f64_e32 v[12:13], v[96:97], v[10:11]
	v_add_f64 v[2:3], v[2:3], v[6:7]
	v_add_f64 v[4:5], v[4:5], v[12:13]
	s_and_saveexec_b64 s[10:11], s[2:3]
	s_cbranch_execz .LBB90_229
; %bb.228:
	scratch_load_dwordx4 v[10:13], off, off offset:32
	v_mov_b32_e32 v6, 0
	ds_read_b128 v[94:97], v6 offset:464
	s_waitcnt vmcnt(0) lgkmcnt(0)
	v_mul_f64 v[6:7], v[94:95], v[12:13]
	v_mul_f64 v[12:13], v[96:97], v[12:13]
	v_fmac_f64_e32 v[6:7], v[96:97], v[10:11]
	v_fma_f64 v[10:11], v[94:95], v[10:11], -v[12:13]
	v_add_f64 v[4:5], v[4:5], v[6:7]
	v_add_f64 v[2:3], v[2:3], v[10:11]
.LBB90_229:
	s_or_b64 exec, exec, s[10:11]
.LBB90_230:
	s_or_b64 exec, exec, s[8:9]
	v_mov_b32_e32 v6, 0
	ds_read_b128 v[10:13], v6 offset:48
	s_waitcnt lgkmcnt(0)
	v_mul_f64 v[6:7], v[4:5], v[12:13]
	v_mul_f64 v[96:97], v[2:3], v[12:13]
	v_fma_f64 v[94:95], v[2:3], v[10:11], -v[6:7]
	v_fmac_f64_e32 v[96:97], v[4:5], v[10:11]
	scratch_store_dwordx4 off, v[94:97], off offset:48
.LBB90_231:
	s_or_b64 exec, exec, s[6:7]
	scratch_load_dwordx4 v[2:5], v90, off
	v_cmp_gt_u32_e32 vcc, 4, v0
	s_waitcnt vmcnt(0)
	ds_write_b128 v9, v[2:5]
	s_waitcnt lgkmcnt(0)
	; wave barrier
	s_waitcnt lgkmcnt(0)
	s_and_saveexec_b64 s[2:3], vcc
	s_cbranch_execz .LBB90_239
; %bb.232:
	ds_read_b128 v[2:5], v9
	s_and_b64 vcc, exec, s[0:1]
	s_cbranch_vccnz .LBB90_234
; %bb.233:
	scratch_load_dwordx4 v[10:13], v8, off
	s_waitcnt vmcnt(0) lgkmcnt(0)
	v_mul_f64 v[6:7], v[4:5], v[12:13]
	v_mul_f64 v[12:13], v[2:3], v[12:13]
	v_fmac_f64_e32 v[12:13], v[4:5], v[10:11]
	v_fma_f64 v[2:3], v[2:3], v[10:11], -v[6:7]
	v_mov_b64_e32 v[4:5], v[12:13]
.LBB90_234:
	v_cmp_ne_u32_e32 vcc, 3, v0
	s_and_saveexec_b64 s[6:7], vcc
	s_cbranch_execz .LBB90_238
; %bb.235:
	v_mov_b32_e32 v7, 0
	v_add_u32_e32 v6, 0x1c0, v58
	v_add3_u32 v7, v58, v7, 24
	s_mov_b64 s[8:9], 0
	v_mov_b32_e32 v10, v0
.LBB90_236:                             ; =>This Inner Loop Header: Depth=1
	v_add_u32_e32 v11, -8, v7
	scratch_load_dwordx4 v[94:97], v11, off
	ds_read_b128 v[98:101], v6
	v_add_u32_e32 v10, 1, v10
	v_cmp_lt_u32_e32 vcc, 2, v10
	v_add_u32_e32 v6, 16, v6
	v_add_u32_e32 v7, 16, v7
	s_or_b64 s[8:9], vcc, s[8:9]
	s_waitcnt vmcnt(0) lgkmcnt(0)
	v_mul_f64 v[12:13], v[100:101], v[96:97]
	v_mul_f64 v[96:97], v[98:99], v[96:97]
	v_fma_f64 v[12:13], v[98:99], v[94:95], -v[12:13]
	v_fmac_f64_e32 v[96:97], v[100:101], v[94:95]
	v_add_f64 v[2:3], v[2:3], v[12:13]
	v_add_f64 v[4:5], v[4:5], v[96:97]
	s_andn2_b64 exec, exec, s[8:9]
	s_cbranch_execnz .LBB90_236
; %bb.237:
	s_or_b64 exec, exec, s[8:9]
.LBB90_238:
	s_or_b64 exec, exec, s[6:7]
	v_mov_b32_e32 v6, 0
	ds_read_b128 v[10:13], v6 offset:64
	s_waitcnt lgkmcnt(0)
	v_mul_f64 v[6:7], v[4:5], v[12:13]
	v_mul_f64 v[96:97], v[2:3], v[12:13]
	v_fma_f64 v[94:95], v[2:3], v[10:11], -v[6:7]
	v_fmac_f64_e32 v[96:97], v[4:5], v[10:11]
	scratch_store_dwordx4 off, v[94:97], off offset:64
.LBB90_239:
	s_or_b64 exec, exec, s[2:3]
	scratch_load_dwordx4 v[2:5], v82, off
	v_cmp_gt_u32_e32 vcc, 5, v0
	s_waitcnt vmcnt(0)
	ds_write_b128 v9, v[2:5]
	s_waitcnt lgkmcnt(0)
	; wave barrier
	s_waitcnt lgkmcnt(0)
	s_and_saveexec_b64 s[2:3], vcc
	s_cbranch_execz .LBB90_247
; %bb.240:
	ds_read_b128 v[2:5], v9
	s_and_b64 vcc, exec, s[0:1]
	s_cbranch_vccnz .LBB90_242
; %bb.241:
	scratch_load_dwordx4 v[10:13], v8, off
	s_waitcnt vmcnt(0) lgkmcnt(0)
	v_mul_f64 v[6:7], v[4:5], v[12:13]
	v_mul_f64 v[12:13], v[2:3], v[12:13]
	v_fmac_f64_e32 v[12:13], v[4:5], v[10:11]
	v_fma_f64 v[2:3], v[2:3], v[10:11], -v[6:7]
	v_mov_b64_e32 v[4:5], v[12:13]
.LBB90_242:
	v_cmp_ne_u32_e32 vcc, 4, v0
	s_and_saveexec_b64 s[6:7], vcc
	s_cbranch_execz .LBB90_246
; %bb.243:
	v_mov_b32_e32 v7, 0
	v_add_u32_e32 v6, 0x1c0, v58
	v_add3_u32 v7, v58, v7, 24
	s_mov_b64 s[8:9], 0
	v_mov_b32_e32 v10, v0
.LBB90_244:                             ; =>This Inner Loop Header: Depth=1
	v_add_u32_e32 v11, -8, v7
	scratch_load_dwordx4 v[94:97], v11, off
	ds_read_b128 v[98:101], v6
	v_add_u32_e32 v10, 1, v10
	v_cmp_lt_u32_e32 vcc, 3, v10
	v_add_u32_e32 v6, 16, v6
	v_add_u32_e32 v7, 16, v7
	s_or_b64 s[8:9], vcc, s[8:9]
	s_waitcnt vmcnt(0) lgkmcnt(0)
	v_mul_f64 v[12:13], v[100:101], v[96:97]
	v_mul_f64 v[96:97], v[98:99], v[96:97]
	v_fma_f64 v[12:13], v[98:99], v[94:95], -v[12:13]
	v_fmac_f64_e32 v[96:97], v[100:101], v[94:95]
	v_add_f64 v[2:3], v[2:3], v[12:13]
	v_add_f64 v[4:5], v[4:5], v[96:97]
	s_andn2_b64 exec, exec, s[8:9]
	s_cbranch_execnz .LBB90_244
; %bb.245:
	s_or_b64 exec, exec, s[8:9]
.LBB90_246:
	s_or_b64 exec, exec, s[6:7]
	v_mov_b32_e32 v6, 0
	ds_read_b128 v[10:13], v6 offset:80
	s_waitcnt lgkmcnt(0)
	v_mul_f64 v[6:7], v[4:5], v[12:13]
	v_mul_f64 v[96:97], v[2:3], v[12:13]
	v_fma_f64 v[94:95], v[2:3], v[10:11], -v[6:7]
	v_fmac_f64_e32 v[96:97], v[4:5], v[10:11]
	scratch_store_dwordx4 off, v[94:97], off offset:80
.LBB90_247:
	;; [unrolled: 63-line block ×21, first 2 shown]
	s_or_b64 exec, exec, s[2:3]
	scratch_load_dwordx4 v[2:5], v59, off
	v_cmp_gt_u32_e64 s[2:3], 25, v0
	s_waitcnt vmcnt(0)
	ds_write_b128 v9, v[2:5]
	s_waitcnt lgkmcnt(0)
	; wave barrier
	s_waitcnt lgkmcnt(0)
	s_and_saveexec_b64 s[6:7], s[2:3]
	s_cbranch_execz .LBB90_407
; %bb.400:
	ds_read_b128 v[2:5], v9
	s_and_b64 vcc, exec, s[0:1]
	s_cbranch_vccnz .LBB90_402
; %bb.401:
	scratch_load_dwordx4 v[10:13], v8, off
	s_waitcnt vmcnt(0) lgkmcnt(0)
	v_mul_f64 v[6:7], v[4:5], v[12:13]
	v_mul_f64 v[12:13], v[2:3], v[12:13]
	v_fmac_f64_e32 v[12:13], v[4:5], v[10:11]
	v_fma_f64 v[2:3], v[2:3], v[10:11], -v[6:7]
	v_mov_b64_e32 v[4:5], v[12:13]
.LBB90_402:
	v_cmp_ne_u32_e32 vcc, 24, v0
	s_and_saveexec_b64 s[8:9], vcc
	s_cbranch_execz .LBB90_406
; %bb.403:
	v_mov_b32_e32 v7, 0
	v_add_u32_e32 v6, 0x1c0, v58
	v_add3_u32 v7, v58, v7, 24
	s_mov_b64 s[10:11], 0
	v_mov_b32_e32 v10, v0
.LBB90_404:                             ; =>This Inner Loop Header: Depth=1
	v_add_u32_e32 v11, -8, v7
	scratch_load_dwordx4 v[94:97], v11, off
	ds_read_b128 v[98:101], v6
	v_add_u32_e32 v10, 1, v10
	v_cmp_lt_u32_e32 vcc, 23, v10
	v_add_u32_e32 v6, 16, v6
	v_add_u32_e32 v7, 16, v7
	s_or_b64 s[10:11], vcc, s[10:11]
	s_waitcnt vmcnt(0) lgkmcnt(0)
	v_mul_f64 v[12:13], v[100:101], v[96:97]
	v_mul_f64 v[96:97], v[98:99], v[96:97]
	v_fma_f64 v[12:13], v[98:99], v[94:95], -v[12:13]
	v_fmac_f64_e32 v[96:97], v[100:101], v[94:95]
	v_add_f64 v[2:3], v[2:3], v[12:13]
	v_add_f64 v[4:5], v[4:5], v[96:97]
	s_andn2_b64 exec, exec, s[10:11]
	s_cbranch_execnz .LBB90_404
; %bb.405:
	s_or_b64 exec, exec, s[10:11]
.LBB90_406:
	s_or_b64 exec, exec, s[8:9]
	v_mov_b32_e32 v6, 0
	ds_read_b128 v[10:13], v6 offset:400
	s_waitcnt lgkmcnt(0)
	v_mul_f64 v[6:7], v[4:5], v[12:13]
	v_mul_f64 v[96:97], v[2:3], v[12:13]
	v_fma_f64 v[94:95], v[2:3], v[10:11], -v[6:7]
	v_fmac_f64_e32 v[96:97], v[4:5], v[10:11]
	scratch_store_dwordx4 off, v[94:97], off offset:400
.LBB90_407:
	s_or_b64 exec, exec, s[6:7]
	scratch_load_dwordx4 v[2:5], v1, off
	v_cmp_ne_u32_e32 vcc, 26, v0
                                        ; implicit-def: $vgpr6_vgpr7
                                        ; implicit-def: $vgpr10
	s_waitcnt vmcnt(0)
	ds_write_b128 v9, v[2:5]
	s_waitcnt lgkmcnt(0)
	; wave barrier
	s_waitcnt lgkmcnt(0)
	s_and_saveexec_b64 s[6:7], vcc
	s_cbranch_execz .LBB90_415
; %bb.408:
	ds_read_b128 v[2:5], v9
	s_and_b64 vcc, exec, s[0:1]
	s_cbranch_vccnz .LBB90_410
; %bb.409:
	scratch_load_dwordx4 v[6:9], v8, off
	s_waitcnt vmcnt(0) lgkmcnt(0)
	v_mul_f64 v[10:11], v[4:5], v[8:9]
	v_mul_f64 v[8:9], v[2:3], v[8:9]
	v_fmac_f64_e32 v[8:9], v[4:5], v[6:7]
	v_fma_f64 v[2:3], v[2:3], v[6:7], -v[10:11]
	v_mov_b64_e32 v[4:5], v[8:9]
.LBB90_410:
	s_and_saveexec_b64 s[0:1], s[2:3]
	s_cbranch_execz .LBB90_414
; %bb.411:
	v_mov_b32_e32 v7, 0
	v_add_u32_e32 v6, 0x1c0, v58
	v_add3_u32 v7, v58, v7, 24
	s_mov_b64 s[2:3], 0
.LBB90_412:                             ; =>This Inner Loop Header: Depth=1
	v_add_u32_e32 v8, -8, v7
	scratch_load_dwordx4 v[8:11], v8, off
	ds_read_b128 v[94:97], v6
	v_add_u32_e32 v0, 1, v0
	v_cmp_lt_u32_e32 vcc, 24, v0
	v_add_u32_e32 v6, 16, v6
	v_add_u32_e32 v7, 16, v7
	s_or_b64 s[2:3], vcc, s[2:3]
	s_waitcnt vmcnt(0) lgkmcnt(0)
	v_mul_f64 v[12:13], v[96:97], v[10:11]
	v_mul_f64 v[10:11], v[94:95], v[10:11]
	v_fma_f64 v[12:13], v[94:95], v[8:9], -v[12:13]
	v_fmac_f64_e32 v[10:11], v[96:97], v[8:9]
	v_add_f64 v[2:3], v[2:3], v[12:13]
	v_add_f64 v[4:5], v[4:5], v[10:11]
	s_andn2_b64 exec, exec, s[2:3]
	s_cbranch_execnz .LBB90_412
; %bb.413:
	s_or_b64 exec, exec, s[2:3]
.LBB90_414:
	s_or_b64 exec, exec, s[0:1]
	v_mov_b32_e32 v0, 0
	ds_read_b128 v[94:97], v0 offset:416
	v_mov_b32_e32 v0, 0
	v_add_u32_e32 v10, 0x1a8, v0
	s_or_b64 s[4:5], s[4:5], exec
	s_waitcnt lgkmcnt(0)
	v_mul_f64 v[8:9], v[4:5], v[96:97]
	v_mul_f64 v[6:7], v[2:3], v[96:97]
	v_fma_f64 v[2:3], v[2:3], v[94:95], -v[8:9]
	v_fmac_f64_e32 v[6:7], v[4:5], v[94:95]
	scratch_store_dwordx2 off, v[2:3], off offset:416
.LBB90_415:
	s_or_b64 exec, exec, s[6:7]
.LBB90_416:
	s_and_saveexec_b64 s[0:1], s[4:5]
	s_cbranch_execz .LBB90_418
; %bb.417:
	scratch_store_dwordx2 v10, v[6:7], off
.LBB90_418:
	s_or_b64 exec, exec, s[0:1]
	scratch_load_dwordx4 v[2:5], off, off
	scratch_load_dwordx4 v[6:9], v84, off
	scratch_load_dwordx4 v[10:13], v91, off
	;; [unrolled: 1-line block ×11, first 2 shown]
                                        ; kill: killed $vgpr91
                                        ; kill: killed $vgpr93
                                        ; kill: killed $vgpr90
                                        ; kill: killed $vgpr92
                                        ; kill: killed $vgpr89
                                        ; kill: killed $vgpr84
                                        ; kill: killed $vgpr88
                                        ; kill: killed $vgpr83
                                        ; kill: killed $vgpr87
                                        ; kill: killed $vgpr82
                                        ; kill: killed $vgpr85
	s_nop 0
	scratch_load_dwordx4 v[82:85], v86, off
	s_waitcnt vmcnt(12)
	global_store_dwordx4 v[16:17], v[2:5], off
	scratch_load_dwordx4 v[2:5], v81, off
	s_nop 0
	scratch_load_dwordx4 v[86:89], v80, off
	s_waitcnt vmcnt(14)
	global_store_dwordx4 v[14:15], v[6:9], off
	scratch_load_dwordx4 v[6:9], v78, off
	;; [unrolled: 5-line block ×5, first 2 shown]
	scratch_load_dwordx4 v[94:97], v72, off
	s_waitcnt vmcnt(22)
	global_store_dwordx4 v[24:25], v[102:105], off
	scratch_load_dwordx4 v[22:25], v71, off
	s_nop 0
	scratch_load_dwordx4 v[98:101], v70, off
	s_waitcnt vmcnt(24)
	global_store_dwordx4 v[26:27], v[106:109], off
	scratch_load_dwordx4 v[70:73], v59, off
	scratch_load_dwordx4 v[102:105], v1, off
	s_waitcnt vmcnt(26)
	global_store_dwordx4 v[28:29], v[110:113], off
	s_waitcnt vmcnt(26)
	global_store_dwordx4 v[30:31], v[114:117], off
	;; [unrolled: 2-line block ×20, first 2 shown]
.LBB90_419:
	s_endpgm
	.section	.rodata,"a",@progbits
	.p2align	6, 0x0
	.amdhsa_kernel _ZN9rocsolver6v33100L18trti2_kernel_smallILi27E19rocblas_complex_numIdEPKPS3_EEv13rocblas_fill_17rocblas_diagonal_T1_iil
		.amdhsa_group_segment_fixed_size 864
		.amdhsa_private_segment_fixed_size 448
		.amdhsa_kernarg_size 32
		.amdhsa_user_sgpr_count 2
		.amdhsa_user_sgpr_dispatch_ptr 0
		.amdhsa_user_sgpr_queue_ptr 0
		.amdhsa_user_sgpr_kernarg_segment_ptr 1
		.amdhsa_user_sgpr_dispatch_id 0
		.amdhsa_user_sgpr_kernarg_preload_length 0
		.amdhsa_user_sgpr_kernarg_preload_offset 0
		.amdhsa_user_sgpr_private_segment_size 0
		.amdhsa_uses_dynamic_stack 0
		.amdhsa_enable_private_segment 1
		.amdhsa_system_sgpr_workgroup_id_x 1
		.amdhsa_system_sgpr_workgroup_id_y 0
		.amdhsa_system_sgpr_workgroup_id_z 0
		.amdhsa_system_sgpr_workgroup_info 0
		.amdhsa_system_vgpr_workitem_id 0
		.amdhsa_next_free_vgpr 130
		.amdhsa_next_free_sgpr 12
		.amdhsa_accum_offset 132
		.amdhsa_reserve_vcc 1
		.amdhsa_float_round_mode_32 0
		.amdhsa_float_round_mode_16_64 0
		.amdhsa_float_denorm_mode_32 3
		.amdhsa_float_denorm_mode_16_64 3
		.amdhsa_dx10_clamp 1
		.amdhsa_ieee_mode 1
		.amdhsa_fp16_overflow 0
		.amdhsa_tg_split 0
		.amdhsa_exception_fp_ieee_invalid_op 0
		.amdhsa_exception_fp_denorm_src 0
		.amdhsa_exception_fp_ieee_div_zero 0
		.amdhsa_exception_fp_ieee_overflow 0
		.amdhsa_exception_fp_ieee_underflow 0
		.amdhsa_exception_fp_ieee_inexact 0
		.amdhsa_exception_int_div_zero 0
	.end_amdhsa_kernel
	.section	.text._ZN9rocsolver6v33100L18trti2_kernel_smallILi27E19rocblas_complex_numIdEPKPS3_EEv13rocblas_fill_17rocblas_diagonal_T1_iil,"axG",@progbits,_ZN9rocsolver6v33100L18trti2_kernel_smallILi27E19rocblas_complex_numIdEPKPS3_EEv13rocblas_fill_17rocblas_diagonal_T1_iil,comdat
.Lfunc_end90:
	.size	_ZN9rocsolver6v33100L18trti2_kernel_smallILi27E19rocblas_complex_numIdEPKPS3_EEv13rocblas_fill_17rocblas_diagonal_T1_iil, .Lfunc_end90-_ZN9rocsolver6v33100L18trti2_kernel_smallILi27E19rocblas_complex_numIdEPKPS3_EEv13rocblas_fill_17rocblas_diagonal_T1_iil
                                        ; -- End function
	.section	.AMDGPU.csdata,"",@progbits
; Kernel info:
; codeLenInByte = 17652
; NumSgprs: 18
; NumVgprs: 130
; NumAgprs: 0
; TotalNumVgprs: 130
; ScratchSize: 448
; MemoryBound: 0
; FloatMode: 240
; IeeeMode: 1
; LDSByteSize: 864 bytes/workgroup (compile time only)
; SGPRBlocks: 2
; VGPRBlocks: 16
; NumSGPRsForWavesPerEU: 18
; NumVGPRsForWavesPerEU: 130
; AccumOffset: 132
; Occupancy: 3
; WaveLimiterHint : 1
; COMPUTE_PGM_RSRC2:SCRATCH_EN: 1
; COMPUTE_PGM_RSRC2:USER_SGPR: 2
; COMPUTE_PGM_RSRC2:TRAP_HANDLER: 0
; COMPUTE_PGM_RSRC2:TGID_X_EN: 1
; COMPUTE_PGM_RSRC2:TGID_Y_EN: 0
; COMPUTE_PGM_RSRC2:TGID_Z_EN: 0
; COMPUTE_PGM_RSRC2:TIDIG_COMP_CNT: 0
; COMPUTE_PGM_RSRC3_GFX90A:ACCUM_OFFSET: 32
; COMPUTE_PGM_RSRC3_GFX90A:TG_SPLIT: 0
	.section	.text._ZN9rocsolver6v33100L18trti2_kernel_smallILi28E19rocblas_complex_numIdEPKPS3_EEv13rocblas_fill_17rocblas_diagonal_T1_iil,"axG",@progbits,_ZN9rocsolver6v33100L18trti2_kernel_smallILi28E19rocblas_complex_numIdEPKPS3_EEv13rocblas_fill_17rocblas_diagonal_T1_iil,comdat
	.globl	_ZN9rocsolver6v33100L18trti2_kernel_smallILi28E19rocblas_complex_numIdEPKPS3_EEv13rocblas_fill_17rocblas_diagonal_T1_iil ; -- Begin function _ZN9rocsolver6v33100L18trti2_kernel_smallILi28E19rocblas_complex_numIdEPKPS3_EEv13rocblas_fill_17rocblas_diagonal_T1_iil
	.p2align	8
	.type	_ZN9rocsolver6v33100L18trti2_kernel_smallILi28E19rocblas_complex_numIdEPKPS3_EEv13rocblas_fill_17rocblas_diagonal_T1_iil,@function
_ZN9rocsolver6v33100L18trti2_kernel_smallILi28E19rocblas_complex_numIdEPKPS3_EEv13rocblas_fill_17rocblas_diagonal_T1_iil: ; @_ZN9rocsolver6v33100L18trti2_kernel_smallILi28E19rocblas_complex_numIdEPKPS3_EEv13rocblas_fill_17rocblas_diagonal_T1_iil
; %bb.0:
	v_cmp_gt_u32_e32 vcc, 28, v0
	s_and_saveexec_b64 s[4:5], vcc
	s_cbranch_execz .LBB91_435
; %bb.1:
	s_load_dwordx2 s[8:9], s[0:1], 0x10
	s_load_dwordx4 s[4:7], s[0:1], 0x0
	s_ashr_i32 s3, s2, 31
	s_lshl_b64 s[0:1], s[2:3], 3
	v_lshlrev_b32_e32 v14, 4, v0
	s_waitcnt lgkmcnt(0)
	s_ashr_i32 s3, s8, 31
	s_add_u32 s0, s6, s0
	s_addc_u32 s1, s7, s1
	s_load_dwordx2 s[0:1], s[0:1], 0x0
	s_mov_b32 s2, s8
	s_lshl_b64 s[2:3], s[2:3], 4
	v_mov_b32_e32 v15, 0
	v_mov_b32_e32 v1, 0
	s_waitcnt lgkmcnt(0)
	s_add_u32 s0, s0, s2
	s_addc_u32 s1, s1, s3
	s_add_i32 s2, s9, s9
	v_add_u32_e32 v6, s2, v0
	v_add_u32_e32 v16, s9, v6
	;; [unrolled: 1-line block ×9, first 2 shown]
	s_mov_b32 s2, s9
	s_ashr_i32 s3, s9, 31
	v_lshl_add_u64 v[44:45], s[0:1], 0, v[14:15]
	v_ashrrev_i32_e32 v17, 31, v16
	v_ashrrev_i32_e32 v19, 31, v18
	;; [unrolled: 1-line block ×5, first 2 shown]
	global_load_dwordx4 v[2:5], v14, s[0:1]
	v_ashrrev_i32_e32 v7, 31, v6
	v_lshl_add_u64 v[40:41], s[2:3], 4, v[44:45]
	v_lshl_add_u64 v[34:35], v[16:17], 4, s[0:1]
	;; [unrolled: 1-line block ×4, first 2 shown]
	v_ashrrev_i32_e32 v23, 31, v22
	v_lshl_add_u64 v[18:19], v[24:25], 4, s[0:1]
	v_ashrrev_i32_e32 v29, 31, v28
	v_lshl_add_u64 v[20:21], v[36:37], 4, s[0:1]
	;; [unrolled: 2-line block ×3, first 2 shown]
	global_load_dwordx4 v[6:9], v[40:41], off
	global_load_dwordx4 v[10:13], v[32:33], off
	;; [unrolled: 1-line block ×4, first 2 shown]
	v_lshl_add_u64 v[22:23], v[22:23], 4, s[0:1]
	global_load_dwordx4 v[60:63], v[26:27], off
	global_load_dwordx4 v[64:67], v[22:23], off
	v_lshl_add_u64 v[16:17], v[28:29], 4, s[0:1]
	global_load_dwordx4 v[68:71], v[18:19], off
	global_load_dwordx4 v[72:75], v[16:17], off
	;; [unrolled: 3-line block ×3, first 2 shown]
	v_add_u32_e32 v42, s9, v38
	v_ashrrev_i32_e32 v43, 31, v42
	v_lshl_add_u64 v[28:29], v[42:43], 4, s[0:1]
	global_load_dwordx4 v[84:87], v[28:29], off
	v_add_u32_e32 v36, s9, v42
	v_add_u32_e32 v38, s9, v36
	;; [unrolled: 1-line block ×16, first 2 shown]
	v_ashrrev_i32_e32 v37, 31, v36
	v_ashrrev_i32_e32 v39, 31, v38
	v_ashrrev_i32_e32 v51, 31, v50
	v_lshl_add_u64 v[36:37], v[36:37], 4, s[0:1]
	global_load_dwordx4 v[88:91], v[36:37], off
	v_lshl_add_u64 v[38:39], v[38:39], 4, s[0:1]
	v_ashrrev_i32_e32 v43, 31, v42
	v_ashrrev_i32_e32 v47, 31, v46
	v_lshl_add_u64 v[50:51], v[50:51], 4, s[0:1]
	v_lshl_add_u64 v[42:43], v[42:43], 4, s[0:1]
	global_load_dwordx4 v[92:95], v[38:39], off
	global_load_dwordx4 v[96:99], v[42:43], off
	v_lshl_add_u64 v[46:47], v[46:47], 4, s[0:1]
	v_ashrrev_i32_e32 v49, 31, v48
	v_ashrrev_i32_e32 v105, 31, v104
	global_load_dwordx4 v[100:103], v[50:51], off
	v_ashrrev_i32_e32 v109, 31, v108
	v_ashrrev_i32_e32 v113, 31, v112
	v_ashrrev_i32_e32 v117, 31, v116
	v_ashrrev_i32_e32 v121, 31, v120
	v_lshl_add_u64 v[48:49], v[48:49], 4, s[0:1]
	v_ashrrev_i32_e32 v107, 31, v106
	v_ashrrev_i32_e32 v111, 31, v110
	;; [unrolled: 1-line block ×3, first 2 shown]
	s_waitcnt vmcnt(15)
	scratch_store_dwordx4 off, v[2:5], off
	s_waitcnt vmcnt(15)
	scratch_store_dwordx4 off, v[6:9], off offset:16
	global_load_dwordx4 v[2:5], v[46:47], off
	s_nop 0
	global_load_dwordx4 v[6:9], v[48:49], off
	s_waitcnt vmcnt(17)
	scratch_store_dwordx4 off, v[10:13], off offset:32
	s_waitcnt vmcnt(17)
	scratch_store_dwordx4 off, v[52:55], off offset:48
	;; [unrolled: 2-line block ×10, first 2 shown]
	v_lshl_add_u64 v[52:53], v[104:105], 4, s[0:1]
	v_lshl_add_u64 v[56:57], v[108:109], 4, s[0:1]
	;; [unrolled: 1-line block ×4, first 2 shown]
	v_ashrrev_i32_e32 v119, 31, v118
	v_lshl_add_u64 v[68:69], v[120:121], 4, s[0:1]
	v_ashrrev_i32_e32 v123, 31, v122
	v_lshl_add_u64 v[54:55], v[106:107], 4, s[0:1]
	global_load_dwordx4 v[10:13], v[52:53], off
	global_load_dwordx4 v[72:75], v[54:55], off
	v_lshl_add_u64 v[58:59], v[110:111], 4, s[0:1]
	global_load_dwordx4 v[76:79], v[56:57], off
	global_load_dwordx4 v[80:83], v[58:59], off
	v_lshl_add_u64 v[62:63], v[114:115], 4, s[0:1]
	global_load_dwordx4 v[84:87], v[60:61], off
	global_load_dwordx4 v[104:107], v[62:63], off
	v_lshl_add_u64 v[66:67], v[118:119], 4, s[0:1]
	global_load_dwordx4 v[108:111], v[64:65], off
	global_load_dwordx4 v[112:115], v[66:67], off
	v_lshl_add_u64 v[70:71], v[122:123], 4, s[0:1]
	global_load_dwordx4 v[116:119], v[68:69], off
	global_load_dwordx4 v[120:123], v[70:71], off
	s_cmpk_lg_i32 s5, 0x84
	s_cselect_b64 s[6:7], -1, 0
	s_cmpk_eq_i32 s5, 0x84
	s_waitcnt vmcnt(27)
	scratch_store_dwordx4 off, v[88:91], off offset:192
	s_waitcnt vmcnt(27)
	scratch_store_dwordx4 off, v[92:95], off offset:208
	;; [unrolled: 2-line block ×15, first 2 shown]
	scratch_store_dwordx4 off, v[100:103], off offset:432
	s_cbranch_scc1 .LBB91_7
; %bb.2:
	scratch_load_dwordx4 v[2:5], v14, off
                                        ; implicit-def: $vgpr10_vgpr11
	s_waitcnt vmcnt(0)
	v_xor_b32_e32 v7, 0x80000000, v3
	v_cmp_gt_f64_e32 vcc, 0, v[2:3]
	v_xor_b32_e32 v8, 0x80000000, v5
	v_mov_b32_e32 v6, v2
	v_cndmask_b32_e32 v7, v3, v7, vcc
	v_cmp_gt_f64_e32 vcc, 0, v[4:5]
	s_nop 1
	v_cndmask_b32_e32 v9, v5, v8, vcc
	v_mov_b32_e32 v8, v4
	v_cmp_ngt_f64_e32 vcc, v[6:7], v[8:9]
                                        ; implicit-def: $vgpr6_vgpr7
	s_and_saveexec_b64 s[0:1], vcc
	s_xor_b64 s[0:1], exec, s[0:1]
	s_cbranch_execz .LBB91_4
; %bb.3:
	v_div_scale_f64 v[6:7], s[2:3], v[4:5], v[4:5], v[2:3]
	v_rcp_f64_e32 v[8:9], v[6:7]
	v_div_scale_f64 v[10:11], vcc, v[2:3], v[4:5], v[2:3]
	v_fma_f64 v[12:13], -v[6:7], v[8:9], 1.0
	v_fmac_f64_e32 v[8:9], v[8:9], v[12:13]
	v_fma_f64 v[12:13], -v[6:7], v[8:9], 1.0
	v_fmac_f64_e32 v[8:9], v[8:9], v[12:13]
	v_mul_f64 v[12:13], v[10:11], v[8:9]
	v_fma_f64 v[6:7], -v[6:7], v[12:13], v[10:11]
	v_div_fmas_f64 v[6:7], v[6:7], v[8:9], v[12:13]
	v_div_fixup_f64 v[6:7], v[6:7], v[4:5], v[2:3]
	v_fmac_f64_e32 v[4:5], v[2:3], v[6:7]
	v_div_scale_f64 v[2:3], s[2:3], v[4:5], v[4:5], 1.0
	v_rcp_f64_e32 v[8:9], v[2:3]
	s_nop 0
	v_fma_f64 v[10:11], -v[2:3], v[8:9], 1.0
	v_fmac_f64_e32 v[8:9], v[8:9], v[10:11]
	v_fma_f64 v[10:11], -v[2:3], v[8:9], 1.0
	v_fmac_f64_e32 v[8:9], v[8:9], v[10:11]
	v_div_scale_f64 v[10:11], vcc, 1.0, v[4:5], 1.0
	v_mul_f64 v[12:13], v[10:11], v[8:9]
	v_fma_f64 v[2:3], -v[2:3], v[12:13], v[10:11]
	s_nop 1
	v_div_fmas_f64 v[2:3], v[2:3], v[8:9], v[12:13]
	v_div_fixup_f64 v[8:9], v[2:3], v[4:5], 1.0
	v_mul_f64 v[6:7], v[6:7], v[8:9]
	v_xor_b32_e32 v9, 0x80000000, v9
	v_xor_b32_e32 v11, 0x80000000, v7
	v_mov_b32_e32 v10, v6
                                        ; implicit-def: $vgpr2_vgpr3
.LBB91_4:
	s_or_saveexec_b64 s[0:1], s[0:1]
	v_add_u32_e32 v12, 0, v14
	s_xor_b64 exec, exec, s[0:1]
	s_cbranch_execz .LBB91_6
; %bb.5:
	v_div_scale_f64 v[6:7], s[2:3], v[2:3], v[2:3], v[4:5]
	v_rcp_f64_e32 v[8:9], v[6:7]
	v_div_scale_f64 v[10:11], vcc, v[4:5], v[2:3], v[4:5]
	v_fma_f64 v[72:73], -v[6:7], v[8:9], 1.0
	v_fmac_f64_e32 v[8:9], v[8:9], v[72:73]
	v_fma_f64 v[72:73], -v[6:7], v[8:9], 1.0
	v_fmac_f64_e32 v[8:9], v[8:9], v[72:73]
	v_mul_f64 v[72:73], v[10:11], v[8:9]
	v_fma_f64 v[6:7], -v[6:7], v[72:73], v[10:11]
	v_div_fmas_f64 v[6:7], v[6:7], v[8:9], v[72:73]
	v_div_fixup_f64 v[8:9], v[6:7], v[2:3], v[4:5]
	v_fmac_f64_e32 v[2:3], v[4:5], v[8:9]
	v_div_scale_f64 v[4:5], s[2:3], v[2:3], v[2:3], 1.0
	v_rcp_f64_e32 v[6:7], v[4:5]
	s_nop 0
	v_fma_f64 v[10:11], -v[4:5], v[6:7], 1.0
	v_fmac_f64_e32 v[6:7], v[6:7], v[10:11]
	v_fma_f64 v[10:11], -v[4:5], v[6:7], 1.0
	v_fmac_f64_e32 v[6:7], v[6:7], v[10:11]
	v_div_scale_f64 v[10:11], vcc, 1.0, v[2:3], 1.0
	v_mul_f64 v[72:73], v[10:11], v[6:7]
	v_fma_f64 v[4:5], -v[4:5], v[72:73], v[10:11]
	s_nop 1
	v_div_fmas_f64 v[4:5], v[4:5], v[6:7], v[72:73]
	v_div_fixup_f64 v[6:7], v[4:5], v[2:3], 1.0
	v_xor_b32_e32 v11, 0x80000000, v7
	v_mov_b32_e32 v10, v6
	v_mul_f64 v[8:9], v[8:9], -v[6:7]
.LBB91_6:
	s_or_b64 exec, exec, s[0:1]
	scratch_store_dwordx4 v12, v[6:9], off
	s_nop 1
	v_xor_b32_e32 v9, 0x80000000, v9
	s_branch .LBB91_8
.LBB91_7:
	v_mov_b64_e32 v[8:9], 0
	v_mov_b64_e32 v[10:11], -1.0
.LBB91_8:
	v_add_u32_e32 v85, 16, v1
	v_add_u32_e32 v89, 32, v1
	;; [unrolled: 1-line block ×27, first 2 shown]
	v_mov_b32_e32 v12, v8
	v_mov_b32_e32 v13, v9
	s_cmpk_eq_i32 s4, 0x79
	v_add_u32_e32 v9, 0x1c0, v14
	v_add_u32_e32 v8, 0, v14
	ds_write_b128 v14, v[10:13]
	s_cbranch_scc1 .LBB91_220
; %bb.9:
	scratch_load_dwordx4 v[2:5], v15, off
	v_cmp_eq_u32_e64 s[0:1], 27, v0
	s_waitcnt vmcnt(0)
	ds_write_b128 v9, v[2:5]
	s_waitcnt lgkmcnt(0)
	; wave barrier
	s_waitcnt lgkmcnt(0)
	s_and_saveexec_b64 s[2:3], s[0:1]
	s_cbranch_execz .LBB91_13
; %bb.10:
	ds_read_b128 v[2:5], v9
	s_andn2_b64 vcc, exec, s[6:7]
	s_cbranch_vccnz .LBB91_12
; %bb.11:
	scratch_load_dwordx4 v[10:13], v8, off
	s_waitcnt vmcnt(0) lgkmcnt(0)
	v_mul_f64 v[6:7], v[4:5], v[12:13]
	v_mul_f64 v[12:13], v[2:3], v[12:13]
	v_fmac_f64_e32 v[12:13], v[4:5], v[10:11]
	v_fma_f64 v[2:3], v[2:3], v[10:11], -v[6:7]
	v_mov_b64_e32 v[4:5], v[12:13]
.LBB91_12:
	v_mov_b32_e32 v6, 0
	ds_read_b128 v[10:13], v6 offset:416
	s_waitcnt lgkmcnt(0)
	v_mul_f64 v[6:7], v[4:5], v[12:13]
	v_mul_f64 v[100:101], v[2:3], v[12:13]
	v_fma_f64 v[98:99], v[2:3], v[10:11], -v[6:7]
	v_fmac_f64_e32 v[100:101], v[4:5], v[10:11]
	scratch_store_dwordx4 off, v[98:101], off offset:416
.LBB91_13:
	s_or_b64 exec, exec, s[2:3]
	scratch_load_dwordx4 v[2:5], v72, off
	v_cmp_lt_u32_e64 s[2:3], 25, v0
	s_waitcnt vmcnt(0)
	ds_write_b128 v9, v[2:5]
	s_waitcnt lgkmcnt(0)
	; wave barrier
	s_waitcnt lgkmcnt(0)
	s_and_saveexec_b64 s[4:5], s[2:3]
	s_cbranch_execz .LBB91_19
; %bb.14:
	ds_read_b128 v[2:5], v9
	s_andn2_b64 vcc, exec, s[6:7]
	s_cbranch_vccnz .LBB91_16
; %bb.15:
	scratch_load_dwordx4 v[10:13], v8, off
	s_waitcnt vmcnt(0) lgkmcnt(0)
	v_mul_f64 v[6:7], v[4:5], v[12:13]
	v_mul_f64 v[12:13], v[2:3], v[12:13]
	v_fmac_f64_e32 v[12:13], v[4:5], v[10:11]
	v_fma_f64 v[2:3], v[2:3], v[10:11], -v[6:7]
	v_mov_b64_e32 v[4:5], v[12:13]
.LBB91_16:
	s_and_saveexec_b64 s[8:9], s[0:1]
	s_cbranch_execz .LBB91_18
; %bb.17:
	scratch_load_dwordx4 v[10:13], off, off offset:416
	v_mov_b32_e32 v6, 0
	ds_read_b128 v[98:101], v6 offset:864
	s_waitcnt vmcnt(0) lgkmcnt(0)
	v_mul_f64 v[6:7], v[98:99], v[12:13]
	v_mul_f64 v[12:13], v[100:101], v[12:13]
	v_fmac_f64_e32 v[6:7], v[100:101], v[10:11]
	v_fma_f64 v[10:11], v[98:99], v[10:11], -v[12:13]
	v_add_f64 v[4:5], v[4:5], v[6:7]
	v_add_f64 v[2:3], v[2:3], v[10:11]
.LBB91_18:
	s_or_b64 exec, exec, s[8:9]
	v_mov_b32_e32 v6, 0
	ds_read_b128 v[10:13], v6 offset:400
	s_waitcnt lgkmcnt(0)
	v_mul_f64 v[6:7], v[4:5], v[12:13]
	v_mul_f64 v[100:101], v[2:3], v[12:13]
	v_fma_f64 v[98:99], v[2:3], v[10:11], -v[6:7]
	v_fmac_f64_e32 v[100:101], v[4:5], v[10:11]
	scratch_store_dwordx4 off, v[98:101], off offset:400
.LBB91_19:
	s_or_b64 exec, exec, s[4:5]
	scratch_load_dwordx4 v[2:5], v73, off
	v_cmp_lt_u32_e64 s[0:1], 24, v0
	s_waitcnt vmcnt(0)
	ds_write_b128 v9, v[2:5]
	s_waitcnt lgkmcnt(0)
	; wave barrier
	s_waitcnt lgkmcnt(0)
	s_and_saveexec_b64 s[4:5], s[0:1]
	s_cbranch_execz .LBB91_27
; %bb.20:
	ds_read_b128 v[2:5], v9
	s_andn2_b64 vcc, exec, s[6:7]
	s_cbranch_vccnz .LBB91_22
; %bb.21:
	scratch_load_dwordx4 v[10:13], v8, off
	s_waitcnt vmcnt(0) lgkmcnt(0)
	v_mul_f64 v[6:7], v[4:5], v[12:13]
	v_mul_f64 v[12:13], v[2:3], v[12:13]
	v_fmac_f64_e32 v[12:13], v[4:5], v[10:11]
	v_fma_f64 v[2:3], v[2:3], v[10:11], -v[6:7]
	v_mov_b64_e32 v[4:5], v[12:13]
.LBB91_22:
	s_and_saveexec_b64 s[8:9], s[2:3]
	s_cbranch_execz .LBB91_26
; %bb.23:
	v_mov_b32_e32 v7, 0
	v_subrev_u32_e32 v6, 25, v0
	v_add_u32_e32 v7, 0x198, v7
	s_movk_i32 s10, 0x350
	s_mov_b64 s[2:3], 0
.LBB91_24:                              ; =>This Inner Loop Header: Depth=1
	v_add_u32_e32 v10, -8, v7
	scratch_load_dwordx4 v[10:13], v10, off
	v_mov_b32_e32 v97, s10
	ds_read_b128 v[98:101], v97
	v_add_u32_e32 v6, -1, v6
	s_add_i32 s10, s10, 16
	v_cmp_eq_u32_e32 vcc, 0, v6
	v_add_u32_e32 v7, 16, v7
	s_or_b64 s[2:3], vcc, s[2:3]
	s_waitcnt vmcnt(0) lgkmcnt(0)
	v_mul_f64 v[102:103], v[100:101], v[12:13]
	v_mul_f64 v[12:13], v[98:99], v[12:13]
	v_fma_f64 v[98:99], v[98:99], v[10:11], -v[102:103]
	v_fmac_f64_e32 v[12:13], v[100:101], v[10:11]
	v_add_f64 v[2:3], v[2:3], v[98:99]
	v_add_f64 v[4:5], v[4:5], v[12:13]
	s_andn2_b64 exec, exec, s[2:3]
	s_cbranch_execnz .LBB91_24
; %bb.25:
	s_or_b64 exec, exec, s[2:3]
.LBB91_26:
	s_or_b64 exec, exec, s[8:9]
	v_mov_b32_e32 v6, 0
	ds_read_b128 v[10:13], v6 offset:384
	s_waitcnt lgkmcnt(0)
	v_mul_f64 v[6:7], v[4:5], v[12:13]
	v_mul_f64 v[100:101], v[2:3], v[12:13]
	v_fma_f64 v[98:99], v[2:3], v[10:11], -v[6:7]
	v_fmac_f64_e32 v[100:101], v[4:5], v[10:11]
	scratch_store_dwordx4 off, v[98:101], off offset:384
.LBB91_27:
	s_or_b64 exec, exec, s[4:5]
	scratch_load_dwordx4 v[2:5], v75, off
	v_cmp_lt_u32_e64 s[2:3], 23, v0
	s_waitcnt vmcnt(0)
	ds_write_b128 v9, v[2:5]
	s_waitcnt lgkmcnt(0)
	; wave barrier
	s_waitcnt lgkmcnt(0)
	s_and_saveexec_b64 s[4:5], s[2:3]
	s_cbranch_execz .LBB91_35
; %bb.28:
	ds_read_b128 v[2:5], v9
	s_andn2_b64 vcc, exec, s[6:7]
	s_cbranch_vccnz .LBB91_30
; %bb.29:
	scratch_load_dwordx4 v[10:13], v8, off
	s_waitcnt vmcnt(0) lgkmcnt(0)
	v_mul_f64 v[6:7], v[4:5], v[12:13]
	v_mul_f64 v[12:13], v[2:3], v[12:13]
	v_fmac_f64_e32 v[12:13], v[4:5], v[10:11]
	v_fma_f64 v[2:3], v[2:3], v[10:11], -v[6:7]
	v_mov_b64_e32 v[4:5], v[12:13]
.LBB91_30:
	s_and_saveexec_b64 s[8:9], s[0:1]
	s_cbranch_execz .LBB91_34
; %bb.31:
	v_mov_b32_e32 v7, 0
	v_subrev_u32_e32 v6, 24, v0
	v_add_u32_e32 v7, 0x188, v7
	s_movk_i32 s10, 0x340
	s_mov_b64 s[0:1], 0
.LBB91_32:                              ; =>This Inner Loop Header: Depth=1
	v_add_u32_e32 v10, -8, v7
	scratch_load_dwordx4 v[10:13], v10, off
	v_mov_b32_e32 v97, s10
	ds_read_b128 v[98:101], v97
	v_add_u32_e32 v6, -1, v6
	s_add_i32 s10, s10, 16
	v_cmp_eq_u32_e32 vcc, 0, v6
	v_add_u32_e32 v7, 16, v7
	s_or_b64 s[0:1], vcc, s[0:1]
	s_waitcnt vmcnt(0) lgkmcnt(0)
	v_mul_f64 v[102:103], v[100:101], v[12:13]
	v_mul_f64 v[12:13], v[98:99], v[12:13]
	v_fma_f64 v[98:99], v[98:99], v[10:11], -v[102:103]
	v_fmac_f64_e32 v[12:13], v[100:101], v[10:11]
	v_add_f64 v[2:3], v[2:3], v[98:99]
	v_add_f64 v[4:5], v[4:5], v[12:13]
	s_andn2_b64 exec, exec, s[0:1]
	s_cbranch_execnz .LBB91_32
; %bb.33:
	s_or_b64 exec, exec, s[0:1]
.LBB91_34:
	s_or_b64 exec, exec, s[8:9]
	v_mov_b32_e32 v6, 0
	ds_read_b128 v[10:13], v6 offset:368
	s_waitcnt lgkmcnt(0)
	v_mul_f64 v[6:7], v[4:5], v[12:13]
	v_mul_f64 v[100:101], v[2:3], v[12:13]
	v_fma_f64 v[98:99], v[2:3], v[10:11], -v[6:7]
	v_fmac_f64_e32 v[100:101], v[4:5], v[10:11]
	scratch_store_dwordx4 off, v[98:101], off offset:368
.LBB91_35:
	;; [unrolled: 63-line block ×9, first 2 shown]
	s_or_b64 exec, exec, s[4:5]
	scratch_load_dwordx4 v[2:5], v82, off
	v_cmp_lt_u32_e64 s[2:3], 15, v0
	s_waitcnt vmcnt(0)
	ds_write_b128 v9, v[2:5]
	s_waitcnt lgkmcnt(0)
	; wave barrier
	s_waitcnt lgkmcnt(0)
	s_and_saveexec_b64 s[4:5], s[2:3]
	s_cbranch_execz .LBB91_99
; %bb.92:
	ds_read_b128 v[2:5], v9
	s_andn2_b64 vcc, exec, s[6:7]
	s_cbranch_vccnz .LBB91_94
; %bb.93:
	scratch_load_dwordx4 v[10:13], v8, off
	s_waitcnt vmcnt(0) lgkmcnt(0)
	v_mul_f64 v[6:7], v[4:5], v[12:13]
	v_mul_f64 v[12:13], v[2:3], v[12:13]
	v_fmac_f64_e32 v[12:13], v[4:5], v[10:11]
	v_fma_f64 v[2:3], v[2:3], v[10:11], -v[6:7]
	v_mov_b64_e32 v[4:5], v[12:13]
.LBB91_94:
	s_and_saveexec_b64 s[8:9], s[0:1]
	s_cbranch_execz .LBB91_98
; %bb.95:
	v_mov_b32_e32 v7, 0
	v_add_u32_e32 v6, -16, v0
	v_add_u32_e32 v7, 0x108, v7
	s_movk_i32 s10, 0x2c0
	s_mov_b64 s[0:1], 0
.LBB91_96:                              ; =>This Inner Loop Header: Depth=1
	v_add_u32_e32 v10, -8, v7
	scratch_load_dwordx4 v[10:13], v10, off
	v_mov_b32_e32 v97, s10
	ds_read_b128 v[98:101], v97
	v_add_u32_e32 v6, -1, v6
	s_add_i32 s10, s10, 16
	v_cmp_eq_u32_e32 vcc, 0, v6
	v_add_u32_e32 v7, 16, v7
	s_or_b64 s[0:1], vcc, s[0:1]
	s_waitcnt vmcnt(0) lgkmcnt(0)
	v_mul_f64 v[102:103], v[100:101], v[12:13]
	v_mul_f64 v[12:13], v[98:99], v[12:13]
	v_fma_f64 v[98:99], v[98:99], v[10:11], -v[102:103]
	v_fmac_f64_e32 v[12:13], v[100:101], v[10:11]
	v_add_f64 v[2:3], v[2:3], v[98:99]
	v_add_f64 v[4:5], v[4:5], v[12:13]
	s_andn2_b64 exec, exec, s[0:1]
	s_cbranch_execnz .LBB91_96
; %bb.97:
	s_or_b64 exec, exec, s[0:1]
.LBB91_98:
	s_or_b64 exec, exec, s[8:9]
	v_mov_b32_e32 v6, 0
	ds_read_b128 v[10:13], v6 offset:240
	s_waitcnt lgkmcnt(0)
	v_mul_f64 v[6:7], v[4:5], v[12:13]
	v_mul_f64 v[100:101], v[2:3], v[12:13]
	v_fma_f64 v[98:99], v[2:3], v[10:11], -v[6:7]
	v_fmac_f64_e32 v[100:101], v[4:5], v[10:11]
	scratch_store_dwordx4 off, v[98:101], off offset:240
.LBB91_99:
	s_or_b64 exec, exec, s[4:5]
	scratch_load_dwordx4 v[2:5], v83, off
	v_cmp_lt_u32_e64 s[0:1], 14, v0
	s_waitcnt vmcnt(0)
	ds_write_b128 v9, v[2:5]
	s_waitcnt lgkmcnt(0)
	; wave barrier
	s_waitcnt lgkmcnt(0)
	s_and_saveexec_b64 s[4:5], s[0:1]
	s_cbranch_execz .LBB91_107
; %bb.100:
	ds_read_b128 v[2:5], v9
	s_andn2_b64 vcc, exec, s[6:7]
	s_cbranch_vccnz .LBB91_102
; %bb.101:
	scratch_load_dwordx4 v[10:13], v8, off
	s_waitcnt vmcnt(0) lgkmcnt(0)
	v_mul_f64 v[6:7], v[4:5], v[12:13]
	v_mul_f64 v[12:13], v[2:3], v[12:13]
	v_fmac_f64_e32 v[12:13], v[4:5], v[10:11]
	v_fma_f64 v[2:3], v[2:3], v[10:11], -v[6:7]
	v_mov_b64_e32 v[4:5], v[12:13]
.LBB91_102:
	s_and_saveexec_b64 s[8:9], s[2:3]
	s_cbranch_execz .LBB91_106
; %bb.103:
	v_mov_b32_e32 v7, 0
	v_add_u32_e32 v6, -15, v0
	v_add_u32_e32 v7, 0xf8, v7
	s_movk_i32 s10, 0x2b0
	s_mov_b64 s[2:3], 0
.LBB91_104:                             ; =>This Inner Loop Header: Depth=1
	v_add_u32_e32 v10, -8, v7
	scratch_load_dwordx4 v[10:13], v10, off
	v_mov_b32_e32 v97, s10
	ds_read_b128 v[98:101], v97
	v_add_u32_e32 v6, -1, v6
	s_add_i32 s10, s10, 16
	v_cmp_eq_u32_e32 vcc, 0, v6
	v_add_u32_e32 v7, 16, v7
	s_or_b64 s[2:3], vcc, s[2:3]
	s_waitcnt vmcnt(0) lgkmcnt(0)
	v_mul_f64 v[102:103], v[100:101], v[12:13]
	v_mul_f64 v[12:13], v[98:99], v[12:13]
	v_fma_f64 v[98:99], v[98:99], v[10:11], -v[102:103]
	v_fmac_f64_e32 v[12:13], v[100:101], v[10:11]
	v_add_f64 v[2:3], v[2:3], v[98:99]
	v_add_f64 v[4:5], v[4:5], v[12:13]
	s_andn2_b64 exec, exec, s[2:3]
	s_cbranch_execnz .LBB91_104
; %bb.105:
	s_or_b64 exec, exec, s[2:3]
.LBB91_106:
	s_or_b64 exec, exec, s[8:9]
	v_mov_b32_e32 v6, 0
	ds_read_b128 v[10:13], v6 offset:224
	s_waitcnt lgkmcnt(0)
	v_mul_f64 v[6:7], v[4:5], v[12:13]
	v_mul_f64 v[100:101], v[2:3], v[12:13]
	v_fma_f64 v[98:99], v[2:3], v[10:11], -v[6:7]
	v_fmac_f64_e32 v[100:101], v[4:5], v[10:11]
	scratch_store_dwordx4 off, v[98:101], off offset:224
.LBB91_107:
	s_or_b64 exec, exec, s[4:5]
	scratch_load_dwordx4 v[2:5], v86, off
	v_cmp_lt_u32_e64 s[2:3], 13, v0
	s_waitcnt vmcnt(0)
	ds_write_b128 v9, v[2:5]
	s_waitcnt lgkmcnt(0)
	; wave barrier
	s_waitcnt lgkmcnt(0)
	s_and_saveexec_b64 s[4:5], s[2:3]
	s_cbranch_execz .LBB91_115
; %bb.108:
	ds_read_b128 v[2:5], v9
	s_andn2_b64 vcc, exec, s[6:7]
	s_cbranch_vccnz .LBB91_110
; %bb.109:
	scratch_load_dwordx4 v[10:13], v8, off
	s_waitcnt vmcnt(0) lgkmcnt(0)
	v_mul_f64 v[6:7], v[4:5], v[12:13]
	v_mul_f64 v[12:13], v[2:3], v[12:13]
	v_fmac_f64_e32 v[12:13], v[4:5], v[10:11]
	v_fma_f64 v[2:3], v[2:3], v[10:11], -v[6:7]
	v_mov_b64_e32 v[4:5], v[12:13]
.LBB91_110:
	s_and_saveexec_b64 s[8:9], s[0:1]
	s_cbranch_execz .LBB91_114
; %bb.111:
	v_mov_b32_e32 v7, 0
	v_add_u32_e32 v6, -14, v0
	v_add_u32_e32 v7, 0xe8, v7
	s_movk_i32 s10, 0x2a0
	s_mov_b64 s[0:1], 0
.LBB91_112:                             ; =>This Inner Loop Header: Depth=1
	v_add_u32_e32 v10, -8, v7
	scratch_load_dwordx4 v[10:13], v10, off
	v_mov_b32_e32 v97, s10
	ds_read_b128 v[98:101], v97
	v_add_u32_e32 v6, -1, v6
	s_add_i32 s10, s10, 16
	v_cmp_eq_u32_e32 vcc, 0, v6
	v_add_u32_e32 v7, 16, v7
	s_or_b64 s[0:1], vcc, s[0:1]
	s_waitcnt vmcnt(0) lgkmcnt(0)
	v_mul_f64 v[102:103], v[100:101], v[12:13]
	v_mul_f64 v[12:13], v[98:99], v[12:13]
	v_fma_f64 v[98:99], v[98:99], v[10:11], -v[102:103]
	v_fmac_f64_e32 v[12:13], v[100:101], v[10:11]
	v_add_f64 v[2:3], v[2:3], v[98:99]
	v_add_f64 v[4:5], v[4:5], v[12:13]
	s_andn2_b64 exec, exec, s[0:1]
	s_cbranch_execnz .LBB91_112
; %bb.113:
	s_or_b64 exec, exec, s[0:1]
.LBB91_114:
	s_or_b64 exec, exec, s[8:9]
	v_mov_b32_e32 v6, 0
	ds_read_b128 v[10:13], v6 offset:208
	s_waitcnt lgkmcnt(0)
	v_mul_f64 v[6:7], v[4:5], v[12:13]
	v_mul_f64 v[100:101], v[2:3], v[12:13]
	v_fma_f64 v[98:99], v[2:3], v[10:11], -v[6:7]
	v_fmac_f64_e32 v[100:101], v[4:5], v[10:11]
	scratch_store_dwordx4 off, v[98:101], off offset:208
.LBB91_115:
	s_or_b64 exec, exec, s[4:5]
	scratch_load_dwordx4 v[2:5], v87, off
	v_cmp_lt_u32_e64 s[0:1], 12, v0
	s_waitcnt vmcnt(0)
	ds_write_b128 v9, v[2:5]
	s_waitcnt lgkmcnt(0)
	; wave barrier
	s_waitcnt lgkmcnt(0)
	s_and_saveexec_b64 s[4:5], s[0:1]
	s_cbranch_execz .LBB91_123
; %bb.116:
	ds_read_b128 v[2:5], v9
	s_andn2_b64 vcc, exec, s[6:7]
	s_cbranch_vccnz .LBB91_118
; %bb.117:
	scratch_load_dwordx4 v[10:13], v8, off
	s_waitcnt vmcnt(0) lgkmcnt(0)
	v_mul_f64 v[6:7], v[4:5], v[12:13]
	v_mul_f64 v[12:13], v[2:3], v[12:13]
	v_fmac_f64_e32 v[12:13], v[4:5], v[10:11]
	v_fma_f64 v[2:3], v[2:3], v[10:11], -v[6:7]
	v_mov_b64_e32 v[4:5], v[12:13]
.LBB91_118:
	s_and_saveexec_b64 s[8:9], s[2:3]
	s_cbranch_execz .LBB91_122
; %bb.119:
	v_mov_b32_e32 v7, 0
	v_add_u32_e32 v6, -13, v0
	v_add_u32_e32 v7, 0xd8, v7
	s_movk_i32 s10, 0x290
	s_mov_b64 s[2:3], 0
.LBB91_120:                             ; =>This Inner Loop Header: Depth=1
	v_add_u32_e32 v10, -8, v7
	scratch_load_dwordx4 v[10:13], v10, off
	v_mov_b32_e32 v97, s10
	ds_read_b128 v[98:101], v97
	v_add_u32_e32 v6, -1, v6
	s_add_i32 s10, s10, 16
	v_cmp_eq_u32_e32 vcc, 0, v6
	v_add_u32_e32 v7, 16, v7
	s_or_b64 s[2:3], vcc, s[2:3]
	s_waitcnt vmcnt(0) lgkmcnt(0)
	v_mul_f64 v[102:103], v[100:101], v[12:13]
	v_mul_f64 v[12:13], v[98:99], v[12:13]
	v_fma_f64 v[98:99], v[98:99], v[10:11], -v[102:103]
	v_fmac_f64_e32 v[12:13], v[100:101], v[10:11]
	v_add_f64 v[2:3], v[2:3], v[98:99]
	v_add_f64 v[4:5], v[4:5], v[12:13]
	s_andn2_b64 exec, exec, s[2:3]
	s_cbranch_execnz .LBB91_120
; %bb.121:
	s_or_b64 exec, exec, s[2:3]
.LBB91_122:
	s_or_b64 exec, exec, s[8:9]
	v_mov_b32_e32 v6, 0
	ds_read_b128 v[10:13], v6 offset:192
	s_waitcnt lgkmcnt(0)
	v_mul_f64 v[6:7], v[4:5], v[12:13]
	v_mul_f64 v[100:101], v[2:3], v[12:13]
	v_fma_f64 v[98:99], v[2:3], v[10:11], -v[6:7]
	v_fmac_f64_e32 v[100:101], v[4:5], v[10:11]
	scratch_store_dwordx4 off, v[98:101], off offset:192
.LBB91_123:
	s_or_b64 exec, exec, s[4:5]
	scratch_load_dwordx4 v[2:5], v90, off
	v_cmp_lt_u32_e64 s[2:3], 11, v0
	s_waitcnt vmcnt(0)
	ds_write_b128 v9, v[2:5]
	s_waitcnt lgkmcnt(0)
	; wave barrier
	s_waitcnt lgkmcnt(0)
	s_and_saveexec_b64 s[4:5], s[2:3]
	s_cbranch_execz .LBB91_131
; %bb.124:
	ds_read_b128 v[2:5], v9
	s_andn2_b64 vcc, exec, s[6:7]
	s_cbranch_vccnz .LBB91_126
; %bb.125:
	scratch_load_dwordx4 v[10:13], v8, off
	s_waitcnt vmcnt(0) lgkmcnt(0)
	v_mul_f64 v[6:7], v[4:5], v[12:13]
	v_mul_f64 v[12:13], v[2:3], v[12:13]
	v_fmac_f64_e32 v[12:13], v[4:5], v[10:11]
	v_fma_f64 v[2:3], v[2:3], v[10:11], -v[6:7]
	v_mov_b64_e32 v[4:5], v[12:13]
.LBB91_126:
	s_and_saveexec_b64 s[8:9], s[0:1]
	s_cbranch_execz .LBB91_130
; %bb.127:
	v_mov_b32_e32 v7, 0
	v_add_u32_e32 v6, -12, v0
	v_add_u32_e32 v7, 0xc8, v7
	s_movk_i32 s10, 0x280
	s_mov_b64 s[0:1], 0
.LBB91_128:                             ; =>This Inner Loop Header: Depth=1
	v_add_u32_e32 v10, -8, v7
	scratch_load_dwordx4 v[10:13], v10, off
	v_mov_b32_e32 v97, s10
	ds_read_b128 v[98:101], v97
	v_add_u32_e32 v6, -1, v6
	s_add_i32 s10, s10, 16
	v_cmp_eq_u32_e32 vcc, 0, v6
	v_add_u32_e32 v7, 16, v7
	s_or_b64 s[0:1], vcc, s[0:1]
	s_waitcnt vmcnt(0) lgkmcnt(0)
	v_mul_f64 v[102:103], v[100:101], v[12:13]
	v_mul_f64 v[12:13], v[98:99], v[12:13]
	v_fma_f64 v[98:99], v[98:99], v[10:11], -v[102:103]
	v_fmac_f64_e32 v[12:13], v[100:101], v[10:11]
	v_add_f64 v[2:3], v[2:3], v[98:99]
	v_add_f64 v[4:5], v[4:5], v[12:13]
	s_andn2_b64 exec, exec, s[0:1]
	s_cbranch_execnz .LBB91_128
; %bb.129:
	s_or_b64 exec, exec, s[0:1]
.LBB91_130:
	s_or_b64 exec, exec, s[8:9]
	v_mov_b32_e32 v6, 0
	ds_read_b128 v[10:13], v6 offset:176
	s_waitcnt lgkmcnt(0)
	v_mul_f64 v[6:7], v[4:5], v[12:13]
	v_mul_f64 v[100:101], v[2:3], v[12:13]
	v_fma_f64 v[98:99], v[2:3], v[10:11], -v[6:7]
	v_fmac_f64_e32 v[100:101], v[4:5], v[10:11]
	scratch_store_dwordx4 off, v[98:101], off offset:176
.LBB91_131:
	s_or_b64 exec, exec, s[4:5]
	scratch_load_dwordx4 v[2:5], v96, off
	v_cmp_lt_u32_e64 s[0:1], 10, v0
	s_waitcnt vmcnt(0)
	ds_write_b128 v9, v[2:5]
	s_waitcnt lgkmcnt(0)
	; wave barrier
	s_waitcnt lgkmcnt(0)
	s_and_saveexec_b64 s[4:5], s[0:1]
	s_cbranch_execz .LBB91_139
; %bb.132:
	ds_read_b128 v[2:5], v9
	s_andn2_b64 vcc, exec, s[6:7]
	s_cbranch_vccnz .LBB91_134
; %bb.133:
	scratch_load_dwordx4 v[10:13], v8, off
	s_waitcnt vmcnt(0) lgkmcnt(0)
	v_mul_f64 v[6:7], v[4:5], v[12:13]
	v_mul_f64 v[12:13], v[2:3], v[12:13]
	v_fmac_f64_e32 v[12:13], v[4:5], v[10:11]
	v_fma_f64 v[2:3], v[2:3], v[10:11], -v[6:7]
	v_mov_b64_e32 v[4:5], v[12:13]
.LBB91_134:
	s_and_saveexec_b64 s[8:9], s[2:3]
	s_cbranch_execz .LBB91_138
; %bb.135:
	v_mov_b32_e32 v7, 0
	v_add_u32_e32 v6, -11, v0
	v_add_u32_e32 v7, 0xb8, v7
	s_movk_i32 s10, 0x270
	s_mov_b64 s[2:3], 0
.LBB91_136:                             ; =>This Inner Loop Header: Depth=1
	v_add_u32_e32 v10, -8, v7
	scratch_load_dwordx4 v[10:13], v10, off
	v_mov_b32_e32 v97, s10
	ds_read_b128 v[98:101], v97
	v_add_u32_e32 v6, -1, v6
	s_add_i32 s10, s10, 16
	v_cmp_eq_u32_e32 vcc, 0, v6
	v_add_u32_e32 v7, 16, v7
	s_or_b64 s[2:3], vcc, s[2:3]
	s_waitcnt vmcnt(0) lgkmcnt(0)
	v_mul_f64 v[102:103], v[100:101], v[12:13]
	v_mul_f64 v[12:13], v[98:99], v[12:13]
	v_fma_f64 v[98:99], v[98:99], v[10:11], -v[102:103]
	v_fmac_f64_e32 v[12:13], v[100:101], v[10:11]
	v_add_f64 v[2:3], v[2:3], v[98:99]
	v_add_f64 v[4:5], v[4:5], v[12:13]
	s_andn2_b64 exec, exec, s[2:3]
	s_cbranch_execnz .LBB91_136
; %bb.137:
	s_or_b64 exec, exec, s[2:3]
.LBB91_138:
	s_or_b64 exec, exec, s[8:9]
	v_mov_b32_e32 v6, 0
	ds_read_b128 v[10:13], v6 offset:160
	s_waitcnt lgkmcnt(0)
	v_mul_f64 v[6:7], v[4:5], v[12:13]
	v_mul_f64 v[100:101], v[2:3], v[12:13]
	v_fma_f64 v[98:99], v[2:3], v[10:11], -v[6:7]
	v_fmac_f64_e32 v[100:101], v[4:5], v[10:11]
	scratch_store_dwordx4 off, v[98:101], off offset:160
.LBB91_139:
	s_or_b64 exec, exec, s[4:5]
	scratch_load_dwordx4 v[2:5], v94, off
	v_cmp_lt_u32_e64 s[2:3], 9, v0
	s_waitcnt vmcnt(0)
	ds_write_b128 v9, v[2:5]
	s_waitcnt lgkmcnt(0)
	; wave barrier
	s_waitcnt lgkmcnt(0)
	s_and_saveexec_b64 s[4:5], s[2:3]
	s_cbranch_execz .LBB91_147
; %bb.140:
	ds_read_b128 v[2:5], v9
	s_andn2_b64 vcc, exec, s[6:7]
	s_cbranch_vccnz .LBB91_142
; %bb.141:
	scratch_load_dwordx4 v[10:13], v8, off
	s_waitcnt vmcnt(0) lgkmcnt(0)
	v_mul_f64 v[6:7], v[4:5], v[12:13]
	v_mul_f64 v[12:13], v[2:3], v[12:13]
	v_fmac_f64_e32 v[12:13], v[4:5], v[10:11]
	v_fma_f64 v[2:3], v[2:3], v[10:11], -v[6:7]
	v_mov_b64_e32 v[4:5], v[12:13]
.LBB91_142:
	s_and_saveexec_b64 s[8:9], s[0:1]
	s_cbranch_execz .LBB91_146
; %bb.143:
	v_mov_b32_e32 v7, 0
	v_add_u32_e32 v6, -10, v0
	v_add_u32_e32 v7, 0xa8, v7
	s_movk_i32 s10, 0x260
	s_mov_b64 s[0:1], 0
.LBB91_144:                             ; =>This Inner Loop Header: Depth=1
	v_add_u32_e32 v10, -8, v7
	scratch_load_dwordx4 v[10:13], v10, off
	v_mov_b32_e32 v97, s10
	ds_read_b128 v[98:101], v97
	v_add_u32_e32 v6, -1, v6
	s_add_i32 s10, s10, 16
	v_cmp_eq_u32_e32 vcc, 0, v6
	v_add_u32_e32 v7, 16, v7
	s_or_b64 s[0:1], vcc, s[0:1]
	s_waitcnt vmcnt(0) lgkmcnt(0)
	v_mul_f64 v[102:103], v[100:101], v[12:13]
	v_mul_f64 v[12:13], v[98:99], v[12:13]
	v_fma_f64 v[98:99], v[98:99], v[10:11], -v[102:103]
	v_fmac_f64_e32 v[12:13], v[100:101], v[10:11]
	v_add_f64 v[2:3], v[2:3], v[98:99]
	v_add_f64 v[4:5], v[4:5], v[12:13]
	s_andn2_b64 exec, exec, s[0:1]
	s_cbranch_execnz .LBB91_144
; %bb.145:
	s_or_b64 exec, exec, s[0:1]
.LBB91_146:
	s_or_b64 exec, exec, s[8:9]
	v_mov_b32_e32 v6, 0
	ds_read_b128 v[10:13], v6 offset:144
	s_waitcnt lgkmcnt(0)
	v_mul_f64 v[6:7], v[4:5], v[12:13]
	v_mul_f64 v[100:101], v[2:3], v[12:13]
	v_fma_f64 v[98:99], v[2:3], v[10:11], -v[6:7]
	v_fmac_f64_e32 v[100:101], v[4:5], v[10:11]
	scratch_store_dwordx4 off, v[98:101], off offset:144
.LBB91_147:
	s_or_b64 exec, exec, s[4:5]
	scratch_load_dwordx4 v[2:5], v91, off
	v_cmp_lt_u32_e64 s[0:1], 8, v0
	s_waitcnt vmcnt(0)
	ds_write_b128 v9, v[2:5]
	s_waitcnt lgkmcnt(0)
	; wave barrier
	s_waitcnt lgkmcnt(0)
	s_and_saveexec_b64 s[4:5], s[0:1]
	s_cbranch_execz .LBB91_155
; %bb.148:
	ds_read_b128 v[2:5], v9
	s_andn2_b64 vcc, exec, s[6:7]
	s_cbranch_vccnz .LBB91_150
; %bb.149:
	scratch_load_dwordx4 v[10:13], v8, off
	s_waitcnt vmcnt(0) lgkmcnt(0)
	v_mul_f64 v[6:7], v[4:5], v[12:13]
	v_mul_f64 v[12:13], v[2:3], v[12:13]
	v_fmac_f64_e32 v[12:13], v[4:5], v[10:11]
	v_fma_f64 v[2:3], v[2:3], v[10:11], -v[6:7]
	v_mov_b64_e32 v[4:5], v[12:13]
.LBB91_150:
	s_and_saveexec_b64 s[8:9], s[2:3]
	s_cbranch_execz .LBB91_154
; %bb.151:
	v_mov_b32_e32 v7, 0
	v_add_u32_e32 v6, -9, v0
	v_add_u32_e32 v7, 0x98, v7
	s_movk_i32 s10, 0x250
	s_mov_b64 s[2:3], 0
.LBB91_152:                             ; =>This Inner Loop Header: Depth=1
	v_add_u32_e32 v10, -8, v7
	scratch_load_dwordx4 v[10:13], v10, off
	v_mov_b32_e32 v97, s10
	ds_read_b128 v[98:101], v97
	v_add_u32_e32 v6, -1, v6
	s_add_i32 s10, s10, 16
	v_cmp_eq_u32_e32 vcc, 0, v6
	v_add_u32_e32 v7, 16, v7
	s_or_b64 s[2:3], vcc, s[2:3]
	s_waitcnt vmcnt(0) lgkmcnt(0)
	v_mul_f64 v[102:103], v[100:101], v[12:13]
	v_mul_f64 v[12:13], v[98:99], v[12:13]
	v_fma_f64 v[98:99], v[98:99], v[10:11], -v[102:103]
	v_fmac_f64_e32 v[12:13], v[100:101], v[10:11]
	v_add_f64 v[2:3], v[2:3], v[98:99]
	v_add_f64 v[4:5], v[4:5], v[12:13]
	s_andn2_b64 exec, exec, s[2:3]
	s_cbranch_execnz .LBB91_152
; %bb.153:
	s_or_b64 exec, exec, s[2:3]
.LBB91_154:
	s_or_b64 exec, exec, s[8:9]
	v_mov_b32_e32 v6, 0
	ds_read_b128 v[10:13], v6 offset:128
	s_waitcnt lgkmcnt(0)
	v_mul_f64 v[6:7], v[4:5], v[12:13]
	v_mul_f64 v[100:101], v[2:3], v[12:13]
	v_fma_f64 v[98:99], v[2:3], v[10:11], -v[6:7]
	v_fmac_f64_e32 v[100:101], v[4:5], v[10:11]
	scratch_store_dwordx4 off, v[98:101], off offset:128
.LBB91_155:
	s_or_b64 exec, exec, s[4:5]
	scratch_load_dwordx4 v[2:5], v95, off
	v_cmp_lt_u32_e64 s[2:3], 7, v0
	s_waitcnt vmcnt(0)
	ds_write_b128 v9, v[2:5]
	s_waitcnt lgkmcnt(0)
	; wave barrier
	s_waitcnt lgkmcnt(0)
	s_and_saveexec_b64 s[4:5], s[2:3]
	s_cbranch_execz .LBB91_163
; %bb.156:
	ds_read_b128 v[2:5], v9
	s_andn2_b64 vcc, exec, s[6:7]
	s_cbranch_vccnz .LBB91_158
; %bb.157:
	scratch_load_dwordx4 v[10:13], v8, off
	s_waitcnt vmcnt(0) lgkmcnt(0)
	v_mul_f64 v[6:7], v[4:5], v[12:13]
	v_mul_f64 v[12:13], v[2:3], v[12:13]
	v_fmac_f64_e32 v[12:13], v[4:5], v[10:11]
	v_fma_f64 v[2:3], v[2:3], v[10:11], -v[6:7]
	v_mov_b64_e32 v[4:5], v[12:13]
.LBB91_158:
	s_and_saveexec_b64 s[8:9], s[0:1]
	s_cbranch_execz .LBB91_162
; %bb.159:
	v_mov_b32_e32 v7, 0
	v_add_u32_e32 v6, -8, v0
	v_add_u32_e32 v7, 0x88, v7
	s_movk_i32 s10, 0x240
	s_mov_b64 s[0:1], 0
.LBB91_160:                             ; =>This Inner Loop Header: Depth=1
	v_add_u32_e32 v10, -8, v7
	scratch_load_dwordx4 v[10:13], v10, off
	v_mov_b32_e32 v97, s10
	ds_read_b128 v[98:101], v97
	v_add_u32_e32 v6, -1, v6
	s_add_i32 s10, s10, 16
	v_cmp_eq_u32_e32 vcc, 0, v6
	v_add_u32_e32 v7, 16, v7
	s_or_b64 s[0:1], vcc, s[0:1]
	s_waitcnt vmcnt(0) lgkmcnt(0)
	v_mul_f64 v[102:103], v[100:101], v[12:13]
	v_mul_f64 v[12:13], v[98:99], v[12:13]
	v_fma_f64 v[98:99], v[98:99], v[10:11], -v[102:103]
	v_fmac_f64_e32 v[12:13], v[100:101], v[10:11]
	v_add_f64 v[2:3], v[2:3], v[98:99]
	v_add_f64 v[4:5], v[4:5], v[12:13]
	s_andn2_b64 exec, exec, s[0:1]
	s_cbranch_execnz .LBB91_160
; %bb.161:
	s_or_b64 exec, exec, s[0:1]
.LBB91_162:
	s_or_b64 exec, exec, s[8:9]
	v_mov_b32_e32 v6, 0
	ds_read_b128 v[10:13], v6 offset:112
	s_waitcnt lgkmcnt(0)
	v_mul_f64 v[6:7], v[4:5], v[12:13]
	v_mul_f64 v[100:101], v[2:3], v[12:13]
	v_fma_f64 v[98:99], v[2:3], v[10:11], -v[6:7]
	v_fmac_f64_e32 v[100:101], v[4:5], v[10:11]
	scratch_store_dwordx4 off, v[98:101], off offset:112
.LBB91_163:
	s_or_b64 exec, exec, s[4:5]
	scratch_load_dwordx4 v[2:5], v92, off
	v_cmp_lt_u32_e64 s[0:1], 6, v0
	s_waitcnt vmcnt(0)
	ds_write_b128 v9, v[2:5]
	s_waitcnt lgkmcnt(0)
	; wave barrier
	s_waitcnt lgkmcnt(0)
	s_and_saveexec_b64 s[4:5], s[0:1]
	s_cbranch_execz .LBB91_171
; %bb.164:
	ds_read_b128 v[2:5], v9
	s_andn2_b64 vcc, exec, s[6:7]
	s_cbranch_vccnz .LBB91_166
; %bb.165:
	scratch_load_dwordx4 v[10:13], v8, off
	s_waitcnt vmcnt(0) lgkmcnt(0)
	v_mul_f64 v[6:7], v[4:5], v[12:13]
	v_mul_f64 v[12:13], v[2:3], v[12:13]
	v_fmac_f64_e32 v[12:13], v[4:5], v[10:11]
	v_fma_f64 v[2:3], v[2:3], v[10:11], -v[6:7]
	v_mov_b64_e32 v[4:5], v[12:13]
.LBB91_166:
	s_and_saveexec_b64 s[8:9], s[2:3]
	s_cbranch_execz .LBB91_170
; %bb.167:
	v_mov_b32_e32 v7, 0
	v_add_u32_e32 v6, -7, v0
	v_add_u32_e32 v7, 0x78, v7
	s_movk_i32 s10, 0x230
	s_mov_b64 s[2:3], 0
.LBB91_168:                             ; =>This Inner Loop Header: Depth=1
	v_add_u32_e32 v10, -8, v7
	scratch_load_dwordx4 v[10:13], v10, off
	v_mov_b32_e32 v97, s10
	ds_read_b128 v[98:101], v97
	v_add_u32_e32 v6, -1, v6
	s_add_i32 s10, s10, 16
	v_cmp_eq_u32_e32 vcc, 0, v6
	v_add_u32_e32 v7, 16, v7
	s_or_b64 s[2:3], vcc, s[2:3]
	s_waitcnt vmcnt(0) lgkmcnt(0)
	v_mul_f64 v[102:103], v[100:101], v[12:13]
	v_mul_f64 v[12:13], v[98:99], v[12:13]
	v_fma_f64 v[98:99], v[98:99], v[10:11], -v[102:103]
	v_fmac_f64_e32 v[12:13], v[100:101], v[10:11]
	v_add_f64 v[2:3], v[2:3], v[98:99]
	v_add_f64 v[4:5], v[4:5], v[12:13]
	s_andn2_b64 exec, exec, s[2:3]
	s_cbranch_execnz .LBB91_168
; %bb.169:
	s_or_b64 exec, exec, s[2:3]
.LBB91_170:
	s_or_b64 exec, exec, s[8:9]
	v_mov_b32_e32 v6, 0
	ds_read_b128 v[10:13], v6 offset:96
	s_waitcnt lgkmcnt(0)
	v_mul_f64 v[6:7], v[4:5], v[12:13]
	v_mul_f64 v[100:101], v[2:3], v[12:13]
	v_fma_f64 v[98:99], v[2:3], v[10:11], -v[6:7]
	v_fmac_f64_e32 v[100:101], v[4:5], v[10:11]
	scratch_store_dwordx4 off, v[98:101], off offset:96
.LBB91_171:
	s_or_b64 exec, exec, s[4:5]
	scratch_load_dwordx4 v[2:5], v93, off
	v_cmp_lt_u32_e64 s[2:3], 5, v0
	s_waitcnt vmcnt(0)
	ds_write_b128 v9, v[2:5]
	s_waitcnt lgkmcnt(0)
	; wave barrier
	s_waitcnt lgkmcnt(0)
	s_and_saveexec_b64 s[4:5], s[2:3]
	s_cbranch_execz .LBB91_179
; %bb.172:
	ds_read_b128 v[2:5], v9
	s_andn2_b64 vcc, exec, s[6:7]
	s_cbranch_vccnz .LBB91_174
; %bb.173:
	scratch_load_dwordx4 v[10:13], v8, off
	s_waitcnt vmcnt(0) lgkmcnt(0)
	v_mul_f64 v[6:7], v[4:5], v[12:13]
	v_mul_f64 v[12:13], v[2:3], v[12:13]
	v_fmac_f64_e32 v[12:13], v[4:5], v[10:11]
	v_fma_f64 v[2:3], v[2:3], v[10:11], -v[6:7]
	v_mov_b64_e32 v[4:5], v[12:13]
.LBB91_174:
	s_and_saveexec_b64 s[8:9], s[0:1]
	s_cbranch_execz .LBB91_178
; %bb.175:
	v_mov_b32_e32 v7, 0
	v_add_u32_e32 v6, -6, v0
	v_add_u32_e32 v7, 0x68, v7
	s_movk_i32 s10, 0x220
	s_mov_b64 s[0:1], 0
.LBB91_176:                             ; =>This Inner Loop Header: Depth=1
	v_add_u32_e32 v10, -8, v7
	scratch_load_dwordx4 v[10:13], v10, off
	v_mov_b32_e32 v97, s10
	ds_read_b128 v[98:101], v97
	v_add_u32_e32 v6, -1, v6
	s_add_i32 s10, s10, 16
	v_cmp_eq_u32_e32 vcc, 0, v6
	v_add_u32_e32 v7, 16, v7
	s_or_b64 s[0:1], vcc, s[0:1]
	s_waitcnt vmcnt(0) lgkmcnt(0)
	v_mul_f64 v[102:103], v[100:101], v[12:13]
	v_mul_f64 v[12:13], v[98:99], v[12:13]
	v_fma_f64 v[98:99], v[98:99], v[10:11], -v[102:103]
	v_fmac_f64_e32 v[12:13], v[100:101], v[10:11]
	v_add_f64 v[2:3], v[2:3], v[98:99]
	v_add_f64 v[4:5], v[4:5], v[12:13]
	s_andn2_b64 exec, exec, s[0:1]
	s_cbranch_execnz .LBB91_176
; %bb.177:
	s_or_b64 exec, exec, s[0:1]
.LBB91_178:
	s_or_b64 exec, exec, s[8:9]
	v_mov_b32_e32 v6, 0
	ds_read_b128 v[10:13], v6 offset:80
	s_waitcnt lgkmcnt(0)
	v_mul_f64 v[6:7], v[4:5], v[12:13]
	v_mul_f64 v[100:101], v[2:3], v[12:13]
	v_fma_f64 v[98:99], v[2:3], v[10:11], -v[6:7]
	v_fmac_f64_e32 v[100:101], v[4:5], v[10:11]
	scratch_store_dwordx4 off, v[98:101], off offset:80
.LBB91_179:
	s_or_b64 exec, exec, s[4:5]
	scratch_load_dwordx4 v[2:5], v88, off
	v_cmp_lt_u32_e64 s[0:1], 4, v0
	s_waitcnt vmcnt(0)
	ds_write_b128 v9, v[2:5]
	s_waitcnt lgkmcnt(0)
	; wave barrier
	s_waitcnt lgkmcnt(0)
	s_and_saveexec_b64 s[4:5], s[0:1]
	s_cbranch_execz .LBB91_187
; %bb.180:
	ds_read_b128 v[2:5], v9
	s_andn2_b64 vcc, exec, s[6:7]
	s_cbranch_vccnz .LBB91_182
; %bb.181:
	scratch_load_dwordx4 v[10:13], v8, off
	s_waitcnt vmcnt(0) lgkmcnt(0)
	v_mul_f64 v[6:7], v[4:5], v[12:13]
	v_mul_f64 v[12:13], v[2:3], v[12:13]
	v_fmac_f64_e32 v[12:13], v[4:5], v[10:11]
	v_fma_f64 v[2:3], v[2:3], v[10:11], -v[6:7]
	v_mov_b64_e32 v[4:5], v[12:13]
.LBB91_182:
	s_and_saveexec_b64 s[8:9], s[2:3]
	s_cbranch_execz .LBB91_186
; %bb.183:
	v_mov_b32_e32 v7, 0
	v_add_u32_e32 v6, -5, v0
	v_add_u32_e32 v7, 0x58, v7
	s_movk_i32 s10, 0x210
	s_mov_b64 s[2:3], 0
.LBB91_184:                             ; =>This Inner Loop Header: Depth=1
	v_add_u32_e32 v10, -8, v7
	scratch_load_dwordx4 v[10:13], v10, off
	v_mov_b32_e32 v97, s10
	ds_read_b128 v[98:101], v97
	v_add_u32_e32 v6, -1, v6
	s_add_i32 s10, s10, 16
	v_cmp_eq_u32_e32 vcc, 0, v6
	v_add_u32_e32 v7, 16, v7
	s_or_b64 s[2:3], vcc, s[2:3]
	s_waitcnt vmcnt(0) lgkmcnt(0)
	v_mul_f64 v[102:103], v[100:101], v[12:13]
	v_mul_f64 v[12:13], v[98:99], v[12:13]
	v_fma_f64 v[98:99], v[98:99], v[10:11], -v[102:103]
	v_fmac_f64_e32 v[12:13], v[100:101], v[10:11]
	v_add_f64 v[2:3], v[2:3], v[98:99]
	v_add_f64 v[4:5], v[4:5], v[12:13]
	s_andn2_b64 exec, exec, s[2:3]
	s_cbranch_execnz .LBB91_184
; %bb.185:
	s_or_b64 exec, exec, s[2:3]
.LBB91_186:
	s_or_b64 exec, exec, s[8:9]
	v_mov_b32_e32 v6, 0
	ds_read_b128 v[10:13], v6 offset:64
	s_waitcnt lgkmcnt(0)
	v_mul_f64 v[6:7], v[4:5], v[12:13]
	v_mul_f64 v[100:101], v[2:3], v[12:13]
	v_fma_f64 v[98:99], v[2:3], v[10:11], -v[6:7]
	v_fmac_f64_e32 v[100:101], v[4:5], v[10:11]
	scratch_store_dwordx4 off, v[98:101], off offset:64
.LBB91_187:
	s_or_b64 exec, exec, s[4:5]
	scratch_load_dwordx4 v[2:5], v84, off
	v_cmp_lt_u32_e64 s[2:3], 3, v0
	s_waitcnt vmcnt(0)
	ds_write_b128 v9, v[2:5]
	s_waitcnt lgkmcnt(0)
	; wave barrier
	s_waitcnt lgkmcnt(0)
	s_and_saveexec_b64 s[4:5], s[2:3]
	s_cbranch_execz .LBB91_195
; %bb.188:
	ds_read_b128 v[2:5], v9
	s_andn2_b64 vcc, exec, s[6:7]
	s_cbranch_vccnz .LBB91_190
; %bb.189:
	scratch_load_dwordx4 v[10:13], v8, off
	s_waitcnt vmcnt(0) lgkmcnt(0)
	v_mul_f64 v[6:7], v[4:5], v[12:13]
	v_mul_f64 v[12:13], v[2:3], v[12:13]
	v_fmac_f64_e32 v[12:13], v[4:5], v[10:11]
	v_fma_f64 v[2:3], v[2:3], v[10:11], -v[6:7]
	v_mov_b64_e32 v[4:5], v[12:13]
.LBB91_190:
	s_and_saveexec_b64 s[8:9], s[0:1]
	s_cbranch_execz .LBB91_194
; %bb.191:
	v_mov_b32_e32 v7, 0
	v_add_u32_e32 v6, -4, v0
	v_add_u32_e32 v7, 0x48, v7
	s_movk_i32 s10, 0x200
	s_mov_b64 s[0:1], 0
.LBB91_192:                             ; =>This Inner Loop Header: Depth=1
	v_add_u32_e32 v10, -8, v7
	scratch_load_dwordx4 v[10:13], v10, off
	v_mov_b32_e32 v97, s10
	ds_read_b128 v[98:101], v97
	v_add_u32_e32 v6, -1, v6
	s_add_i32 s10, s10, 16
	v_cmp_eq_u32_e32 vcc, 0, v6
	v_add_u32_e32 v7, 16, v7
	s_or_b64 s[0:1], vcc, s[0:1]
	s_waitcnt vmcnt(0) lgkmcnt(0)
	v_mul_f64 v[102:103], v[100:101], v[12:13]
	v_mul_f64 v[12:13], v[98:99], v[12:13]
	v_fma_f64 v[98:99], v[98:99], v[10:11], -v[102:103]
	v_fmac_f64_e32 v[12:13], v[100:101], v[10:11]
	v_add_f64 v[2:3], v[2:3], v[98:99]
	v_add_f64 v[4:5], v[4:5], v[12:13]
	s_andn2_b64 exec, exec, s[0:1]
	s_cbranch_execnz .LBB91_192
; %bb.193:
	s_or_b64 exec, exec, s[0:1]
.LBB91_194:
	s_or_b64 exec, exec, s[8:9]
	v_mov_b32_e32 v6, 0
	ds_read_b128 v[10:13], v6 offset:48
	s_waitcnt lgkmcnt(0)
	v_mul_f64 v[6:7], v[4:5], v[12:13]
	v_mul_f64 v[100:101], v[2:3], v[12:13]
	v_fma_f64 v[98:99], v[2:3], v[10:11], -v[6:7]
	v_fmac_f64_e32 v[100:101], v[4:5], v[10:11]
	scratch_store_dwordx4 off, v[98:101], off offset:48
.LBB91_195:
	s_or_b64 exec, exec, s[4:5]
	scratch_load_dwordx4 v[2:5], v89, off
	v_cmp_lt_u32_e64 s[4:5], 2, v0
	s_waitcnt vmcnt(0)
	ds_write_b128 v9, v[2:5]
	s_waitcnt lgkmcnt(0)
	; wave barrier
	s_waitcnt lgkmcnt(0)
	s_and_saveexec_b64 s[0:1], s[4:5]
	s_cbranch_execz .LBB91_203
; %bb.196:
	ds_read_b128 v[2:5], v9
	s_andn2_b64 vcc, exec, s[6:7]
	s_cbranch_vccnz .LBB91_198
; %bb.197:
	scratch_load_dwordx4 v[10:13], v8, off
	s_waitcnt vmcnt(0) lgkmcnt(0)
	v_mul_f64 v[6:7], v[4:5], v[12:13]
	v_mul_f64 v[12:13], v[2:3], v[12:13]
	v_fmac_f64_e32 v[12:13], v[4:5], v[10:11]
	v_fma_f64 v[2:3], v[2:3], v[10:11], -v[6:7]
	v_mov_b64_e32 v[4:5], v[12:13]
.LBB91_198:
	s_and_saveexec_b64 s[8:9], s[2:3]
	s_cbranch_execz .LBB91_202
; %bb.199:
	v_mov_b32_e32 v7, 0
	v_add_u32_e32 v6, -3, v0
	v_add_u32_e32 v7, 56, v7
	s_movk_i32 s10, 0x1f0
	s_mov_b64 s[2:3], 0
.LBB91_200:                             ; =>This Inner Loop Header: Depth=1
	v_add_u32_e32 v10, -8, v7
	scratch_load_dwordx4 v[10:13], v10, off
	v_mov_b32_e32 v97, s10
	ds_read_b128 v[98:101], v97
	v_add_u32_e32 v6, -1, v6
	s_add_i32 s10, s10, 16
	v_cmp_eq_u32_e32 vcc, 0, v6
	v_add_u32_e32 v7, 16, v7
	s_or_b64 s[2:3], vcc, s[2:3]
	s_waitcnt vmcnt(0) lgkmcnt(0)
	v_mul_f64 v[102:103], v[100:101], v[12:13]
	v_mul_f64 v[12:13], v[98:99], v[12:13]
	v_fma_f64 v[98:99], v[98:99], v[10:11], -v[102:103]
	v_fmac_f64_e32 v[12:13], v[100:101], v[10:11]
	v_add_f64 v[2:3], v[2:3], v[98:99]
	v_add_f64 v[4:5], v[4:5], v[12:13]
	s_andn2_b64 exec, exec, s[2:3]
	s_cbranch_execnz .LBB91_200
; %bb.201:
	s_or_b64 exec, exec, s[2:3]
.LBB91_202:
	s_or_b64 exec, exec, s[8:9]
	v_mov_b32_e32 v6, 0
	ds_read_b128 v[10:13], v6 offset:32
	s_waitcnt lgkmcnt(0)
	v_mul_f64 v[6:7], v[4:5], v[12:13]
	v_mul_f64 v[100:101], v[2:3], v[12:13]
	v_fma_f64 v[98:99], v[2:3], v[10:11], -v[6:7]
	v_fmac_f64_e32 v[100:101], v[4:5], v[10:11]
	scratch_store_dwordx4 off, v[98:101], off offset:32
.LBB91_203:
	s_or_b64 exec, exec, s[0:1]
	scratch_load_dwordx4 v[2:5], v85, off
	v_cmp_lt_u32_e64 s[0:1], 1, v0
	s_waitcnt vmcnt(0)
	ds_write_b128 v9, v[2:5]
	s_waitcnt lgkmcnt(0)
	; wave barrier
	s_waitcnt lgkmcnt(0)
	s_and_saveexec_b64 s[2:3], s[0:1]
	s_cbranch_execz .LBB91_211
; %bb.204:
	ds_read_b128 v[2:5], v9
	s_andn2_b64 vcc, exec, s[6:7]
	s_cbranch_vccnz .LBB91_206
; %bb.205:
	scratch_load_dwordx4 v[10:13], v8, off
	s_waitcnt vmcnt(0) lgkmcnt(0)
	v_mul_f64 v[6:7], v[4:5], v[12:13]
	v_mul_f64 v[12:13], v[2:3], v[12:13]
	v_fmac_f64_e32 v[12:13], v[4:5], v[10:11]
	v_fma_f64 v[2:3], v[2:3], v[10:11], -v[6:7]
	v_mov_b64_e32 v[4:5], v[12:13]
.LBB91_206:
	s_and_saveexec_b64 s[8:9], s[4:5]
	s_cbranch_execz .LBB91_210
; %bb.207:
	v_mov_b32_e32 v7, 0
	v_add_u32_e32 v6, -2, v0
	v_add_u32_e32 v7, 40, v7
	s_movk_i32 s10, 0x1e0
	s_mov_b64 s[4:5], 0
.LBB91_208:                             ; =>This Inner Loop Header: Depth=1
	v_add_u32_e32 v10, -8, v7
	scratch_load_dwordx4 v[10:13], v10, off
	v_mov_b32_e32 v97, s10
	ds_read_b128 v[98:101], v97
	v_add_u32_e32 v6, -1, v6
	s_add_i32 s10, s10, 16
	v_cmp_eq_u32_e32 vcc, 0, v6
	v_add_u32_e32 v7, 16, v7
	s_or_b64 s[4:5], vcc, s[4:5]
	s_waitcnt vmcnt(0) lgkmcnt(0)
	v_mul_f64 v[102:103], v[100:101], v[12:13]
	v_mul_f64 v[12:13], v[98:99], v[12:13]
	v_fma_f64 v[98:99], v[98:99], v[10:11], -v[102:103]
	v_fmac_f64_e32 v[12:13], v[100:101], v[10:11]
	v_add_f64 v[2:3], v[2:3], v[98:99]
	v_add_f64 v[4:5], v[4:5], v[12:13]
	s_andn2_b64 exec, exec, s[4:5]
	s_cbranch_execnz .LBB91_208
; %bb.209:
	s_or_b64 exec, exec, s[4:5]
.LBB91_210:
	s_or_b64 exec, exec, s[8:9]
	v_mov_b32_e32 v6, 0
	ds_read_b128 v[10:13], v6 offset:16
	s_waitcnt lgkmcnt(0)
	v_mul_f64 v[6:7], v[4:5], v[12:13]
	v_mul_f64 v[100:101], v[2:3], v[12:13]
	v_fma_f64 v[98:99], v[2:3], v[10:11], -v[6:7]
	v_fmac_f64_e32 v[100:101], v[4:5], v[10:11]
	scratch_store_dwordx4 off, v[98:101], off offset:16
.LBB91_211:
	s_or_b64 exec, exec, s[2:3]
	scratch_load_dwordx4 v[2:5], off, off
	v_cmp_ne_u32_e32 vcc, 0, v0
	s_mov_b64 s[2:3], 0
	s_mov_b64 s[4:5], 0
                                        ; implicit-def: $vgpr6_vgpr7
                                        ; implicit-def: $vgpr10
	s_waitcnt vmcnt(0)
	ds_write_b128 v9, v[2:5]
	s_waitcnt lgkmcnt(0)
	; wave barrier
	s_waitcnt lgkmcnt(0)
	s_and_saveexec_b64 s[8:9], vcc
	s_cbranch_execz .LBB91_219
; %bb.212:
	ds_read_b128 v[2:5], v9
	s_andn2_b64 vcc, exec, s[6:7]
	s_cbranch_vccnz .LBB91_214
; %bb.213:
	scratch_load_dwordx4 v[10:13], v8, off
	s_waitcnt vmcnt(0) lgkmcnt(0)
	v_mul_f64 v[6:7], v[4:5], v[12:13]
	v_mul_f64 v[12:13], v[2:3], v[12:13]
	v_fmac_f64_e32 v[12:13], v[4:5], v[10:11]
	v_fma_f64 v[2:3], v[2:3], v[10:11], -v[6:7]
	v_mov_b64_e32 v[4:5], v[12:13]
.LBB91_214:
	s_and_saveexec_b64 s[4:5], s[0:1]
	s_cbranch_execz .LBB91_218
; %bb.215:
	v_mov_b32_e32 v7, 0
	v_add_u32_e32 v6, -1, v0
	v_add_u32_e32 v7, 24, v7
	s_movk_i32 s10, 0x1d0
	s_mov_b64 s[0:1], 0
.LBB91_216:                             ; =>This Inner Loop Header: Depth=1
	v_add_u32_e32 v10, -8, v7
	scratch_load_dwordx4 v[10:13], v10, off
	v_mov_b32_e32 v97, s10
	ds_read_b128 v[98:101], v97
	v_add_u32_e32 v6, -1, v6
	s_add_i32 s10, s10, 16
	v_cmp_eq_u32_e32 vcc, 0, v6
	v_add_u32_e32 v7, 16, v7
	s_or_b64 s[0:1], vcc, s[0:1]
	s_waitcnt vmcnt(0) lgkmcnt(0)
	v_mul_f64 v[102:103], v[100:101], v[12:13]
	v_mul_f64 v[12:13], v[98:99], v[12:13]
	v_fma_f64 v[98:99], v[98:99], v[10:11], -v[102:103]
	v_fmac_f64_e32 v[12:13], v[100:101], v[10:11]
	v_add_f64 v[2:3], v[2:3], v[98:99]
	v_add_f64 v[4:5], v[4:5], v[12:13]
	s_andn2_b64 exec, exec, s[0:1]
	s_cbranch_execnz .LBB91_216
; %bb.217:
	s_or_b64 exec, exec, s[0:1]
.LBB91_218:
	s_or_b64 exec, exec, s[4:5]
	v_mov_b32_e32 v6, 0
	ds_read_b128 v[98:101], v6
	v_mov_b32_e32 v6, 0
	v_or_b32_e32 v10, 8, v6
	s_mov_b64 s[4:5], exec
	s_waitcnt lgkmcnt(0)
	v_mul_f64 v[12:13], v[4:5], v[100:101]
	v_mul_f64 v[6:7], v[2:3], v[100:101]
	v_fma_f64 v[2:3], v[2:3], v[98:99], -v[12:13]
	v_fmac_f64_e32 v[6:7], v[4:5], v[98:99]
	scratch_store_dwordx2 off, v[2:3], off
.LBB91_219:
	s_or_b64 exec, exec, s[8:9]
	s_and_b64 vcc, exec, s[2:3]
	s_cbranch_vccnz .LBB91_221
	s_branch .LBB91_432
.LBB91_220:
	s_mov_b64 s[4:5], 0
                                        ; implicit-def: $vgpr6_vgpr7
                                        ; implicit-def: $vgpr10
	s_cbranch_execz .LBB91_432
.LBB91_221:
	scratch_load_dwordx4 v[2:5], v85, off
	v_cndmask_b32_e64 v6, 0, 1, s[6:7]
	v_cmp_eq_u32_e64 s[2:3], 0, v0
	v_cmp_ne_u32_e64 s[0:1], 1, v6
	s_waitcnt vmcnt(0)
	ds_write_b128 v9, v[2:5]
	s_waitcnt lgkmcnt(0)
	; wave barrier
	s_waitcnt lgkmcnt(0)
	s_and_saveexec_b64 s[6:7], s[2:3]
	s_cbranch_execz .LBB91_225
; %bb.222:
	ds_read_b128 v[2:5], v9
	s_and_b64 vcc, exec, s[0:1]
	s_cbranch_vccnz .LBB91_224
; %bb.223:
	scratch_load_dwordx4 v[10:13], v8, off
	s_waitcnt vmcnt(0) lgkmcnt(0)
	v_mul_f64 v[6:7], v[4:5], v[12:13]
	v_mul_f64 v[12:13], v[2:3], v[12:13]
	v_fmac_f64_e32 v[12:13], v[4:5], v[10:11]
	v_fma_f64 v[2:3], v[2:3], v[10:11], -v[6:7]
	v_mov_b64_e32 v[4:5], v[12:13]
.LBB91_224:
	v_mov_b32_e32 v6, 0
	ds_read_b128 v[10:13], v6 offset:16
	s_waitcnt lgkmcnt(0)
	v_mul_f64 v[6:7], v[4:5], v[12:13]
	v_mul_f64 v[100:101], v[2:3], v[12:13]
	v_fma_f64 v[98:99], v[2:3], v[10:11], -v[6:7]
	v_fmac_f64_e32 v[100:101], v[4:5], v[10:11]
	scratch_store_dwordx4 off, v[98:101], off offset:16
.LBB91_225:
	s_or_b64 exec, exec, s[6:7]
	scratch_load_dwordx4 v[2:5], v89, off
	v_cmp_gt_u32_e32 vcc, 2, v0
	s_waitcnt vmcnt(0)
	ds_write_b128 v9, v[2:5]
	s_waitcnt lgkmcnt(0)
	; wave barrier
	s_waitcnt lgkmcnt(0)
	s_and_saveexec_b64 s[6:7], vcc
	s_cbranch_execz .LBB91_231
; %bb.226:
	ds_read_b128 v[2:5], v9
	s_and_b64 vcc, exec, s[0:1]
	s_cbranch_vccnz .LBB91_228
; %bb.227:
	scratch_load_dwordx4 v[10:13], v8, off
	s_waitcnt vmcnt(0) lgkmcnt(0)
	v_mul_f64 v[6:7], v[4:5], v[12:13]
	v_mul_f64 v[12:13], v[2:3], v[12:13]
	v_fmac_f64_e32 v[12:13], v[4:5], v[10:11]
	v_fma_f64 v[2:3], v[2:3], v[10:11], -v[6:7]
	v_mov_b64_e32 v[4:5], v[12:13]
.LBB91_228:
	s_and_saveexec_b64 s[8:9], s[2:3]
	s_cbranch_execz .LBB91_230
; %bb.229:
	scratch_load_dwordx4 v[10:13], v8, off offset:16
	ds_read_b128 v[98:101], v9 offset:16
	s_waitcnt vmcnt(0) lgkmcnt(0)
	v_mul_f64 v[6:7], v[100:101], v[12:13]
	v_mul_f64 v[12:13], v[98:99], v[12:13]
	v_fma_f64 v[6:7], v[98:99], v[10:11], -v[6:7]
	v_fmac_f64_e32 v[12:13], v[100:101], v[10:11]
	v_add_f64 v[2:3], v[2:3], v[6:7]
	v_add_f64 v[4:5], v[4:5], v[12:13]
.LBB91_230:
	s_or_b64 exec, exec, s[8:9]
	v_mov_b32_e32 v6, 0
	ds_read_b128 v[10:13], v6 offset:32
	s_waitcnt lgkmcnt(0)
	v_mul_f64 v[6:7], v[4:5], v[12:13]
	v_mul_f64 v[100:101], v[2:3], v[12:13]
	v_fma_f64 v[98:99], v[2:3], v[10:11], -v[6:7]
	v_fmac_f64_e32 v[100:101], v[4:5], v[10:11]
	scratch_store_dwordx4 off, v[98:101], off offset:32
.LBB91_231:
	s_or_b64 exec, exec, s[6:7]
	scratch_load_dwordx4 v[2:5], v84, off
	v_cmp_gt_u32_e32 vcc, 3, v0
	s_waitcnt vmcnt(0)
	ds_write_b128 v9, v[2:5]
	s_waitcnt lgkmcnt(0)
	; wave barrier
	s_waitcnt lgkmcnt(0)
	s_and_saveexec_b64 s[6:7], vcc
	s_cbranch_execz .LBB91_239
; %bb.232:
	ds_read_b128 v[2:5], v9
	s_and_b64 vcc, exec, s[0:1]
	s_cbranch_vccnz .LBB91_234
; %bb.233:
	scratch_load_dwordx4 v[10:13], v8, off
	s_waitcnt vmcnt(0) lgkmcnt(0)
	v_mul_f64 v[6:7], v[4:5], v[12:13]
	v_mul_f64 v[12:13], v[2:3], v[12:13]
	v_fmac_f64_e32 v[12:13], v[4:5], v[10:11]
	v_fma_f64 v[2:3], v[2:3], v[10:11], -v[6:7]
	v_mov_b64_e32 v[4:5], v[12:13]
.LBB91_234:
	v_cmp_ne_u32_e32 vcc, 2, v0
	s_and_saveexec_b64 s[8:9], vcc
	s_cbranch_execz .LBB91_238
; %bb.235:
	scratch_load_dwordx4 v[10:13], v8, off offset:16
	ds_read_b128 v[98:101], v9 offset:16
	s_waitcnt vmcnt(0) lgkmcnt(0)
	v_mul_f64 v[6:7], v[100:101], v[12:13]
	v_mul_f64 v[12:13], v[98:99], v[12:13]
	v_fma_f64 v[6:7], v[98:99], v[10:11], -v[6:7]
	v_fmac_f64_e32 v[12:13], v[100:101], v[10:11]
	v_add_f64 v[2:3], v[2:3], v[6:7]
	v_add_f64 v[4:5], v[4:5], v[12:13]
	s_and_saveexec_b64 s[10:11], s[2:3]
	s_cbranch_execz .LBB91_237
; %bb.236:
	scratch_load_dwordx4 v[10:13], off, off offset:32
	v_mov_b32_e32 v6, 0
	ds_read_b128 v[98:101], v6 offset:480
	s_waitcnt vmcnt(0) lgkmcnt(0)
	v_mul_f64 v[6:7], v[98:99], v[12:13]
	v_mul_f64 v[12:13], v[100:101], v[12:13]
	v_fmac_f64_e32 v[6:7], v[100:101], v[10:11]
	v_fma_f64 v[10:11], v[98:99], v[10:11], -v[12:13]
	v_add_f64 v[4:5], v[4:5], v[6:7]
	v_add_f64 v[2:3], v[2:3], v[10:11]
.LBB91_237:
	s_or_b64 exec, exec, s[10:11]
.LBB91_238:
	s_or_b64 exec, exec, s[8:9]
	v_mov_b32_e32 v6, 0
	ds_read_b128 v[10:13], v6 offset:48
	s_waitcnt lgkmcnt(0)
	v_mul_f64 v[6:7], v[4:5], v[12:13]
	v_mul_f64 v[100:101], v[2:3], v[12:13]
	v_fma_f64 v[98:99], v[2:3], v[10:11], -v[6:7]
	v_fmac_f64_e32 v[100:101], v[4:5], v[10:11]
	scratch_store_dwordx4 off, v[98:101], off offset:48
.LBB91_239:
	s_or_b64 exec, exec, s[6:7]
	scratch_load_dwordx4 v[2:5], v88, off
	v_cmp_gt_u32_e32 vcc, 4, v0
	s_waitcnt vmcnt(0)
	ds_write_b128 v9, v[2:5]
	s_waitcnt lgkmcnt(0)
	; wave barrier
	s_waitcnt lgkmcnt(0)
	s_and_saveexec_b64 s[2:3], vcc
	s_cbranch_execz .LBB91_247
; %bb.240:
	ds_read_b128 v[2:5], v9
	s_and_b64 vcc, exec, s[0:1]
	s_cbranch_vccnz .LBB91_242
; %bb.241:
	scratch_load_dwordx4 v[10:13], v8, off
	s_waitcnt vmcnt(0) lgkmcnt(0)
	v_mul_f64 v[6:7], v[4:5], v[12:13]
	v_mul_f64 v[12:13], v[2:3], v[12:13]
	v_fmac_f64_e32 v[12:13], v[4:5], v[10:11]
	v_fma_f64 v[2:3], v[2:3], v[10:11], -v[6:7]
	v_mov_b64_e32 v[4:5], v[12:13]
.LBB91_242:
	v_cmp_ne_u32_e32 vcc, 3, v0
	s_and_saveexec_b64 s[6:7], vcc
	s_cbranch_execz .LBB91_246
; %bb.243:
	v_mov_b32_e32 v7, 0
	v_add_u32_e32 v6, 0x1d0, v14
	v_add3_u32 v7, v14, v7, 24
	s_mov_b64 s[8:9], 0
	v_mov_b32_e32 v10, v0
.LBB91_244:                             ; =>This Inner Loop Header: Depth=1
	v_add_u32_e32 v11, -8, v7
	scratch_load_dwordx4 v[98:101], v11, off
	ds_read_b128 v[102:105], v6
	v_add_u32_e32 v10, 1, v10
	v_cmp_lt_u32_e32 vcc, 2, v10
	v_add_u32_e32 v6, 16, v6
	v_add_u32_e32 v7, 16, v7
	s_or_b64 s[8:9], vcc, s[8:9]
	s_waitcnt vmcnt(0) lgkmcnt(0)
	v_mul_f64 v[12:13], v[104:105], v[100:101]
	v_mul_f64 v[100:101], v[102:103], v[100:101]
	v_fma_f64 v[12:13], v[102:103], v[98:99], -v[12:13]
	v_fmac_f64_e32 v[100:101], v[104:105], v[98:99]
	v_add_f64 v[2:3], v[2:3], v[12:13]
	v_add_f64 v[4:5], v[4:5], v[100:101]
	s_andn2_b64 exec, exec, s[8:9]
	s_cbranch_execnz .LBB91_244
; %bb.245:
	s_or_b64 exec, exec, s[8:9]
.LBB91_246:
	s_or_b64 exec, exec, s[6:7]
	v_mov_b32_e32 v6, 0
	ds_read_b128 v[10:13], v6 offset:64
	s_waitcnt lgkmcnt(0)
	v_mul_f64 v[6:7], v[4:5], v[12:13]
	v_mul_f64 v[100:101], v[2:3], v[12:13]
	v_fma_f64 v[98:99], v[2:3], v[10:11], -v[6:7]
	v_fmac_f64_e32 v[100:101], v[4:5], v[10:11]
	scratch_store_dwordx4 off, v[98:101], off offset:64
.LBB91_247:
	s_or_b64 exec, exec, s[2:3]
	scratch_load_dwordx4 v[2:5], v93, off
	v_cmp_gt_u32_e32 vcc, 5, v0
	s_waitcnt vmcnt(0)
	ds_write_b128 v9, v[2:5]
	s_waitcnt lgkmcnt(0)
	; wave barrier
	s_waitcnt lgkmcnt(0)
	s_and_saveexec_b64 s[2:3], vcc
	s_cbranch_execz .LBB91_255
; %bb.248:
	ds_read_b128 v[2:5], v9
	s_and_b64 vcc, exec, s[0:1]
	s_cbranch_vccnz .LBB91_250
; %bb.249:
	scratch_load_dwordx4 v[10:13], v8, off
	s_waitcnt vmcnt(0) lgkmcnt(0)
	v_mul_f64 v[6:7], v[4:5], v[12:13]
	v_mul_f64 v[12:13], v[2:3], v[12:13]
	v_fmac_f64_e32 v[12:13], v[4:5], v[10:11]
	v_fma_f64 v[2:3], v[2:3], v[10:11], -v[6:7]
	v_mov_b64_e32 v[4:5], v[12:13]
.LBB91_250:
	v_cmp_ne_u32_e32 vcc, 4, v0
	s_and_saveexec_b64 s[6:7], vcc
	s_cbranch_execz .LBB91_254
; %bb.251:
	v_mov_b32_e32 v7, 0
	v_add_u32_e32 v6, 0x1d0, v14
	v_add3_u32 v7, v14, v7, 24
	s_mov_b64 s[8:9], 0
	v_mov_b32_e32 v10, v0
.LBB91_252:                             ; =>This Inner Loop Header: Depth=1
	v_add_u32_e32 v11, -8, v7
	scratch_load_dwordx4 v[98:101], v11, off
	ds_read_b128 v[102:105], v6
	v_add_u32_e32 v10, 1, v10
	v_cmp_lt_u32_e32 vcc, 3, v10
	v_add_u32_e32 v6, 16, v6
	v_add_u32_e32 v7, 16, v7
	s_or_b64 s[8:9], vcc, s[8:9]
	s_waitcnt vmcnt(0) lgkmcnt(0)
	v_mul_f64 v[12:13], v[104:105], v[100:101]
	v_mul_f64 v[100:101], v[102:103], v[100:101]
	v_fma_f64 v[12:13], v[102:103], v[98:99], -v[12:13]
	v_fmac_f64_e32 v[100:101], v[104:105], v[98:99]
	v_add_f64 v[2:3], v[2:3], v[12:13]
	v_add_f64 v[4:5], v[4:5], v[100:101]
	s_andn2_b64 exec, exec, s[8:9]
	s_cbranch_execnz .LBB91_252
; %bb.253:
	s_or_b64 exec, exec, s[8:9]
.LBB91_254:
	s_or_b64 exec, exec, s[6:7]
	v_mov_b32_e32 v6, 0
	ds_read_b128 v[10:13], v6 offset:80
	s_waitcnt lgkmcnt(0)
	v_mul_f64 v[6:7], v[4:5], v[12:13]
	v_mul_f64 v[100:101], v[2:3], v[12:13]
	v_fma_f64 v[98:99], v[2:3], v[10:11], -v[6:7]
	v_fmac_f64_e32 v[100:101], v[4:5], v[10:11]
	scratch_store_dwordx4 off, v[98:101], off offset:80
.LBB91_255:
	s_or_b64 exec, exec, s[2:3]
	scratch_load_dwordx4 v[2:5], v92, off
	v_cmp_gt_u32_e32 vcc, 6, v0
	s_waitcnt vmcnt(0)
	ds_write_b128 v9, v[2:5]
	s_waitcnt lgkmcnt(0)
	; wave barrier
	s_waitcnt lgkmcnt(0)
	s_and_saveexec_b64 s[2:3], vcc
	s_cbranch_execz .LBB91_263
; %bb.256:
	ds_read_b128 v[2:5], v9
	s_and_b64 vcc, exec, s[0:1]
	s_cbranch_vccnz .LBB91_258
; %bb.257:
	scratch_load_dwordx4 v[10:13], v8, off
	s_waitcnt vmcnt(0) lgkmcnt(0)
	v_mul_f64 v[6:7], v[4:5], v[12:13]
	v_mul_f64 v[12:13], v[2:3], v[12:13]
	v_fmac_f64_e32 v[12:13], v[4:5], v[10:11]
	v_fma_f64 v[2:3], v[2:3], v[10:11], -v[6:7]
	v_mov_b64_e32 v[4:5], v[12:13]
.LBB91_258:
	v_cmp_ne_u32_e32 vcc, 5, v0
	s_and_saveexec_b64 s[6:7], vcc
	s_cbranch_execz .LBB91_262
; %bb.259:
	v_mov_b32_e32 v7, 0
	v_add_u32_e32 v6, 0x1d0, v14
	v_add3_u32 v7, v14, v7, 24
	s_mov_b64 s[8:9], 0
	v_mov_b32_e32 v10, v0
.LBB91_260:                             ; =>This Inner Loop Header: Depth=1
	v_add_u32_e32 v11, -8, v7
	scratch_load_dwordx4 v[98:101], v11, off
	ds_read_b128 v[102:105], v6
	v_add_u32_e32 v10, 1, v10
	v_cmp_lt_u32_e32 vcc, 4, v10
	v_add_u32_e32 v6, 16, v6
	v_add_u32_e32 v7, 16, v7
	s_or_b64 s[8:9], vcc, s[8:9]
	s_waitcnt vmcnt(0) lgkmcnt(0)
	v_mul_f64 v[12:13], v[104:105], v[100:101]
	v_mul_f64 v[100:101], v[102:103], v[100:101]
	v_fma_f64 v[12:13], v[102:103], v[98:99], -v[12:13]
	v_fmac_f64_e32 v[100:101], v[104:105], v[98:99]
	v_add_f64 v[2:3], v[2:3], v[12:13]
	v_add_f64 v[4:5], v[4:5], v[100:101]
	s_andn2_b64 exec, exec, s[8:9]
	s_cbranch_execnz .LBB91_260
; %bb.261:
	s_or_b64 exec, exec, s[8:9]
.LBB91_262:
	s_or_b64 exec, exec, s[6:7]
	v_mov_b32_e32 v6, 0
	ds_read_b128 v[10:13], v6 offset:96
	s_waitcnt lgkmcnt(0)
	v_mul_f64 v[6:7], v[4:5], v[12:13]
	v_mul_f64 v[100:101], v[2:3], v[12:13]
	v_fma_f64 v[98:99], v[2:3], v[10:11], -v[6:7]
	v_fmac_f64_e32 v[100:101], v[4:5], v[10:11]
	scratch_store_dwordx4 off, v[98:101], off offset:96
.LBB91_263:
	s_or_b64 exec, exec, s[2:3]
	scratch_load_dwordx4 v[2:5], v95, off
	v_cmp_gt_u32_e32 vcc, 7, v0
	s_waitcnt vmcnt(0)
	ds_write_b128 v9, v[2:5]
	s_waitcnt lgkmcnt(0)
	; wave barrier
	s_waitcnt lgkmcnt(0)
	s_and_saveexec_b64 s[2:3], vcc
	s_cbranch_execz .LBB91_271
; %bb.264:
	ds_read_b128 v[2:5], v9
	s_and_b64 vcc, exec, s[0:1]
	s_cbranch_vccnz .LBB91_266
; %bb.265:
	scratch_load_dwordx4 v[10:13], v8, off
	s_waitcnt vmcnt(0) lgkmcnt(0)
	v_mul_f64 v[6:7], v[4:5], v[12:13]
	v_mul_f64 v[12:13], v[2:3], v[12:13]
	v_fmac_f64_e32 v[12:13], v[4:5], v[10:11]
	v_fma_f64 v[2:3], v[2:3], v[10:11], -v[6:7]
	v_mov_b64_e32 v[4:5], v[12:13]
.LBB91_266:
	v_cmp_ne_u32_e32 vcc, 6, v0
	s_and_saveexec_b64 s[6:7], vcc
	s_cbranch_execz .LBB91_270
; %bb.267:
	v_mov_b32_e32 v7, 0
	v_add_u32_e32 v6, 0x1d0, v14
	v_add3_u32 v7, v14, v7, 24
	s_mov_b64 s[8:9], 0
	v_mov_b32_e32 v10, v0
.LBB91_268:                             ; =>This Inner Loop Header: Depth=1
	v_add_u32_e32 v11, -8, v7
	scratch_load_dwordx4 v[98:101], v11, off
	ds_read_b128 v[102:105], v6
	v_add_u32_e32 v10, 1, v10
	v_cmp_lt_u32_e32 vcc, 5, v10
	v_add_u32_e32 v6, 16, v6
	v_add_u32_e32 v7, 16, v7
	s_or_b64 s[8:9], vcc, s[8:9]
	s_waitcnt vmcnt(0) lgkmcnt(0)
	v_mul_f64 v[12:13], v[104:105], v[100:101]
	v_mul_f64 v[100:101], v[102:103], v[100:101]
	v_fma_f64 v[12:13], v[102:103], v[98:99], -v[12:13]
	v_fmac_f64_e32 v[100:101], v[104:105], v[98:99]
	v_add_f64 v[2:3], v[2:3], v[12:13]
	v_add_f64 v[4:5], v[4:5], v[100:101]
	s_andn2_b64 exec, exec, s[8:9]
	s_cbranch_execnz .LBB91_268
; %bb.269:
	s_or_b64 exec, exec, s[8:9]
.LBB91_270:
	s_or_b64 exec, exec, s[6:7]
	v_mov_b32_e32 v6, 0
	ds_read_b128 v[10:13], v6 offset:112
	s_waitcnt lgkmcnt(0)
	v_mul_f64 v[6:7], v[4:5], v[12:13]
	v_mul_f64 v[100:101], v[2:3], v[12:13]
	v_fma_f64 v[98:99], v[2:3], v[10:11], -v[6:7]
	v_fmac_f64_e32 v[100:101], v[4:5], v[10:11]
	scratch_store_dwordx4 off, v[98:101], off offset:112
.LBB91_271:
	s_or_b64 exec, exec, s[2:3]
	scratch_load_dwordx4 v[2:5], v91, off
	v_cmp_gt_u32_e32 vcc, 8, v0
	s_waitcnt vmcnt(0)
	ds_write_b128 v9, v[2:5]
	s_waitcnt lgkmcnt(0)
	; wave barrier
	s_waitcnt lgkmcnt(0)
	s_and_saveexec_b64 s[2:3], vcc
	s_cbranch_execz .LBB91_279
; %bb.272:
	ds_read_b128 v[2:5], v9
	s_and_b64 vcc, exec, s[0:1]
	s_cbranch_vccnz .LBB91_274
; %bb.273:
	scratch_load_dwordx4 v[10:13], v8, off
	s_waitcnt vmcnt(0) lgkmcnt(0)
	v_mul_f64 v[6:7], v[4:5], v[12:13]
	v_mul_f64 v[12:13], v[2:3], v[12:13]
	v_fmac_f64_e32 v[12:13], v[4:5], v[10:11]
	v_fma_f64 v[2:3], v[2:3], v[10:11], -v[6:7]
	v_mov_b64_e32 v[4:5], v[12:13]
.LBB91_274:
	v_cmp_ne_u32_e32 vcc, 7, v0
	s_and_saveexec_b64 s[6:7], vcc
	s_cbranch_execz .LBB91_278
; %bb.275:
	v_mov_b32_e32 v7, 0
	v_add_u32_e32 v6, 0x1d0, v14
	v_add3_u32 v7, v14, v7, 24
	s_mov_b64 s[8:9], 0
	v_mov_b32_e32 v10, v0
.LBB91_276:                             ; =>This Inner Loop Header: Depth=1
	v_add_u32_e32 v11, -8, v7
	scratch_load_dwordx4 v[98:101], v11, off
	ds_read_b128 v[102:105], v6
	v_add_u32_e32 v10, 1, v10
	v_cmp_lt_u32_e32 vcc, 6, v10
	v_add_u32_e32 v6, 16, v6
	v_add_u32_e32 v7, 16, v7
	s_or_b64 s[8:9], vcc, s[8:9]
	s_waitcnt vmcnt(0) lgkmcnt(0)
	v_mul_f64 v[12:13], v[104:105], v[100:101]
	v_mul_f64 v[100:101], v[102:103], v[100:101]
	v_fma_f64 v[12:13], v[102:103], v[98:99], -v[12:13]
	v_fmac_f64_e32 v[100:101], v[104:105], v[98:99]
	v_add_f64 v[2:3], v[2:3], v[12:13]
	v_add_f64 v[4:5], v[4:5], v[100:101]
	s_andn2_b64 exec, exec, s[8:9]
	s_cbranch_execnz .LBB91_276
; %bb.277:
	s_or_b64 exec, exec, s[8:9]
.LBB91_278:
	s_or_b64 exec, exec, s[6:7]
	v_mov_b32_e32 v6, 0
	ds_read_b128 v[10:13], v6 offset:128
	s_waitcnt lgkmcnt(0)
	v_mul_f64 v[6:7], v[4:5], v[12:13]
	v_mul_f64 v[100:101], v[2:3], v[12:13]
	v_fma_f64 v[98:99], v[2:3], v[10:11], -v[6:7]
	v_fmac_f64_e32 v[100:101], v[4:5], v[10:11]
	scratch_store_dwordx4 off, v[98:101], off offset:128
.LBB91_279:
	s_or_b64 exec, exec, s[2:3]
	scratch_load_dwordx4 v[2:5], v94, off
	v_cmp_gt_u32_e32 vcc, 9, v0
	s_waitcnt vmcnt(0)
	ds_write_b128 v9, v[2:5]
	s_waitcnt lgkmcnt(0)
	; wave barrier
	s_waitcnt lgkmcnt(0)
	s_and_saveexec_b64 s[2:3], vcc
	s_cbranch_execz .LBB91_287
; %bb.280:
	ds_read_b128 v[2:5], v9
	s_and_b64 vcc, exec, s[0:1]
	s_cbranch_vccnz .LBB91_282
; %bb.281:
	scratch_load_dwordx4 v[10:13], v8, off
	s_waitcnt vmcnt(0) lgkmcnt(0)
	v_mul_f64 v[6:7], v[4:5], v[12:13]
	v_mul_f64 v[12:13], v[2:3], v[12:13]
	v_fmac_f64_e32 v[12:13], v[4:5], v[10:11]
	v_fma_f64 v[2:3], v[2:3], v[10:11], -v[6:7]
	v_mov_b64_e32 v[4:5], v[12:13]
.LBB91_282:
	v_cmp_ne_u32_e32 vcc, 8, v0
	s_and_saveexec_b64 s[6:7], vcc
	s_cbranch_execz .LBB91_286
; %bb.283:
	v_mov_b32_e32 v7, 0
	v_add_u32_e32 v6, 0x1d0, v14
	v_add3_u32 v7, v14, v7, 24
	s_mov_b64 s[8:9], 0
	v_mov_b32_e32 v10, v0
.LBB91_284:                             ; =>This Inner Loop Header: Depth=1
	v_add_u32_e32 v11, -8, v7
	scratch_load_dwordx4 v[98:101], v11, off
	ds_read_b128 v[102:105], v6
	v_add_u32_e32 v10, 1, v10
	v_cmp_lt_u32_e32 vcc, 7, v10
	v_add_u32_e32 v6, 16, v6
	v_add_u32_e32 v7, 16, v7
	s_or_b64 s[8:9], vcc, s[8:9]
	s_waitcnt vmcnt(0) lgkmcnt(0)
	v_mul_f64 v[12:13], v[104:105], v[100:101]
	v_mul_f64 v[100:101], v[102:103], v[100:101]
	v_fma_f64 v[12:13], v[102:103], v[98:99], -v[12:13]
	v_fmac_f64_e32 v[100:101], v[104:105], v[98:99]
	v_add_f64 v[2:3], v[2:3], v[12:13]
	v_add_f64 v[4:5], v[4:5], v[100:101]
	s_andn2_b64 exec, exec, s[8:9]
	s_cbranch_execnz .LBB91_284
; %bb.285:
	s_or_b64 exec, exec, s[8:9]
.LBB91_286:
	s_or_b64 exec, exec, s[6:7]
	v_mov_b32_e32 v6, 0
	ds_read_b128 v[10:13], v6 offset:144
	s_waitcnt lgkmcnt(0)
	v_mul_f64 v[6:7], v[4:5], v[12:13]
	v_mul_f64 v[100:101], v[2:3], v[12:13]
	v_fma_f64 v[98:99], v[2:3], v[10:11], -v[6:7]
	v_fmac_f64_e32 v[100:101], v[4:5], v[10:11]
	scratch_store_dwordx4 off, v[98:101], off offset:144
.LBB91_287:
	s_or_b64 exec, exec, s[2:3]
	scratch_load_dwordx4 v[2:5], v96, off
	v_cmp_gt_u32_e32 vcc, 10, v0
	s_waitcnt vmcnt(0)
	ds_write_b128 v9, v[2:5]
	s_waitcnt lgkmcnt(0)
	; wave barrier
	s_waitcnt lgkmcnt(0)
	s_and_saveexec_b64 s[2:3], vcc
	s_cbranch_execz .LBB91_295
; %bb.288:
	ds_read_b128 v[2:5], v9
	s_and_b64 vcc, exec, s[0:1]
	s_cbranch_vccnz .LBB91_290
; %bb.289:
	scratch_load_dwordx4 v[10:13], v8, off
	s_waitcnt vmcnt(0) lgkmcnt(0)
	v_mul_f64 v[6:7], v[4:5], v[12:13]
	v_mul_f64 v[12:13], v[2:3], v[12:13]
	v_fmac_f64_e32 v[12:13], v[4:5], v[10:11]
	v_fma_f64 v[2:3], v[2:3], v[10:11], -v[6:7]
	v_mov_b64_e32 v[4:5], v[12:13]
.LBB91_290:
	v_cmp_ne_u32_e32 vcc, 9, v0
	s_and_saveexec_b64 s[6:7], vcc
	s_cbranch_execz .LBB91_294
; %bb.291:
	v_mov_b32_e32 v7, 0
	v_add_u32_e32 v6, 0x1d0, v14
	v_add3_u32 v7, v14, v7, 24
	s_mov_b64 s[8:9], 0
	v_mov_b32_e32 v10, v0
.LBB91_292:                             ; =>This Inner Loop Header: Depth=1
	v_add_u32_e32 v11, -8, v7
	scratch_load_dwordx4 v[98:101], v11, off
	ds_read_b128 v[102:105], v6
	v_add_u32_e32 v10, 1, v10
	v_cmp_lt_u32_e32 vcc, 8, v10
	v_add_u32_e32 v6, 16, v6
	v_add_u32_e32 v7, 16, v7
	s_or_b64 s[8:9], vcc, s[8:9]
	s_waitcnt vmcnt(0) lgkmcnt(0)
	v_mul_f64 v[12:13], v[104:105], v[100:101]
	v_mul_f64 v[100:101], v[102:103], v[100:101]
	v_fma_f64 v[12:13], v[102:103], v[98:99], -v[12:13]
	v_fmac_f64_e32 v[100:101], v[104:105], v[98:99]
	v_add_f64 v[2:3], v[2:3], v[12:13]
	v_add_f64 v[4:5], v[4:5], v[100:101]
	s_andn2_b64 exec, exec, s[8:9]
	s_cbranch_execnz .LBB91_292
; %bb.293:
	s_or_b64 exec, exec, s[8:9]
.LBB91_294:
	s_or_b64 exec, exec, s[6:7]
	v_mov_b32_e32 v6, 0
	ds_read_b128 v[10:13], v6 offset:160
	s_waitcnt lgkmcnt(0)
	v_mul_f64 v[6:7], v[4:5], v[12:13]
	v_mul_f64 v[100:101], v[2:3], v[12:13]
	v_fma_f64 v[98:99], v[2:3], v[10:11], -v[6:7]
	v_fmac_f64_e32 v[100:101], v[4:5], v[10:11]
	scratch_store_dwordx4 off, v[98:101], off offset:160
.LBB91_295:
	s_or_b64 exec, exec, s[2:3]
	scratch_load_dwordx4 v[2:5], v90, off
	v_cmp_gt_u32_e32 vcc, 11, v0
	s_waitcnt vmcnt(0)
	ds_write_b128 v9, v[2:5]
	s_waitcnt lgkmcnt(0)
	; wave barrier
	s_waitcnt lgkmcnt(0)
	s_and_saveexec_b64 s[2:3], vcc
	s_cbranch_execz .LBB91_303
; %bb.296:
	ds_read_b128 v[2:5], v9
	s_and_b64 vcc, exec, s[0:1]
	s_cbranch_vccnz .LBB91_298
; %bb.297:
	scratch_load_dwordx4 v[10:13], v8, off
	s_waitcnt vmcnt(0) lgkmcnt(0)
	v_mul_f64 v[6:7], v[4:5], v[12:13]
	v_mul_f64 v[12:13], v[2:3], v[12:13]
	v_fmac_f64_e32 v[12:13], v[4:5], v[10:11]
	v_fma_f64 v[2:3], v[2:3], v[10:11], -v[6:7]
	v_mov_b64_e32 v[4:5], v[12:13]
.LBB91_298:
	v_cmp_ne_u32_e32 vcc, 10, v0
	s_and_saveexec_b64 s[6:7], vcc
	s_cbranch_execz .LBB91_302
; %bb.299:
	v_mov_b32_e32 v7, 0
	v_add_u32_e32 v6, 0x1d0, v14
	v_add3_u32 v7, v14, v7, 24
	s_mov_b64 s[8:9], 0
	v_mov_b32_e32 v10, v0
.LBB91_300:                             ; =>This Inner Loop Header: Depth=1
	v_add_u32_e32 v11, -8, v7
	scratch_load_dwordx4 v[98:101], v11, off
	ds_read_b128 v[102:105], v6
	v_add_u32_e32 v10, 1, v10
	v_cmp_lt_u32_e32 vcc, 9, v10
	v_add_u32_e32 v6, 16, v6
	v_add_u32_e32 v7, 16, v7
	s_or_b64 s[8:9], vcc, s[8:9]
	s_waitcnt vmcnt(0) lgkmcnt(0)
	v_mul_f64 v[12:13], v[104:105], v[100:101]
	v_mul_f64 v[100:101], v[102:103], v[100:101]
	v_fma_f64 v[12:13], v[102:103], v[98:99], -v[12:13]
	v_fmac_f64_e32 v[100:101], v[104:105], v[98:99]
	v_add_f64 v[2:3], v[2:3], v[12:13]
	v_add_f64 v[4:5], v[4:5], v[100:101]
	s_andn2_b64 exec, exec, s[8:9]
	s_cbranch_execnz .LBB91_300
; %bb.301:
	s_or_b64 exec, exec, s[8:9]
.LBB91_302:
	s_or_b64 exec, exec, s[6:7]
	v_mov_b32_e32 v6, 0
	ds_read_b128 v[10:13], v6 offset:176
	s_waitcnt lgkmcnt(0)
	v_mul_f64 v[6:7], v[4:5], v[12:13]
	v_mul_f64 v[100:101], v[2:3], v[12:13]
	v_fma_f64 v[98:99], v[2:3], v[10:11], -v[6:7]
	v_fmac_f64_e32 v[100:101], v[4:5], v[10:11]
	scratch_store_dwordx4 off, v[98:101], off offset:176
.LBB91_303:
	s_or_b64 exec, exec, s[2:3]
	scratch_load_dwordx4 v[2:5], v87, off
	v_cmp_gt_u32_e32 vcc, 12, v0
	s_waitcnt vmcnt(0)
	ds_write_b128 v9, v[2:5]
	s_waitcnt lgkmcnt(0)
	; wave barrier
	s_waitcnt lgkmcnt(0)
	s_and_saveexec_b64 s[2:3], vcc
	s_cbranch_execz .LBB91_311
; %bb.304:
	ds_read_b128 v[2:5], v9
	s_and_b64 vcc, exec, s[0:1]
	s_cbranch_vccnz .LBB91_306
; %bb.305:
	scratch_load_dwordx4 v[10:13], v8, off
	s_waitcnt vmcnt(0) lgkmcnt(0)
	v_mul_f64 v[6:7], v[4:5], v[12:13]
	v_mul_f64 v[12:13], v[2:3], v[12:13]
	v_fmac_f64_e32 v[12:13], v[4:5], v[10:11]
	v_fma_f64 v[2:3], v[2:3], v[10:11], -v[6:7]
	v_mov_b64_e32 v[4:5], v[12:13]
.LBB91_306:
	v_cmp_ne_u32_e32 vcc, 11, v0
	s_and_saveexec_b64 s[6:7], vcc
	s_cbranch_execz .LBB91_310
; %bb.307:
	v_mov_b32_e32 v7, 0
	v_add_u32_e32 v6, 0x1d0, v14
	v_add3_u32 v7, v14, v7, 24
	s_mov_b64 s[8:9], 0
	v_mov_b32_e32 v10, v0
.LBB91_308:                             ; =>This Inner Loop Header: Depth=1
	v_add_u32_e32 v11, -8, v7
	scratch_load_dwordx4 v[98:101], v11, off
	ds_read_b128 v[102:105], v6
	v_add_u32_e32 v10, 1, v10
	v_cmp_lt_u32_e32 vcc, 10, v10
	v_add_u32_e32 v6, 16, v6
	v_add_u32_e32 v7, 16, v7
	s_or_b64 s[8:9], vcc, s[8:9]
	s_waitcnt vmcnt(0) lgkmcnt(0)
	v_mul_f64 v[12:13], v[104:105], v[100:101]
	v_mul_f64 v[100:101], v[102:103], v[100:101]
	v_fma_f64 v[12:13], v[102:103], v[98:99], -v[12:13]
	v_fmac_f64_e32 v[100:101], v[104:105], v[98:99]
	v_add_f64 v[2:3], v[2:3], v[12:13]
	v_add_f64 v[4:5], v[4:5], v[100:101]
	s_andn2_b64 exec, exec, s[8:9]
	s_cbranch_execnz .LBB91_308
; %bb.309:
	s_or_b64 exec, exec, s[8:9]
.LBB91_310:
	s_or_b64 exec, exec, s[6:7]
	v_mov_b32_e32 v6, 0
	ds_read_b128 v[10:13], v6 offset:192
	s_waitcnt lgkmcnt(0)
	v_mul_f64 v[6:7], v[4:5], v[12:13]
	v_mul_f64 v[100:101], v[2:3], v[12:13]
	v_fma_f64 v[98:99], v[2:3], v[10:11], -v[6:7]
	v_fmac_f64_e32 v[100:101], v[4:5], v[10:11]
	scratch_store_dwordx4 off, v[98:101], off offset:192
.LBB91_311:
	s_or_b64 exec, exec, s[2:3]
	scratch_load_dwordx4 v[2:5], v86, off
	v_cmp_gt_u32_e32 vcc, 13, v0
	s_waitcnt vmcnt(0)
	ds_write_b128 v9, v[2:5]
	s_waitcnt lgkmcnt(0)
	; wave barrier
	s_waitcnt lgkmcnt(0)
	s_and_saveexec_b64 s[2:3], vcc
	s_cbranch_execz .LBB91_319
; %bb.312:
	ds_read_b128 v[2:5], v9
	s_and_b64 vcc, exec, s[0:1]
	s_cbranch_vccnz .LBB91_314
; %bb.313:
	scratch_load_dwordx4 v[10:13], v8, off
	s_waitcnt vmcnt(0) lgkmcnt(0)
	v_mul_f64 v[6:7], v[4:5], v[12:13]
	v_mul_f64 v[12:13], v[2:3], v[12:13]
	v_fmac_f64_e32 v[12:13], v[4:5], v[10:11]
	v_fma_f64 v[2:3], v[2:3], v[10:11], -v[6:7]
	v_mov_b64_e32 v[4:5], v[12:13]
.LBB91_314:
	v_cmp_ne_u32_e32 vcc, 12, v0
	s_and_saveexec_b64 s[6:7], vcc
	s_cbranch_execz .LBB91_318
; %bb.315:
	v_mov_b32_e32 v7, 0
	v_add_u32_e32 v6, 0x1d0, v14
	v_add3_u32 v7, v14, v7, 24
	s_mov_b64 s[8:9], 0
	v_mov_b32_e32 v10, v0
.LBB91_316:                             ; =>This Inner Loop Header: Depth=1
	v_add_u32_e32 v11, -8, v7
	scratch_load_dwordx4 v[98:101], v11, off
	ds_read_b128 v[102:105], v6
	v_add_u32_e32 v10, 1, v10
	v_cmp_lt_u32_e32 vcc, 11, v10
	v_add_u32_e32 v6, 16, v6
	v_add_u32_e32 v7, 16, v7
	s_or_b64 s[8:9], vcc, s[8:9]
	s_waitcnt vmcnt(0) lgkmcnt(0)
	v_mul_f64 v[12:13], v[104:105], v[100:101]
	v_mul_f64 v[100:101], v[102:103], v[100:101]
	v_fma_f64 v[12:13], v[102:103], v[98:99], -v[12:13]
	v_fmac_f64_e32 v[100:101], v[104:105], v[98:99]
	v_add_f64 v[2:3], v[2:3], v[12:13]
	v_add_f64 v[4:5], v[4:5], v[100:101]
	s_andn2_b64 exec, exec, s[8:9]
	s_cbranch_execnz .LBB91_316
; %bb.317:
	s_or_b64 exec, exec, s[8:9]
.LBB91_318:
	s_or_b64 exec, exec, s[6:7]
	v_mov_b32_e32 v6, 0
	ds_read_b128 v[10:13], v6 offset:208
	s_waitcnt lgkmcnt(0)
	v_mul_f64 v[6:7], v[4:5], v[12:13]
	v_mul_f64 v[100:101], v[2:3], v[12:13]
	v_fma_f64 v[98:99], v[2:3], v[10:11], -v[6:7]
	v_fmac_f64_e32 v[100:101], v[4:5], v[10:11]
	scratch_store_dwordx4 off, v[98:101], off offset:208
.LBB91_319:
	s_or_b64 exec, exec, s[2:3]
	scratch_load_dwordx4 v[2:5], v83, off
	v_cmp_gt_u32_e32 vcc, 14, v0
	s_waitcnt vmcnt(0)
	ds_write_b128 v9, v[2:5]
	s_waitcnt lgkmcnt(0)
	; wave barrier
	s_waitcnt lgkmcnt(0)
	s_and_saveexec_b64 s[2:3], vcc
	s_cbranch_execz .LBB91_327
; %bb.320:
	ds_read_b128 v[2:5], v9
	s_and_b64 vcc, exec, s[0:1]
	s_cbranch_vccnz .LBB91_322
; %bb.321:
	scratch_load_dwordx4 v[10:13], v8, off
	s_waitcnt vmcnt(0) lgkmcnt(0)
	v_mul_f64 v[6:7], v[4:5], v[12:13]
	v_mul_f64 v[12:13], v[2:3], v[12:13]
	v_fmac_f64_e32 v[12:13], v[4:5], v[10:11]
	v_fma_f64 v[2:3], v[2:3], v[10:11], -v[6:7]
	v_mov_b64_e32 v[4:5], v[12:13]
.LBB91_322:
	v_cmp_ne_u32_e32 vcc, 13, v0
	s_and_saveexec_b64 s[6:7], vcc
	s_cbranch_execz .LBB91_326
; %bb.323:
	v_mov_b32_e32 v7, 0
	v_add_u32_e32 v6, 0x1d0, v14
	v_add3_u32 v7, v14, v7, 24
	s_mov_b64 s[8:9], 0
	v_mov_b32_e32 v10, v0
.LBB91_324:                             ; =>This Inner Loop Header: Depth=1
	v_add_u32_e32 v11, -8, v7
	scratch_load_dwordx4 v[98:101], v11, off
	ds_read_b128 v[102:105], v6
	v_add_u32_e32 v10, 1, v10
	v_cmp_lt_u32_e32 vcc, 12, v10
	v_add_u32_e32 v6, 16, v6
	v_add_u32_e32 v7, 16, v7
	s_or_b64 s[8:9], vcc, s[8:9]
	s_waitcnt vmcnt(0) lgkmcnt(0)
	v_mul_f64 v[12:13], v[104:105], v[100:101]
	v_mul_f64 v[100:101], v[102:103], v[100:101]
	v_fma_f64 v[12:13], v[102:103], v[98:99], -v[12:13]
	v_fmac_f64_e32 v[100:101], v[104:105], v[98:99]
	v_add_f64 v[2:3], v[2:3], v[12:13]
	v_add_f64 v[4:5], v[4:5], v[100:101]
	s_andn2_b64 exec, exec, s[8:9]
	s_cbranch_execnz .LBB91_324
; %bb.325:
	s_or_b64 exec, exec, s[8:9]
.LBB91_326:
	s_or_b64 exec, exec, s[6:7]
	v_mov_b32_e32 v6, 0
	ds_read_b128 v[10:13], v6 offset:224
	s_waitcnt lgkmcnt(0)
	v_mul_f64 v[6:7], v[4:5], v[12:13]
	v_mul_f64 v[100:101], v[2:3], v[12:13]
	v_fma_f64 v[98:99], v[2:3], v[10:11], -v[6:7]
	v_fmac_f64_e32 v[100:101], v[4:5], v[10:11]
	scratch_store_dwordx4 off, v[98:101], off offset:224
.LBB91_327:
	s_or_b64 exec, exec, s[2:3]
	scratch_load_dwordx4 v[2:5], v82, off
	v_cmp_gt_u32_e32 vcc, 15, v0
	s_waitcnt vmcnt(0)
	ds_write_b128 v9, v[2:5]
	s_waitcnt lgkmcnt(0)
	; wave barrier
	s_waitcnt lgkmcnt(0)
	s_and_saveexec_b64 s[2:3], vcc
	s_cbranch_execz .LBB91_335
; %bb.328:
	ds_read_b128 v[2:5], v9
	s_and_b64 vcc, exec, s[0:1]
	s_cbranch_vccnz .LBB91_330
; %bb.329:
	scratch_load_dwordx4 v[10:13], v8, off
	s_waitcnt vmcnt(0) lgkmcnt(0)
	v_mul_f64 v[6:7], v[4:5], v[12:13]
	v_mul_f64 v[12:13], v[2:3], v[12:13]
	v_fmac_f64_e32 v[12:13], v[4:5], v[10:11]
	v_fma_f64 v[2:3], v[2:3], v[10:11], -v[6:7]
	v_mov_b64_e32 v[4:5], v[12:13]
.LBB91_330:
	v_cmp_ne_u32_e32 vcc, 14, v0
	s_and_saveexec_b64 s[6:7], vcc
	s_cbranch_execz .LBB91_334
; %bb.331:
	v_mov_b32_e32 v7, 0
	v_add_u32_e32 v6, 0x1d0, v14
	v_add3_u32 v7, v14, v7, 24
	s_mov_b64 s[8:9], 0
	v_mov_b32_e32 v10, v0
.LBB91_332:                             ; =>This Inner Loop Header: Depth=1
	v_add_u32_e32 v11, -8, v7
	scratch_load_dwordx4 v[98:101], v11, off
	ds_read_b128 v[102:105], v6
	v_add_u32_e32 v10, 1, v10
	v_cmp_lt_u32_e32 vcc, 13, v10
	v_add_u32_e32 v6, 16, v6
	v_add_u32_e32 v7, 16, v7
	s_or_b64 s[8:9], vcc, s[8:9]
	s_waitcnt vmcnt(0) lgkmcnt(0)
	v_mul_f64 v[12:13], v[104:105], v[100:101]
	v_mul_f64 v[100:101], v[102:103], v[100:101]
	v_fma_f64 v[12:13], v[102:103], v[98:99], -v[12:13]
	v_fmac_f64_e32 v[100:101], v[104:105], v[98:99]
	v_add_f64 v[2:3], v[2:3], v[12:13]
	v_add_f64 v[4:5], v[4:5], v[100:101]
	s_andn2_b64 exec, exec, s[8:9]
	s_cbranch_execnz .LBB91_332
; %bb.333:
	s_or_b64 exec, exec, s[8:9]
.LBB91_334:
	s_or_b64 exec, exec, s[6:7]
	v_mov_b32_e32 v6, 0
	ds_read_b128 v[10:13], v6 offset:240
	s_waitcnt lgkmcnt(0)
	v_mul_f64 v[6:7], v[4:5], v[12:13]
	v_mul_f64 v[100:101], v[2:3], v[12:13]
	v_fma_f64 v[98:99], v[2:3], v[10:11], -v[6:7]
	v_fmac_f64_e32 v[100:101], v[4:5], v[10:11]
	scratch_store_dwordx4 off, v[98:101], off offset:240
.LBB91_335:
	s_or_b64 exec, exec, s[2:3]
	scratch_load_dwordx4 v[2:5], v80, off
	v_cmp_gt_u32_e32 vcc, 16, v0
	s_waitcnt vmcnt(0)
	ds_write_b128 v9, v[2:5]
	s_waitcnt lgkmcnt(0)
	; wave barrier
	s_waitcnt lgkmcnt(0)
	s_and_saveexec_b64 s[2:3], vcc
	s_cbranch_execz .LBB91_343
; %bb.336:
	ds_read_b128 v[2:5], v9
	s_and_b64 vcc, exec, s[0:1]
	s_cbranch_vccnz .LBB91_338
; %bb.337:
	scratch_load_dwordx4 v[10:13], v8, off
	s_waitcnt vmcnt(0) lgkmcnt(0)
	v_mul_f64 v[6:7], v[4:5], v[12:13]
	v_mul_f64 v[12:13], v[2:3], v[12:13]
	v_fmac_f64_e32 v[12:13], v[4:5], v[10:11]
	v_fma_f64 v[2:3], v[2:3], v[10:11], -v[6:7]
	v_mov_b64_e32 v[4:5], v[12:13]
.LBB91_338:
	v_cmp_ne_u32_e32 vcc, 15, v0
	s_and_saveexec_b64 s[6:7], vcc
	s_cbranch_execz .LBB91_342
; %bb.339:
	v_mov_b32_e32 v7, 0
	v_add_u32_e32 v6, 0x1d0, v14
	v_add3_u32 v7, v14, v7, 24
	s_mov_b64 s[8:9], 0
	v_mov_b32_e32 v10, v0
.LBB91_340:                             ; =>This Inner Loop Header: Depth=1
	v_add_u32_e32 v11, -8, v7
	scratch_load_dwordx4 v[98:101], v11, off
	ds_read_b128 v[102:105], v6
	v_add_u32_e32 v10, 1, v10
	v_cmp_lt_u32_e32 vcc, 14, v10
	v_add_u32_e32 v6, 16, v6
	v_add_u32_e32 v7, 16, v7
	s_or_b64 s[8:9], vcc, s[8:9]
	s_waitcnt vmcnt(0) lgkmcnt(0)
	v_mul_f64 v[12:13], v[104:105], v[100:101]
	v_mul_f64 v[100:101], v[102:103], v[100:101]
	v_fma_f64 v[12:13], v[102:103], v[98:99], -v[12:13]
	v_fmac_f64_e32 v[100:101], v[104:105], v[98:99]
	v_add_f64 v[2:3], v[2:3], v[12:13]
	v_add_f64 v[4:5], v[4:5], v[100:101]
	s_andn2_b64 exec, exec, s[8:9]
	s_cbranch_execnz .LBB91_340
; %bb.341:
	s_or_b64 exec, exec, s[8:9]
.LBB91_342:
	s_or_b64 exec, exec, s[6:7]
	v_mov_b32_e32 v6, 0
	ds_read_b128 v[10:13], v6 offset:256
	s_waitcnt lgkmcnt(0)
	v_mul_f64 v[6:7], v[4:5], v[12:13]
	v_mul_f64 v[100:101], v[2:3], v[12:13]
	v_fma_f64 v[98:99], v[2:3], v[10:11], -v[6:7]
	v_fmac_f64_e32 v[100:101], v[4:5], v[10:11]
	scratch_store_dwordx4 off, v[98:101], off offset:256
.LBB91_343:
	s_or_b64 exec, exec, s[2:3]
	scratch_load_dwordx4 v[2:5], v81, off
	v_cmp_gt_u32_e32 vcc, 17, v0
	s_waitcnt vmcnt(0)
	ds_write_b128 v9, v[2:5]
	s_waitcnt lgkmcnt(0)
	; wave barrier
	s_waitcnt lgkmcnt(0)
	s_and_saveexec_b64 s[2:3], vcc
	s_cbranch_execz .LBB91_351
; %bb.344:
	ds_read_b128 v[2:5], v9
	s_and_b64 vcc, exec, s[0:1]
	s_cbranch_vccnz .LBB91_346
; %bb.345:
	scratch_load_dwordx4 v[10:13], v8, off
	s_waitcnt vmcnt(0) lgkmcnt(0)
	v_mul_f64 v[6:7], v[4:5], v[12:13]
	v_mul_f64 v[12:13], v[2:3], v[12:13]
	v_fmac_f64_e32 v[12:13], v[4:5], v[10:11]
	v_fma_f64 v[2:3], v[2:3], v[10:11], -v[6:7]
	v_mov_b64_e32 v[4:5], v[12:13]
.LBB91_346:
	v_cmp_ne_u32_e32 vcc, 16, v0
	s_and_saveexec_b64 s[6:7], vcc
	s_cbranch_execz .LBB91_350
; %bb.347:
	v_mov_b32_e32 v7, 0
	v_add_u32_e32 v6, 0x1d0, v14
	v_add3_u32 v7, v14, v7, 24
	s_mov_b64 s[8:9], 0
	v_mov_b32_e32 v10, v0
.LBB91_348:                             ; =>This Inner Loop Header: Depth=1
	v_add_u32_e32 v11, -8, v7
	scratch_load_dwordx4 v[98:101], v11, off
	ds_read_b128 v[102:105], v6
	v_add_u32_e32 v10, 1, v10
	v_cmp_lt_u32_e32 vcc, 15, v10
	v_add_u32_e32 v6, 16, v6
	v_add_u32_e32 v7, 16, v7
	s_or_b64 s[8:9], vcc, s[8:9]
	s_waitcnt vmcnt(0) lgkmcnt(0)
	v_mul_f64 v[12:13], v[104:105], v[100:101]
	v_mul_f64 v[100:101], v[102:103], v[100:101]
	v_fma_f64 v[12:13], v[102:103], v[98:99], -v[12:13]
	v_fmac_f64_e32 v[100:101], v[104:105], v[98:99]
	v_add_f64 v[2:3], v[2:3], v[12:13]
	v_add_f64 v[4:5], v[4:5], v[100:101]
	s_andn2_b64 exec, exec, s[8:9]
	s_cbranch_execnz .LBB91_348
; %bb.349:
	s_or_b64 exec, exec, s[8:9]
.LBB91_350:
	s_or_b64 exec, exec, s[6:7]
	v_mov_b32_e32 v6, 0
	ds_read_b128 v[10:13], v6 offset:272
	s_waitcnt lgkmcnt(0)
	v_mul_f64 v[6:7], v[4:5], v[12:13]
	v_mul_f64 v[100:101], v[2:3], v[12:13]
	v_fma_f64 v[98:99], v[2:3], v[10:11], -v[6:7]
	v_fmac_f64_e32 v[100:101], v[4:5], v[10:11]
	scratch_store_dwordx4 off, v[98:101], off offset:272
.LBB91_351:
	s_or_b64 exec, exec, s[2:3]
	scratch_load_dwordx4 v[2:5], v78, off
	v_cmp_gt_u32_e32 vcc, 18, v0
	s_waitcnt vmcnt(0)
	ds_write_b128 v9, v[2:5]
	s_waitcnt lgkmcnt(0)
	; wave barrier
	s_waitcnt lgkmcnt(0)
	s_and_saveexec_b64 s[2:3], vcc
	s_cbranch_execz .LBB91_359
; %bb.352:
	ds_read_b128 v[2:5], v9
	s_and_b64 vcc, exec, s[0:1]
	s_cbranch_vccnz .LBB91_354
; %bb.353:
	scratch_load_dwordx4 v[10:13], v8, off
	s_waitcnt vmcnt(0) lgkmcnt(0)
	v_mul_f64 v[6:7], v[4:5], v[12:13]
	v_mul_f64 v[12:13], v[2:3], v[12:13]
	v_fmac_f64_e32 v[12:13], v[4:5], v[10:11]
	v_fma_f64 v[2:3], v[2:3], v[10:11], -v[6:7]
	v_mov_b64_e32 v[4:5], v[12:13]
.LBB91_354:
	v_cmp_ne_u32_e32 vcc, 17, v0
	s_and_saveexec_b64 s[6:7], vcc
	s_cbranch_execz .LBB91_358
; %bb.355:
	v_mov_b32_e32 v7, 0
	v_add_u32_e32 v6, 0x1d0, v14
	v_add3_u32 v7, v14, v7, 24
	s_mov_b64 s[8:9], 0
	v_mov_b32_e32 v10, v0
.LBB91_356:                             ; =>This Inner Loop Header: Depth=1
	v_add_u32_e32 v11, -8, v7
	scratch_load_dwordx4 v[98:101], v11, off
	ds_read_b128 v[102:105], v6
	v_add_u32_e32 v10, 1, v10
	v_cmp_lt_u32_e32 vcc, 16, v10
	v_add_u32_e32 v6, 16, v6
	v_add_u32_e32 v7, 16, v7
	s_or_b64 s[8:9], vcc, s[8:9]
	s_waitcnt vmcnt(0) lgkmcnt(0)
	v_mul_f64 v[12:13], v[104:105], v[100:101]
	v_mul_f64 v[100:101], v[102:103], v[100:101]
	v_fma_f64 v[12:13], v[102:103], v[98:99], -v[12:13]
	v_fmac_f64_e32 v[100:101], v[104:105], v[98:99]
	v_add_f64 v[2:3], v[2:3], v[12:13]
	v_add_f64 v[4:5], v[4:5], v[100:101]
	s_andn2_b64 exec, exec, s[8:9]
	s_cbranch_execnz .LBB91_356
; %bb.357:
	s_or_b64 exec, exec, s[8:9]
.LBB91_358:
	s_or_b64 exec, exec, s[6:7]
	v_mov_b32_e32 v6, 0
	ds_read_b128 v[10:13], v6 offset:288
	s_waitcnt lgkmcnt(0)
	v_mul_f64 v[6:7], v[4:5], v[12:13]
	v_mul_f64 v[100:101], v[2:3], v[12:13]
	v_fma_f64 v[98:99], v[2:3], v[10:11], -v[6:7]
	v_fmac_f64_e32 v[100:101], v[4:5], v[10:11]
	scratch_store_dwordx4 off, v[98:101], off offset:288
.LBB91_359:
	s_or_b64 exec, exec, s[2:3]
	scratch_load_dwordx4 v[2:5], v79, off
	v_cmp_gt_u32_e32 vcc, 19, v0
	s_waitcnt vmcnt(0)
	ds_write_b128 v9, v[2:5]
	s_waitcnt lgkmcnt(0)
	; wave barrier
	s_waitcnt lgkmcnt(0)
	s_and_saveexec_b64 s[2:3], vcc
	s_cbranch_execz .LBB91_367
; %bb.360:
	ds_read_b128 v[2:5], v9
	s_and_b64 vcc, exec, s[0:1]
	s_cbranch_vccnz .LBB91_362
; %bb.361:
	scratch_load_dwordx4 v[10:13], v8, off
	s_waitcnt vmcnt(0) lgkmcnt(0)
	v_mul_f64 v[6:7], v[4:5], v[12:13]
	v_mul_f64 v[12:13], v[2:3], v[12:13]
	v_fmac_f64_e32 v[12:13], v[4:5], v[10:11]
	v_fma_f64 v[2:3], v[2:3], v[10:11], -v[6:7]
	v_mov_b64_e32 v[4:5], v[12:13]
.LBB91_362:
	v_cmp_ne_u32_e32 vcc, 18, v0
	s_and_saveexec_b64 s[6:7], vcc
	s_cbranch_execz .LBB91_366
; %bb.363:
	v_mov_b32_e32 v7, 0
	v_add_u32_e32 v6, 0x1d0, v14
	v_add3_u32 v7, v14, v7, 24
	s_mov_b64 s[8:9], 0
	v_mov_b32_e32 v10, v0
.LBB91_364:                             ; =>This Inner Loop Header: Depth=1
	v_add_u32_e32 v11, -8, v7
	scratch_load_dwordx4 v[98:101], v11, off
	ds_read_b128 v[102:105], v6
	v_add_u32_e32 v10, 1, v10
	v_cmp_lt_u32_e32 vcc, 17, v10
	v_add_u32_e32 v6, 16, v6
	v_add_u32_e32 v7, 16, v7
	s_or_b64 s[8:9], vcc, s[8:9]
	s_waitcnt vmcnt(0) lgkmcnt(0)
	v_mul_f64 v[12:13], v[104:105], v[100:101]
	v_mul_f64 v[100:101], v[102:103], v[100:101]
	v_fma_f64 v[12:13], v[102:103], v[98:99], -v[12:13]
	v_fmac_f64_e32 v[100:101], v[104:105], v[98:99]
	v_add_f64 v[2:3], v[2:3], v[12:13]
	v_add_f64 v[4:5], v[4:5], v[100:101]
	s_andn2_b64 exec, exec, s[8:9]
	s_cbranch_execnz .LBB91_364
; %bb.365:
	s_or_b64 exec, exec, s[8:9]
.LBB91_366:
	s_or_b64 exec, exec, s[6:7]
	v_mov_b32_e32 v6, 0
	ds_read_b128 v[10:13], v6 offset:304
	s_waitcnt lgkmcnt(0)
	v_mul_f64 v[6:7], v[4:5], v[12:13]
	v_mul_f64 v[100:101], v[2:3], v[12:13]
	v_fma_f64 v[98:99], v[2:3], v[10:11], -v[6:7]
	v_fmac_f64_e32 v[100:101], v[4:5], v[10:11]
	scratch_store_dwordx4 off, v[98:101], off offset:304
.LBB91_367:
	s_or_b64 exec, exec, s[2:3]
	scratch_load_dwordx4 v[2:5], v76, off
	v_cmp_gt_u32_e32 vcc, 20, v0
	s_waitcnt vmcnt(0)
	ds_write_b128 v9, v[2:5]
	s_waitcnt lgkmcnt(0)
	; wave barrier
	s_waitcnt lgkmcnt(0)
	s_and_saveexec_b64 s[2:3], vcc
	s_cbranch_execz .LBB91_375
; %bb.368:
	ds_read_b128 v[2:5], v9
	s_and_b64 vcc, exec, s[0:1]
	s_cbranch_vccnz .LBB91_370
; %bb.369:
	scratch_load_dwordx4 v[10:13], v8, off
	s_waitcnt vmcnt(0) lgkmcnt(0)
	v_mul_f64 v[6:7], v[4:5], v[12:13]
	v_mul_f64 v[12:13], v[2:3], v[12:13]
	v_fmac_f64_e32 v[12:13], v[4:5], v[10:11]
	v_fma_f64 v[2:3], v[2:3], v[10:11], -v[6:7]
	v_mov_b64_e32 v[4:5], v[12:13]
.LBB91_370:
	v_cmp_ne_u32_e32 vcc, 19, v0
	s_and_saveexec_b64 s[6:7], vcc
	s_cbranch_execz .LBB91_374
; %bb.371:
	v_mov_b32_e32 v7, 0
	v_add_u32_e32 v6, 0x1d0, v14
	v_add3_u32 v7, v14, v7, 24
	s_mov_b64 s[8:9], 0
	v_mov_b32_e32 v10, v0
.LBB91_372:                             ; =>This Inner Loop Header: Depth=1
	v_add_u32_e32 v11, -8, v7
	scratch_load_dwordx4 v[98:101], v11, off
	ds_read_b128 v[102:105], v6
	v_add_u32_e32 v10, 1, v10
	v_cmp_lt_u32_e32 vcc, 18, v10
	v_add_u32_e32 v6, 16, v6
	v_add_u32_e32 v7, 16, v7
	s_or_b64 s[8:9], vcc, s[8:9]
	s_waitcnt vmcnt(0) lgkmcnt(0)
	v_mul_f64 v[12:13], v[104:105], v[100:101]
	v_mul_f64 v[100:101], v[102:103], v[100:101]
	v_fma_f64 v[12:13], v[102:103], v[98:99], -v[12:13]
	v_fmac_f64_e32 v[100:101], v[104:105], v[98:99]
	v_add_f64 v[2:3], v[2:3], v[12:13]
	v_add_f64 v[4:5], v[4:5], v[100:101]
	s_andn2_b64 exec, exec, s[8:9]
	s_cbranch_execnz .LBB91_372
; %bb.373:
	s_or_b64 exec, exec, s[8:9]
.LBB91_374:
	s_or_b64 exec, exec, s[6:7]
	v_mov_b32_e32 v6, 0
	ds_read_b128 v[10:13], v6 offset:320
	s_waitcnt lgkmcnt(0)
	v_mul_f64 v[6:7], v[4:5], v[12:13]
	v_mul_f64 v[100:101], v[2:3], v[12:13]
	v_fma_f64 v[98:99], v[2:3], v[10:11], -v[6:7]
	v_fmac_f64_e32 v[100:101], v[4:5], v[10:11]
	scratch_store_dwordx4 off, v[98:101], off offset:320
.LBB91_375:
	s_or_b64 exec, exec, s[2:3]
	scratch_load_dwordx4 v[2:5], v77, off
	v_cmp_gt_u32_e32 vcc, 21, v0
	s_waitcnt vmcnt(0)
	ds_write_b128 v9, v[2:5]
	s_waitcnt lgkmcnt(0)
	; wave barrier
	s_waitcnt lgkmcnt(0)
	s_and_saveexec_b64 s[2:3], vcc
	s_cbranch_execz .LBB91_383
; %bb.376:
	ds_read_b128 v[2:5], v9
	s_and_b64 vcc, exec, s[0:1]
	s_cbranch_vccnz .LBB91_378
; %bb.377:
	scratch_load_dwordx4 v[10:13], v8, off
	s_waitcnt vmcnt(0) lgkmcnt(0)
	v_mul_f64 v[6:7], v[4:5], v[12:13]
	v_mul_f64 v[12:13], v[2:3], v[12:13]
	v_fmac_f64_e32 v[12:13], v[4:5], v[10:11]
	v_fma_f64 v[2:3], v[2:3], v[10:11], -v[6:7]
	v_mov_b64_e32 v[4:5], v[12:13]
.LBB91_378:
	v_cmp_ne_u32_e32 vcc, 20, v0
	s_and_saveexec_b64 s[6:7], vcc
	s_cbranch_execz .LBB91_382
; %bb.379:
	v_mov_b32_e32 v7, 0
	v_add_u32_e32 v6, 0x1d0, v14
	v_add3_u32 v7, v14, v7, 24
	s_mov_b64 s[8:9], 0
	v_mov_b32_e32 v10, v0
.LBB91_380:                             ; =>This Inner Loop Header: Depth=1
	v_add_u32_e32 v11, -8, v7
	scratch_load_dwordx4 v[98:101], v11, off
	ds_read_b128 v[102:105], v6
	v_add_u32_e32 v10, 1, v10
	v_cmp_lt_u32_e32 vcc, 19, v10
	v_add_u32_e32 v6, 16, v6
	v_add_u32_e32 v7, 16, v7
	s_or_b64 s[8:9], vcc, s[8:9]
	s_waitcnt vmcnt(0) lgkmcnt(0)
	v_mul_f64 v[12:13], v[104:105], v[100:101]
	v_mul_f64 v[100:101], v[102:103], v[100:101]
	v_fma_f64 v[12:13], v[102:103], v[98:99], -v[12:13]
	v_fmac_f64_e32 v[100:101], v[104:105], v[98:99]
	v_add_f64 v[2:3], v[2:3], v[12:13]
	v_add_f64 v[4:5], v[4:5], v[100:101]
	s_andn2_b64 exec, exec, s[8:9]
	s_cbranch_execnz .LBB91_380
; %bb.381:
	s_or_b64 exec, exec, s[8:9]
.LBB91_382:
	s_or_b64 exec, exec, s[6:7]
	v_mov_b32_e32 v6, 0
	ds_read_b128 v[10:13], v6 offset:336
	s_waitcnt lgkmcnt(0)
	v_mul_f64 v[6:7], v[4:5], v[12:13]
	v_mul_f64 v[100:101], v[2:3], v[12:13]
	v_fma_f64 v[98:99], v[2:3], v[10:11], -v[6:7]
	v_fmac_f64_e32 v[100:101], v[4:5], v[10:11]
	scratch_store_dwordx4 off, v[98:101], off offset:336
.LBB91_383:
	s_or_b64 exec, exec, s[2:3]
	scratch_load_dwordx4 v[2:5], v74, off
	v_cmp_gt_u32_e32 vcc, 22, v0
	s_waitcnt vmcnt(0)
	ds_write_b128 v9, v[2:5]
	s_waitcnt lgkmcnt(0)
	; wave barrier
	s_waitcnt lgkmcnt(0)
	s_and_saveexec_b64 s[2:3], vcc
	s_cbranch_execz .LBB91_391
; %bb.384:
	ds_read_b128 v[2:5], v9
	s_and_b64 vcc, exec, s[0:1]
	s_cbranch_vccnz .LBB91_386
; %bb.385:
	scratch_load_dwordx4 v[10:13], v8, off
	s_waitcnt vmcnt(0) lgkmcnt(0)
	v_mul_f64 v[6:7], v[4:5], v[12:13]
	v_mul_f64 v[12:13], v[2:3], v[12:13]
	v_fmac_f64_e32 v[12:13], v[4:5], v[10:11]
	v_fma_f64 v[2:3], v[2:3], v[10:11], -v[6:7]
	v_mov_b64_e32 v[4:5], v[12:13]
.LBB91_386:
	v_cmp_ne_u32_e32 vcc, 21, v0
	s_and_saveexec_b64 s[6:7], vcc
	s_cbranch_execz .LBB91_390
; %bb.387:
	v_mov_b32_e32 v7, 0
	v_add_u32_e32 v6, 0x1d0, v14
	v_add3_u32 v7, v14, v7, 24
	s_mov_b64 s[8:9], 0
	v_mov_b32_e32 v10, v0
.LBB91_388:                             ; =>This Inner Loop Header: Depth=1
	v_add_u32_e32 v11, -8, v7
	scratch_load_dwordx4 v[98:101], v11, off
	ds_read_b128 v[102:105], v6
	v_add_u32_e32 v10, 1, v10
	v_cmp_lt_u32_e32 vcc, 20, v10
	v_add_u32_e32 v6, 16, v6
	v_add_u32_e32 v7, 16, v7
	s_or_b64 s[8:9], vcc, s[8:9]
	s_waitcnt vmcnt(0) lgkmcnt(0)
	v_mul_f64 v[12:13], v[104:105], v[100:101]
	v_mul_f64 v[100:101], v[102:103], v[100:101]
	v_fma_f64 v[12:13], v[102:103], v[98:99], -v[12:13]
	v_fmac_f64_e32 v[100:101], v[104:105], v[98:99]
	v_add_f64 v[2:3], v[2:3], v[12:13]
	v_add_f64 v[4:5], v[4:5], v[100:101]
	s_andn2_b64 exec, exec, s[8:9]
	s_cbranch_execnz .LBB91_388
; %bb.389:
	s_or_b64 exec, exec, s[8:9]
.LBB91_390:
	s_or_b64 exec, exec, s[6:7]
	v_mov_b32_e32 v6, 0
	ds_read_b128 v[10:13], v6 offset:352
	s_waitcnt lgkmcnt(0)
	v_mul_f64 v[6:7], v[4:5], v[12:13]
	v_mul_f64 v[100:101], v[2:3], v[12:13]
	v_fma_f64 v[98:99], v[2:3], v[10:11], -v[6:7]
	v_fmac_f64_e32 v[100:101], v[4:5], v[10:11]
	scratch_store_dwordx4 off, v[98:101], off offset:352
.LBB91_391:
	s_or_b64 exec, exec, s[2:3]
	scratch_load_dwordx4 v[2:5], v75, off
	v_cmp_gt_u32_e32 vcc, 23, v0
	s_waitcnt vmcnt(0)
	ds_write_b128 v9, v[2:5]
	s_waitcnt lgkmcnt(0)
	; wave barrier
	s_waitcnt lgkmcnt(0)
	s_and_saveexec_b64 s[2:3], vcc
	s_cbranch_execz .LBB91_399
; %bb.392:
	ds_read_b128 v[2:5], v9
	s_and_b64 vcc, exec, s[0:1]
	s_cbranch_vccnz .LBB91_394
; %bb.393:
	scratch_load_dwordx4 v[10:13], v8, off
	s_waitcnt vmcnt(0) lgkmcnt(0)
	v_mul_f64 v[6:7], v[4:5], v[12:13]
	v_mul_f64 v[12:13], v[2:3], v[12:13]
	v_fmac_f64_e32 v[12:13], v[4:5], v[10:11]
	v_fma_f64 v[2:3], v[2:3], v[10:11], -v[6:7]
	v_mov_b64_e32 v[4:5], v[12:13]
.LBB91_394:
	v_cmp_ne_u32_e32 vcc, 22, v0
	s_and_saveexec_b64 s[6:7], vcc
	s_cbranch_execz .LBB91_398
; %bb.395:
	v_mov_b32_e32 v7, 0
	v_add_u32_e32 v6, 0x1d0, v14
	v_add3_u32 v7, v14, v7, 24
	s_mov_b64 s[8:9], 0
	v_mov_b32_e32 v10, v0
.LBB91_396:                             ; =>This Inner Loop Header: Depth=1
	v_add_u32_e32 v11, -8, v7
	scratch_load_dwordx4 v[98:101], v11, off
	ds_read_b128 v[102:105], v6
	v_add_u32_e32 v10, 1, v10
	v_cmp_lt_u32_e32 vcc, 21, v10
	v_add_u32_e32 v6, 16, v6
	v_add_u32_e32 v7, 16, v7
	s_or_b64 s[8:9], vcc, s[8:9]
	s_waitcnt vmcnt(0) lgkmcnt(0)
	v_mul_f64 v[12:13], v[104:105], v[100:101]
	v_mul_f64 v[100:101], v[102:103], v[100:101]
	v_fma_f64 v[12:13], v[102:103], v[98:99], -v[12:13]
	v_fmac_f64_e32 v[100:101], v[104:105], v[98:99]
	v_add_f64 v[2:3], v[2:3], v[12:13]
	v_add_f64 v[4:5], v[4:5], v[100:101]
	s_andn2_b64 exec, exec, s[8:9]
	s_cbranch_execnz .LBB91_396
; %bb.397:
	s_or_b64 exec, exec, s[8:9]
.LBB91_398:
	s_or_b64 exec, exec, s[6:7]
	v_mov_b32_e32 v6, 0
	ds_read_b128 v[10:13], v6 offset:368
	s_waitcnt lgkmcnt(0)
	v_mul_f64 v[6:7], v[4:5], v[12:13]
	v_mul_f64 v[100:101], v[2:3], v[12:13]
	v_fma_f64 v[98:99], v[2:3], v[10:11], -v[6:7]
	v_fmac_f64_e32 v[100:101], v[4:5], v[10:11]
	scratch_store_dwordx4 off, v[98:101], off offset:368
.LBB91_399:
	s_or_b64 exec, exec, s[2:3]
	scratch_load_dwordx4 v[2:5], v73, off
	v_cmp_gt_u32_e32 vcc, 24, v0
	s_waitcnt vmcnt(0)
	ds_write_b128 v9, v[2:5]
	s_waitcnt lgkmcnt(0)
	; wave barrier
	s_waitcnt lgkmcnt(0)
	s_and_saveexec_b64 s[2:3], vcc
	s_cbranch_execz .LBB91_407
; %bb.400:
	ds_read_b128 v[2:5], v9
	s_and_b64 vcc, exec, s[0:1]
	s_cbranch_vccnz .LBB91_402
; %bb.401:
	scratch_load_dwordx4 v[10:13], v8, off
	s_waitcnt vmcnt(0) lgkmcnt(0)
	v_mul_f64 v[6:7], v[4:5], v[12:13]
	v_mul_f64 v[12:13], v[2:3], v[12:13]
	v_fmac_f64_e32 v[12:13], v[4:5], v[10:11]
	v_fma_f64 v[2:3], v[2:3], v[10:11], -v[6:7]
	v_mov_b64_e32 v[4:5], v[12:13]
.LBB91_402:
	v_cmp_ne_u32_e32 vcc, 23, v0
	s_and_saveexec_b64 s[6:7], vcc
	s_cbranch_execz .LBB91_406
; %bb.403:
	v_mov_b32_e32 v7, 0
	v_add_u32_e32 v6, 0x1d0, v14
	v_add3_u32 v7, v14, v7, 24
	s_mov_b64 s[8:9], 0
	v_mov_b32_e32 v10, v0
.LBB91_404:                             ; =>This Inner Loop Header: Depth=1
	v_add_u32_e32 v11, -8, v7
	scratch_load_dwordx4 v[98:101], v11, off
	ds_read_b128 v[102:105], v6
	v_add_u32_e32 v10, 1, v10
	v_cmp_lt_u32_e32 vcc, 22, v10
	v_add_u32_e32 v6, 16, v6
	v_add_u32_e32 v7, 16, v7
	s_or_b64 s[8:9], vcc, s[8:9]
	s_waitcnt vmcnt(0) lgkmcnt(0)
	v_mul_f64 v[12:13], v[104:105], v[100:101]
	v_mul_f64 v[100:101], v[102:103], v[100:101]
	v_fma_f64 v[12:13], v[102:103], v[98:99], -v[12:13]
	v_fmac_f64_e32 v[100:101], v[104:105], v[98:99]
	v_add_f64 v[2:3], v[2:3], v[12:13]
	v_add_f64 v[4:5], v[4:5], v[100:101]
	s_andn2_b64 exec, exec, s[8:9]
	s_cbranch_execnz .LBB91_404
; %bb.405:
	s_or_b64 exec, exec, s[8:9]
.LBB91_406:
	s_or_b64 exec, exec, s[6:7]
	v_mov_b32_e32 v6, 0
	ds_read_b128 v[10:13], v6 offset:384
	s_waitcnt lgkmcnt(0)
	v_mul_f64 v[6:7], v[4:5], v[12:13]
	v_mul_f64 v[100:101], v[2:3], v[12:13]
	v_fma_f64 v[98:99], v[2:3], v[10:11], -v[6:7]
	v_fmac_f64_e32 v[100:101], v[4:5], v[10:11]
	scratch_store_dwordx4 off, v[98:101], off offset:384
.LBB91_407:
	s_or_b64 exec, exec, s[2:3]
	scratch_load_dwordx4 v[2:5], v72, off
	v_cmp_gt_u32_e32 vcc, 25, v0
	s_waitcnt vmcnt(0)
	ds_write_b128 v9, v[2:5]
	s_waitcnt lgkmcnt(0)
	; wave barrier
	s_waitcnt lgkmcnt(0)
	s_and_saveexec_b64 s[2:3], vcc
	s_cbranch_execz .LBB91_415
; %bb.408:
	ds_read_b128 v[2:5], v9
	s_and_b64 vcc, exec, s[0:1]
	s_cbranch_vccnz .LBB91_410
; %bb.409:
	scratch_load_dwordx4 v[10:13], v8, off
	s_waitcnt vmcnt(0) lgkmcnt(0)
	v_mul_f64 v[6:7], v[4:5], v[12:13]
	v_mul_f64 v[12:13], v[2:3], v[12:13]
	v_fmac_f64_e32 v[12:13], v[4:5], v[10:11]
	v_fma_f64 v[2:3], v[2:3], v[10:11], -v[6:7]
	v_mov_b64_e32 v[4:5], v[12:13]
.LBB91_410:
	v_cmp_ne_u32_e32 vcc, 24, v0
	s_and_saveexec_b64 s[6:7], vcc
	s_cbranch_execz .LBB91_414
; %bb.411:
	v_mov_b32_e32 v7, 0
	v_add_u32_e32 v6, 0x1d0, v14
	v_add3_u32 v7, v14, v7, 24
	s_mov_b64 s[8:9], 0
	v_mov_b32_e32 v10, v0
.LBB91_412:                             ; =>This Inner Loop Header: Depth=1
	v_add_u32_e32 v11, -8, v7
	scratch_load_dwordx4 v[98:101], v11, off
	ds_read_b128 v[102:105], v6
	v_add_u32_e32 v10, 1, v10
	v_cmp_lt_u32_e32 vcc, 23, v10
	v_add_u32_e32 v6, 16, v6
	v_add_u32_e32 v7, 16, v7
	s_or_b64 s[8:9], vcc, s[8:9]
	s_waitcnt vmcnt(0) lgkmcnt(0)
	v_mul_f64 v[12:13], v[104:105], v[100:101]
	v_mul_f64 v[100:101], v[102:103], v[100:101]
	v_fma_f64 v[12:13], v[102:103], v[98:99], -v[12:13]
	v_fmac_f64_e32 v[100:101], v[104:105], v[98:99]
	v_add_f64 v[2:3], v[2:3], v[12:13]
	v_add_f64 v[4:5], v[4:5], v[100:101]
	s_andn2_b64 exec, exec, s[8:9]
	s_cbranch_execnz .LBB91_412
; %bb.413:
	s_or_b64 exec, exec, s[8:9]
.LBB91_414:
	s_or_b64 exec, exec, s[6:7]
	v_mov_b32_e32 v6, 0
	ds_read_b128 v[10:13], v6 offset:400
	s_waitcnt lgkmcnt(0)
	v_mul_f64 v[6:7], v[4:5], v[12:13]
	v_mul_f64 v[100:101], v[2:3], v[12:13]
	v_fma_f64 v[98:99], v[2:3], v[10:11], -v[6:7]
	v_fmac_f64_e32 v[100:101], v[4:5], v[10:11]
	scratch_store_dwordx4 off, v[98:101], off offset:400
.LBB91_415:
	s_or_b64 exec, exec, s[2:3]
	scratch_load_dwordx4 v[2:5], v15, off
	v_cmp_gt_u32_e64 s[2:3], 26, v0
	s_waitcnt vmcnt(0)
	ds_write_b128 v9, v[2:5]
	s_waitcnt lgkmcnt(0)
	; wave barrier
	s_waitcnt lgkmcnt(0)
	s_and_saveexec_b64 s[6:7], s[2:3]
	s_cbranch_execz .LBB91_423
; %bb.416:
	ds_read_b128 v[2:5], v9
	s_and_b64 vcc, exec, s[0:1]
	s_cbranch_vccnz .LBB91_418
; %bb.417:
	scratch_load_dwordx4 v[10:13], v8, off
	s_waitcnt vmcnt(0) lgkmcnt(0)
	v_mul_f64 v[6:7], v[4:5], v[12:13]
	v_mul_f64 v[12:13], v[2:3], v[12:13]
	v_fmac_f64_e32 v[12:13], v[4:5], v[10:11]
	v_fma_f64 v[2:3], v[2:3], v[10:11], -v[6:7]
	v_mov_b64_e32 v[4:5], v[12:13]
.LBB91_418:
	v_cmp_ne_u32_e32 vcc, 25, v0
	s_and_saveexec_b64 s[8:9], vcc
	s_cbranch_execz .LBB91_422
; %bb.419:
	v_mov_b32_e32 v7, 0
	v_add_u32_e32 v6, 0x1d0, v14
	v_add3_u32 v7, v14, v7, 24
	s_mov_b64 s[10:11], 0
	v_mov_b32_e32 v10, v0
.LBB91_420:                             ; =>This Inner Loop Header: Depth=1
	v_add_u32_e32 v11, -8, v7
	scratch_load_dwordx4 v[98:101], v11, off
	ds_read_b128 v[102:105], v6
	v_add_u32_e32 v10, 1, v10
	v_cmp_lt_u32_e32 vcc, 24, v10
	v_add_u32_e32 v6, 16, v6
	v_add_u32_e32 v7, 16, v7
	s_or_b64 s[10:11], vcc, s[10:11]
	s_waitcnt vmcnt(0) lgkmcnt(0)
	v_mul_f64 v[12:13], v[104:105], v[100:101]
	v_mul_f64 v[100:101], v[102:103], v[100:101]
	v_fma_f64 v[12:13], v[102:103], v[98:99], -v[12:13]
	v_fmac_f64_e32 v[100:101], v[104:105], v[98:99]
	v_add_f64 v[2:3], v[2:3], v[12:13]
	v_add_f64 v[4:5], v[4:5], v[100:101]
	s_andn2_b64 exec, exec, s[10:11]
	s_cbranch_execnz .LBB91_420
; %bb.421:
	s_or_b64 exec, exec, s[10:11]
.LBB91_422:
	s_or_b64 exec, exec, s[8:9]
	v_mov_b32_e32 v6, 0
	ds_read_b128 v[10:13], v6 offset:416
	s_waitcnt lgkmcnt(0)
	v_mul_f64 v[6:7], v[4:5], v[12:13]
	v_mul_f64 v[100:101], v[2:3], v[12:13]
	v_fma_f64 v[98:99], v[2:3], v[10:11], -v[6:7]
	v_fmac_f64_e32 v[100:101], v[4:5], v[10:11]
	scratch_store_dwordx4 off, v[98:101], off offset:416
.LBB91_423:
	s_or_b64 exec, exec, s[6:7]
	scratch_load_dwordx4 v[2:5], v1, off
	v_cmp_ne_u32_e32 vcc, 27, v0
                                        ; implicit-def: $vgpr6_vgpr7
                                        ; implicit-def: $vgpr10
	s_waitcnt vmcnt(0)
	ds_write_b128 v9, v[2:5]
	s_waitcnt lgkmcnt(0)
	; wave barrier
	s_waitcnt lgkmcnt(0)
	s_and_saveexec_b64 s[6:7], vcc
	s_cbranch_execz .LBB91_431
; %bb.424:
	ds_read_b128 v[2:5], v9
	s_and_b64 vcc, exec, s[0:1]
	s_cbranch_vccnz .LBB91_426
; %bb.425:
	scratch_load_dwordx4 v[6:9], v8, off
	s_waitcnt vmcnt(0) lgkmcnt(0)
	v_mul_f64 v[10:11], v[4:5], v[8:9]
	v_mul_f64 v[8:9], v[2:3], v[8:9]
	v_fmac_f64_e32 v[8:9], v[4:5], v[6:7]
	v_fma_f64 v[2:3], v[2:3], v[6:7], -v[10:11]
	v_mov_b64_e32 v[4:5], v[8:9]
.LBB91_426:
	s_and_saveexec_b64 s[0:1], s[2:3]
	s_cbranch_execz .LBB91_430
; %bb.427:
	v_mov_b32_e32 v7, 0
	v_add_u32_e32 v6, 0x1d0, v14
	v_add3_u32 v7, v14, v7, 24
	s_mov_b64 s[2:3], 0
.LBB91_428:                             ; =>This Inner Loop Header: Depth=1
	v_add_u32_e32 v8, -8, v7
	scratch_load_dwordx4 v[8:11], v8, off
	ds_read_b128 v[98:101], v6
	v_add_u32_e32 v0, 1, v0
	v_cmp_lt_u32_e32 vcc, 25, v0
	v_add_u32_e32 v6, 16, v6
	v_add_u32_e32 v7, 16, v7
	s_or_b64 s[2:3], vcc, s[2:3]
	s_waitcnt vmcnt(0) lgkmcnt(0)
	v_mul_f64 v[12:13], v[100:101], v[10:11]
	v_mul_f64 v[10:11], v[98:99], v[10:11]
	v_fma_f64 v[12:13], v[98:99], v[8:9], -v[12:13]
	v_fmac_f64_e32 v[10:11], v[100:101], v[8:9]
	v_add_f64 v[2:3], v[2:3], v[12:13]
	v_add_f64 v[4:5], v[4:5], v[10:11]
	s_andn2_b64 exec, exec, s[2:3]
	s_cbranch_execnz .LBB91_428
; %bb.429:
	s_or_b64 exec, exec, s[2:3]
.LBB91_430:
	s_or_b64 exec, exec, s[0:1]
	v_mov_b32_e32 v0, 0
	ds_read_b128 v[98:101], v0 offset:432
	v_mov_b32_e32 v0, 0
	v_add_u32_e32 v10, 0x1b8, v0
	s_or_b64 s[4:5], s[4:5], exec
	s_waitcnt lgkmcnt(0)
	v_mul_f64 v[8:9], v[4:5], v[100:101]
	v_mul_f64 v[6:7], v[2:3], v[100:101]
	v_fma_f64 v[2:3], v[2:3], v[98:99], -v[8:9]
	v_fmac_f64_e32 v[6:7], v[4:5], v[98:99]
	scratch_store_dwordx2 off, v[2:3], off offset:432
.LBB91_431:
	s_or_b64 exec, exec, s[6:7]
.LBB91_432:
	s_and_saveexec_b64 s[0:1], s[4:5]
	s_cbranch_execz .LBB91_434
; %bb.433:
	scratch_store_dwordx2 v10, v[6:7], off
.LBB91_434:
	s_or_b64 exec, exec, s[0:1]
	scratch_load_dwordx4 v[2:5], off, off
	scratch_load_dwordx4 v[6:9], v85, off
	scratch_load_dwordx4 v[10:13], v89, off
	scratch_load_dwordx4 v[98:101], v84, off
	scratch_load_dwordx4 v[102:105], v88, off
	scratch_load_dwordx4 v[106:109], v93, off
	scratch_load_dwordx4 v[110:113], v92, off
	scratch_load_dwordx4 v[114:117], v95, off
	scratch_load_dwordx4 v[118:121], v91, off
	scratch_load_dwordx4 v[122:125], v94, off
	scratch_load_dwordx4 v[126:129], v96, off
                                        ; kill: killed $vgpr96
                                        ; kill: killed $vgpr93
                                        ; kill: killed $vgpr95
                                        ; kill: killed $vgpr89
                                        ; kill: killed $vgpr94
                                        ; kill: killed $vgpr88
                                        ; kill: killed $vgpr92
                                        ; kill: killed $vgpr85
                                        ; kill: killed $vgpr91
                                        ; kill: killed $vgpr84
	s_nop 0
	scratch_load_dwordx4 v[88:91], v90, off
	s_waitcnt vmcnt(11)
	global_store_dwordx4 v[44:45], v[2:5], off
	scratch_load_dwordx4 v[2:5], v87, off
	s_nop 0
	scratch_load_dwordx4 v[92:95], v86, off
	s_waitcnt vmcnt(13)
	global_store_dwordx4 v[40:41], v[6:9], off
	scratch_load_dwordx4 v[6:9], v83, off
	s_nop 0
	scratch_load_dwordx4 v[84:87], v82, off
	s_waitcnt vmcnt(15)
	global_store_dwordx4 v[32:33], v[10:13], off
	scratch_load_dwordx4 v[10:13], v80, off
	s_nop 0
	scratch_load_dwordx4 v[130:133], v81, off
	s_waitcnt vmcnt(17)
	global_store_dwordx4 v[34:35], v[98:101], off
	scratch_load_dwordx4 v[32:35], v78, off
	s_nop 0
	scratch_load_dwordx4 v[80:83], v79, off
	s_waitcnt vmcnt(19)
	global_store_dwordx4 v[30:31], v[102:105], off
	scratch_load_dwordx4 v[96:99], v76, off
	s_nop 0
	scratch_load_dwordx4 v[100:103], v77, off
	s_waitcnt vmcnt(21)
	global_store_dwordx4 v[26:27], v[106:109], off
	scratch_load_dwordx4 v[76:79], v74, off
	s_nop 0
	scratch_load_dwordx4 v[104:107], v75, off
	s_waitcnt vmcnt(23)
	global_store_dwordx4 v[22:23], v[110:113], off
	scratch_load_dwordx4 v[108:111], v73, off
	s_nop 0
	scratch_load_dwordx4 v[134:137], v72, off
	s_waitcnt vmcnt(25)
	global_store_dwordx4 v[18:19], v[114:117], off
	scratch_load_dwordx4 v[72:75], v15, off
	s_nop 0
	scratch_load_dwordx4 v[112:115], v1, off
	s_waitcnt vmcnt(27)
	global_store_dwordx4 v[16:17], v[118:121], off
	s_waitcnt vmcnt(27)
	global_store_dwordx4 v[20:21], v[122:125], off
	;; [unrolled: 2-line block ×20, first 2 shown]
.LBB91_435:
	s_endpgm
	.section	.rodata,"a",@progbits
	.p2align	6, 0x0
	.amdhsa_kernel _ZN9rocsolver6v33100L18trti2_kernel_smallILi28E19rocblas_complex_numIdEPKPS3_EEv13rocblas_fill_17rocblas_diagonal_T1_iil
		.amdhsa_group_segment_fixed_size 896
		.amdhsa_private_segment_fixed_size 464
		.amdhsa_kernarg_size 32
		.amdhsa_user_sgpr_count 2
		.amdhsa_user_sgpr_dispatch_ptr 0
		.amdhsa_user_sgpr_queue_ptr 0
		.amdhsa_user_sgpr_kernarg_segment_ptr 1
		.amdhsa_user_sgpr_dispatch_id 0
		.amdhsa_user_sgpr_kernarg_preload_length 0
		.amdhsa_user_sgpr_kernarg_preload_offset 0
		.amdhsa_user_sgpr_private_segment_size 0
		.amdhsa_uses_dynamic_stack 0
		.amdhsa_enable_private_segment 1
		.amdhsa_system_sgpr_workgroup_id_x 1
		.amdhsa_system_sgpr_workgroup_id_y 0
		.amdhsa_system_sgpr_workgroup_id_z 0
		.amdhsa_system_sgpr_workgroup_info 0
		.amdhsa_system_vgpr_workitem_id 0
		.amdhsa_next_free_vgpr 138
		.amdhsa_next_free_sgpr 12
		.amdhsa_accum_offset 140
		.amdhsa_reserve_vcc 1
		.amdhsa_float_round_mode_32 0
		.amdhsa_float_round_mode_16_64 0
		.amdhsa_float_denorm_mode_32 3
		.amdhsa_float_denorm_mode_16_64 3
		.amdhsa_dx10_clamp 1
		.amdhsa_ieee_mode 1
		.amdhsa_fp16_overflow 0
		.amdhsa_tg_split 0
		.amdhsa_exception_fp_ieee_invalid_op 0
		.amdhsa_exception_fp_denorm_src 0
		.amdhsa_exception_fp_ieee_div_zero 0
		.amdhsa_exception_fp_ieee_overflow 0
		.amdhsa_exception_fp_ieee_underflow 0
		.amdhsa_exception_fp_ieee_inexact 0
		.amdhsa_exception_int_div_zero 0
	.end_amdhsa_kernel
	.section	.text._ZN9rocsolver6v33100L18trti2_kernel_smallILi28E19rocblas_complex_numIdEPKPS3_EEv13rocblas_fill_17rocblas_diagonal_T1_iil,"axG",@progbits,_ZN9rocsolver6v33100L18trti2_kernel_smallILi28E19rocblas_complex_numIdEPKPS3_EEv13rocblas_fill_17rocblas_diagonal_T1_iil,comdat
.Lfunc_end91:
	.size	_ZN9rocsolver6v33100L18trti2_kernel_smallILi28E19rocblas_complex_numIdEPKPS3_EEv13rocblas_fill_17rocblas_diagonal_T1_iil, .Lfunc_end91-_ZN9rocsolver6v33100L18trti2_kernel_smallILi28E19rocblas_complex_numIdEPKPS3_EEv13rocblas_fill_17rocblas_diagonal_T1_iil
                                        ; -- End function
	.section	.AMDGPU.csdata,"",@progbits
; Kernel info:
; codeLenInByte = 18328
; NumSgprs: 18
; NumVgprs: 138
; NumAgprs: 0
; TotalNumVgprs: 138
; ScratchSize: 464
; MemoryBound: 0
; FloatMode: 240
; IeeeMode: 1
; LDSByteSize: 896 bytes/workgroup (compile time only)
; SGPRBlocks: 2
; VGPRBlocks: 17
; NumSGPRsForWavesPerEU: 18
; NumVGPRsForWavesPerEU: 138
; AccumOffset: 140
; Occupancy: 3
; WaveLimiterHint : 1
; COMPUTE_PGM_RSRC2:SCRATCH_EN: 1
; COMPUTE_PGM_RSRC2:USER_SGPR: 2
; COMPUTE_PGM_RSRC2:TRAP_HANDLER: 0
; COMPUTE_PGM_RSRC2:TGID_X_EN: 1
; COMPUTE_PGM_RSRC2:TGID_Y_EN: 0
; COMPUTE_PGM_RSRC2:TGID_Z_EN: 0
; COMPUTE_PGM_RSRC2:TIDIG_COMP_CNT: 0
; COMPUTE_PGM_RSRC3_GFX90A:ACCUM_OFFSET: 34
; COMPUTE_PGM_RSRC3_GFX90A:TG_SPLIT: 0
	.section	.text._ZN9rocsolver6v33100L18trti2_kernel_smallILi29E19rocblas_complex_numIdEPKPS3_EEv13rocblas_fill_17rocblas_diagonal_T1_iil,"axG",@progbits,_ZN9rocsolver6v33100L18trti2_kernel_smallILi29E19rocblas_complex_numIdEPKPS3_EEv13rocblas_fill_17rocblas_diagonal_T1_iil,comdat
	.globl	_ZN9rocsolver6v33100L18trti2_kernel_smallILi29E19rocblas_complex_numIdEPKPS3_EEv13rocblas_fill_17rocblas_diagonal_T1_iil ; -- Begin function _ZN9rocsolver6v33100L18trti2_kernel_smallILi29E19rocblas_complex_numIdEPKPS3_EEv13rocblas_fill_17rocblas_diagonal_T1_iil
	.p2align	8
	.type	_ZN9rocsolver6v33100L18trti2_kernel_smallILi29E19rocblas_complex_numIdEPKPS3_EEv13rocblas_fill_17rocblas_diagonal_T1_iil,@function
_ZN9rocsolver6v33100L18trti2_kernel_smallILi29E19rocblas_complex_numIdEPKPS3_EEv13rocblas_fill_17rocblas_diagonal_T1_iil: ; @_ZN9rocsolver6v33100L18trti2_kernel_smallILi29E19rocblas_complex_numIdEPKPS3_EEv13rocblas_fill_17rocblas_diagonal_T1_iil
; %bb.0:
	v_cmp_gt_u32_e32 vcc, 29, v0
	s_and_saveexec_b64 s[4:5], vcc
	s_cbranch_execz .LBB92_451
; %bb.1:
	s_load_dwordx2 s[8:9], s[0:1], 0x10
	s_load_dwordx4 s[4:7], s[0:1], 0x0
	s_ashr_i32 s3, s2, 31
	s_lshl_b64 s[0:1], s[2:3], 3
	v_lshlrev_b32_e32 v60, 4, v0
	s_waitcnt lgkmcnt(0)
	s_ashr_i32 s3, s8, 31
	s_add_u32 s0, s6, s0
	s_addc_u32 s1, s7, s1
	s_load_dwordx2 s[0:1], s[0:1], 0x0
	s_mov_b32 s2, s8
	s_lshl_b64 s[2:3], s[2:3], 4
	v_mov_b32_e32 v61, 0
	v_mov_b32_e32 v1, 0
	s_waitcnt lgkmcnt(0)
	s_add_u32 s0, s0, s2
	s_addc_u32 s1, s1, s3
	v_lshl_add_u64 v[16:17], s[0:1], 0, v[60:61]
	s_ashr_i32 s3, s9, 31
	s_mov_b32 s2, s9
	v_lshl_add_u64 v[14:15], s[2:3], 4, v[16:17]
	s_add_i32 s2, s9, s9
	v_add_u32_e32 v20, s2, v0
	v_add_u32_e32 v22, s9, v20
	;; [unrolled: 1-line block ×6, first 2 shown]
	v_ashrrev_i32_e32 v21, 31, v20
	v_ashrrev_i32_e32 v23, 31, v22
	;; [unrolled: 1-line block ×6, first 2 shown]
	v_lshl_add_u64 v[18:19], v[20:21], 4, s[0:1]
	v_lshl_add_u64 v[20:21], v[22:23], 4, s[0:1]
	;; [unrolled: 1-line block ×6, first 2 shown]
	v_add_u32_e32 v30, s9, v30
	v_add_u32_e32 v32, s9, v30
	;; [unrolled: 1-line block ×4, first 2 shown]
	v_ashrrev_i32_e32 v33, 31, v32
	v_ashrrev_i32_e32 v37, 31, v36
	v_add_u32_e32 v38, s9, v36
	v_ashrrev_i32_e32 v31, 31, v30
	v_lshl_add_u64 v[32:33], v[32:33], 4, s[0:1]
	v_ashrrev_i32_e32 v35, 31, v34
	v_lshl_add_u64 v[36:37], v[36:37], 4, s[0:1]
	v_ashrrev_i32_e32 v39, 31, v38
	global_load_dwordx4 v[2:5], v60, s[0:1]
	global_load_dwordx4 v[6:9], v[14:15], off
	global_load_dwordx4 v[10:13], v[18:19], off
	;; [unrolled: 1-line block ×6, first 2 shown]
	v_lshl_add_u64 v[30:31], v[30:31], 4, s[0:1]
	global_load_dwordx4 v[74:77], v[28:29], off
	global_load_dwordx4 v[78:81], v[30:31], off
	v_lshl_add_u64 v[34:35], v[34:35], 4, s[0:1]
	global_load_dwordx4 v[82:85], v[32:33], off
	global_load_dwordx4 v[86:89], v[34:35], off
	v_add_u32_e32 v42, s9, v38
	v_lshl_add_u64 v[38:39], v[38:39], 4, s[0:1]
	global_load_dwordx4 v[90:93], v[36:37], off
	global_load_dwordx4 v[94:97], v[38:39], off
	v_ashrrev_i32_e32 v43, 31, v42
	v_lshl_add_u64 v[40:41], v[42:43], 4, s[0:1]
	global_load_dwordx4 v[98:101], v[40:41], off
	v_add_u32_e32 v42, s9, v42
	v_add_u32_e32 v44, s9, v42
	;; [unrolled: 1-line block ×5, first 2 shown]
	v_ashrrev_i32_e32 v43, 31, v42
	v_ashrrev_i32_e32 v45, 31, v44
	v_ashrrev_i32_e32 v49, 31, v48
	v_add_u32_e32 v52, s9, v50
	v_lshl_add_u64 v[42:43], v[42:43], 4, s[0:1]
	global_load_dwordx4 v[102:105], v[42:43], off
	v_lshl_add_u64 v[44:45], v[44:45], 4, s[0:1]
	v_ashrrev_i32_e32 v47, 31, v46
	v_lshl_add_u64 v[48:49], v[48:49], 4, s[0:1]
	v_ashrrev_i32_e32 v51, 31, v50
	v_add_u32_e32 v122, s9, v52
	v_lshl_add_u64 v[46:47], v[46:47], 4, s[0:1]
	global_load_dwordx4 v[106:109], v[44:45], off
	global_load_dwordx4 v[110:113], v[46:47], off
	v_lshl_add_u64 v[50:51], v[50:51], 4, s[0:1]
	global_load_dwordx4 v[114:117], v[48:49], off
	global_load_dwordx4 v[118:121], v[50:51], off
	v_ashrrev_i32_e32 v53, 31, v52
	v_lshl_add_u64 v[52:53], v[52:53], 4, s[0:1]
	v_ashrrev_i32_e32 v123, 31, v122
	v_lshl_add_u64 v[54:55], v[122:123], 4, s[0:1]
	s_cmpk_lg_i32 s5, 0x84
	s_cselect_b64 s[6:7], -1, 0
	s_cmpk_eq_i32 s5, 0x84
	s_waitcnt vmcnt(18)
	scratch_store_dwordx4 off, v[2:5], off
	s_waitcnt vmcnt(18)
	scratch_store_dwordx4 off, v[6:9], off offset:16
	s_waitcnt vmcnt(18)
	scratch_store_dwordx4 off, v[10:13], off offset:32
	s_waitcnt vmcnt(18)
	scratch_store_dwordx4 off, v[56:59], off offset:48
	s_waitcnt vmcnt(18)
	scratch_store_dwordx4 off, v[62:65], off offset:64
	s_waitcnt vmcnt(18)
	scratch_store_dwordx4 off, v[66:69], off offset:80
	s_waitcnt vmcnt(18)
	scratch_store_dwordx4 off, v[70:73], off offset:96
	s_waitcnt vmcnt(18)
	scratch_store_dwordx4 off, v[74:77], off offset:112
	s_waitcnt vmcnt(18)
	scratch_store_dwordx4 off, v[78:81], off offset:128
	s_waitcnt vmcnt(18)
	scratch_store_dwordx4 off, v[82:85], off offset:144
	s_waitcnt vmcnt(18)
	scratch_store_dwordx4 off, v[86:89], off offset:160
	s_waitcnt vmcnt(18)
	scratch_store_dwordx4 off, v[90:93], off offset:176
	s_waitcnt vmcnt(18)
	scratch_store_dwordx4 off, v[94:97], off offset:192
	s_waitcnt vmcnt(18)
	scratch_store_dwordx4 off, v[98:101], off offset:208
	v_add_u32_e32 v10, s9, v122
	v_add_u32_e32 v62, s9, v10
	;; [unrolled: 1-line block ×7, first 2 shown]
	v_ashrrev_i32_e32 v63, 31, v62
	v_ashrrev_i32_e32 v65, 31, v64
	;; [unrolled: 1-line block ×7, first 2 shown]
	v_lshl_add_u64 v[58:59], v[62:63], 4, s[0:1]
	v_lshl_add_u64 v[62:63], v[64:65], 4, s[0:1]
	v_lshl_add_u64 v[64:65], v[66:67], 4, s[0:1]
	v_lshl_add_u64 v[66:67], v[68:69], 4, s[0:1]
	v_lshl_add_u64 v[68:69], v[70:71], 4, s[0:1]
	v_lshl_add_u64 v[70:71], v[72:73], 4, s[0:1]
	v_add_u32_e32 v72, s9, v72
	v_lshl_add_u64 v[56:57], v[10:11], 4, s[0:1]
	v_ashrrev_i32_e32 v73, 31, v72
	global_load_dwordx4 v[2:5], v[52:53], off
	global_load_dwordx4 v[6:9], v[54:55], off
	;; [unrolled: 1-line block ×8, first 2 shown]
	v_lshl_add_u64 v[72:73], v[72:73], 4, s[0:1]
	global_load_dwordx4 v[94:97], v[70:71], off
	global_load_dwordx4 v[98:101], v[72:73], off
	s_waitcnt vmcnt(28)
	scratch_store_dwordx4 off, v[102:105], off offset:224
	s_waitcnt vmcnt(28)
	scratch_store_dwordx4 off, v[106:109], off offset:240
	;; [unrolled: 2-line block ×15, first 2 shown]
	s_cbranch_scc1 .LBB92_7
; %bb.2:
	scratch_load_dwordx4 v[2:5], v60, off
                                        ; implicit-def: $vgpr10_vgpr11
	s_waitcnt vmcnt(0)
	v_xor_b32_e32 v7, 0x80000000, v3
	v_cmp_gt_f64_e32 vcc, 0, v[2:3]
	v_xor_b32_e32 v8, 0x80000000, v5
	v_mov_b32_e32 v6, v2
	v_cndmask_b32_e32 v7, v3, v7, vcc
	v_cmp_gt_f64_e32 vcc, 0, v[4:5]
	s_nop 1
	v_cndmask_b32_e32 v9, v5, v8, vcc
	v_mov_b32_e32 v8, v4
	v_cmp_ngt_f64_e32 vcc, v[6:7], v[8:9]
                                        ; implicit-def: $vgpr6_vgpr7
	s_and_saveexec_b64 s[0:1], vcc
	s_xor_b64 s[0:1], exec, s[0:1]
	s_cbranch_execz .LBB92_4
; %bb.3:
	v_div_scale_f64 v[6:7], s[2:3], v[4:5], v[4:5], v[2:3]
	v_rcp_f64_e32 v[8:9], v[6:7]
	v_div_scale_f64 v[10:11], vcc, v[2:3], v[4:5], v[2:3]
	v_fma_f64 v[12:13], -v[6:7], v[8:9], 1.0
	v_fmac_f64_e32 v[8:9], v[8:9], v[12:13]
	v_fma_f64 v[12:13], -v[6:7], v[8:9], 1.0
	v_fmac_f64_e32 v[8:9], v[8:9], v[12:13]
	v_mul_f64 v[12:13], v[10:11], v[8:9]
	v_fma_f64 v[6:7], -v[6:7], v[12:13], v[10:11]
	v_div_fmas_f64 v[6:7], v[6:7], v[8:9], v[12:13]
	v_div_fixup_f64 v[6:7], v[6:7], v[4:5], v[2:3]
	v_fmac_f64_e32 v[4:5], v[2:3], v[6:7]
	v_div_scale_f64 v[2:3], s[2:3], v[4:5], v[4:5], 1.0
	v_rcp_f64_e32 v[8:9], v[2:3]
	s_nop 0
	v_fma_f64 v[10:11], -v[2:3], v[8:9], 1.0
	v_fmac_f64_e32 v[8:9], v[8:9], v[10:11]
	v_fma_f64 v[10:11], -v[2:3], v[8:9], 1.0
	v_fmac_f64_e32 v[8:9], v[8:9], v[10:11]
	v_div_scale_f64 v[10:11], vcc, 1.0, v[4:5], 1.0
	v_mul_f64 v[12:13], v[10:11], v[8:9]
	v_fma_f64 v[2:3], -v[2:3], v[12:13], v[10:11]
	s_nop 1
	v_div_fmas_f64 v[2:3], v[2:3], v[8:9], v[12:13]
	v_div_fixup_f64 v[8:9], v[2:3], v[4:5], 1.0
	v_mul_f64 v[6:7], v[6:7], v[8:9]
	v_xor_b32_e32 v9, 0x80000000, v9
	v_xor_b32_e32 v11, 0x80000000, v7
	v_mov_b32_e32 v10, v6
                                        ; implicit-def: $vgpr2_vgpr3
.LBB92_4:
	s_or_saveexec_b64 s[0:1], s[0:1]
	v_add_u32_e32 v12, 0, v60
	s_xor_b64 exec, exec, s[0:1]
	s_cbranch_execz .LBB92_6
; %bb.5:
	v_div_scale_f64 v[6:7], s[2:3], v[2:3], v[2:3], v[4:5]
	v_rcp_f64_e32 v[8:9], v[6:7]
	v_div_scale_f64 v[10:11], vcc, v[4:5], v[2:3], v[4:5]
	v_fma_f64 v[74:75], -v[6:7], v[8:9], 1.0
	v_fmac_f64_e32 v[8:9], v[8:9], v[74:75]
	v_fma_f64 v[74:75], -v[6:7], v[8:9], 1.0
	v_fmac_f64_e32 v[8:9], v[8:9], v[74:75]
	v_mul_f64 v[74:75], v[10:11], v[8:9]
	v_fma_f64 v[6:7], -v[6:7], v[74:75], v[10:11]
	v_div_fmas_f64 v[6:7], v[6:7], v[8:9], v[74:75]
	v_div_fixup_f64 v[8:9], v[6:7], v[2:3], v[4:5]
	v_fmac_f64_e32 v[2:3], v[4:5], v[8:9]
	v_div_scale_f64 v[4:5], s[2:3], v[2:3], v[2:3], 1.0
	v_rcp_f64_e32 v[6:7], v[4:5]
	s_nop 0
	v_fma_f64 v[10:11], -v[4:5], v[6:7], 1.0
	v_fmac_f64_e32 v[6:7], v[6:7], v[10:11]
	v_fma_f64 v[10:11], -v[4:5], v[6:7], 1.0
	v_fmac_f64_e32 v[6:7], v[6:7], v[10:11]
	v_div_scale_f64 v[10:11], vcc, 1.0, v[2:3], 1.0
	v_mul_f64 v[74:75], v[10:11], v[6:7]
	v_fma_f64 v[4:5], -v[4:5], v[74:75], v[10:11]
	s_nop 1
	v_div_fmas_f64 v[4:5], v[4:5], v[6:7], v[74:75]
	v_div_fixup_f64 v[6:7], v[4:5], v[2:3], 1.0
	v_xor_b32_e32 v11, 0x80000000, v7
	v_mov_b32_e32 v10, v6
	v_mul_f64 v[8:9], v[8:9], -v[6:7]
.LBB92_6:
	s_or_b64 exec, exec, s[0:1]
	scratch_store_dwordx4 v12, v[6:9], off
	s_nop 1
	v_xor_b32_e32 v9, 0x80000000, v9
	s_branch .LBB92_8
.LBB92_7:
	v_mov_b64_e32 v[8:9], 0
	v_mov_b64_e32 v[10:11], -1.0
.LBB92_8:
	v_add_u32_e32 v94, 16, v1
	v_add_u32_e32 v91, 32, v1
	;; [unrolled: 1-line block ×28, first 2 shown]
	v_mov_b32_e32 v12, v8
	v_mov_b32_e32 v13, v9
	s_cmpk_eq_i32 s4, 0x79
	v_add_u32_e32 v9, 0x1d0, v60
	v_add_u32_e32 v8, 0, v60
	ds_write_b128 v60, v[10:13]
	s_cbranch_scc1 .LBB92_228
; %bb.9:
	scratch_load_dwordx4 v[2:5], v61, off
	v_cmp_eq_u32_e64 s[0:1], 28, v0
	s_waitcnt vmcnt(0)
	ds_write_b128 v9, v[2:5]
	s_waitcnt lgkmcnt(0)
	; wave barrier
	s_waitcnt lgkmcnt(0)
	s_and_saveexec_b64 s[2:3], s[0:1]
	s_cbranch_execz .LBB92_13
; %bb.10:
	ds_read_b128 v[2:5], v9
	s_andn2_b64 vcc, exec, s[6:7]
	s_cbranch_vccnz .LBB92_12
; %bb.11:
	scratch_load_dwordx4 v[10:13], v8, off
	s_waitcnt vmcnt(0) lgkmcnt(0)
	v_mul_f64 v[6:7], v[4:5], v[12:13]
	v_mul_f64 v[12:13], v[2:3], v[12:13]
	v_fmac_f64_e32 v[12:13], v[4:5], v[10:11]
	v_fma_f64 v[2:3], v[2:3], v[10:11], -v[6:7]
	v_mov_b64_e32 v[4:5], v[12:13]
.LBB92_12:
	v_mov_b32_e32 v6, 0
	ds_read_b128 v[10:13], v6 offset:432
	s_waitcnt lgkmcnt(0)
	v_mul_f64 v[6:7], v[4:5], v[12:13]
	v_mul_f64 v[102:103], v[2:3], v[12:13]
	v_fma_f64 v[100:101], v[2:3], v[10:11], -v[6:7]
	v_fmac_f64_e32 v[102:103], v[4:5], v[10:11]
	scratch_store_dwordx4 off, v[100:103], off offset:432
.LBB92_13:
	s_or_b64 exec, exec, s[2:3]
	scratch_load_dwordx4 v[2:5], v74, off
	v_cmp_lt_u32_e64 s[2:3], 26, v0
	s_waitcnt vmcnt(0)
	ds_write_b128 v9, v[2:5]
	s_waitcnt lgkmcnt(0)
	; wave barrier
	s_waitcnt lgkmcnt(0)
	s_and_saveexec_b64 s[4:5], s[2:3]
	s_cbranch_execz .LBB92_19
; %bb.14:
	ds_read_b128 v[2:5], v9
	s_andn2_b64 vcc, exec, s[6:7]
	s_cbranch_vccnz .LBB92_16
; %bb.15:
	scratch_load_dwordx4 v[10:13], v8, off
	s_waitcnt vmcnt(0) lgkmcnt(0)
	v_mul_f64 v[6:7], v[4:5], v[12:13]
	v_mul_f64 v[12:13], v[2:3], v[12:13]
	v_fmac_f64_e32 v[12:13], v[4:5], v[10:11]
	v_fma_f64 v[2:3], v[2:3], v[10:11], -v[6:7]
	v_mov_b64_e32 v[4:5], v[12:13]
.LBB92_16:
	s_and_saveexec_b64 s[8:9], s[0:1]
	s_cbranch_execz .LBB92_18
; %bb.17:
	scratch_load_dwordx4 v[10:13], off, off offset:432
	v_mov_b32_e32 v6, 0
	ds_read_b128 v[100:103], v6 offset:896
	s_waitcnt vmcnt(0) lgkmcnt(0)
	v_mul_f64 v[6:7], v[100:101], v[12:13]
	v_mul_f64 v[12:13], v[102:103], v[12:13]
	v_fmac_f64_e32 v[6:7], v[102:103], v[10:11]
	v_fma_f64 v[10:11], v[100:101], v[10:11], -v[12:13]
	v_add_f64 v[4:5], v[4:5], v[6:7]
	v_add_f64 v[2:3], v[2:3], v[10:11]
.LBB92_18:
	s_or_b64 exec, exec, s[8:9]
	v_mov_b32_e32 v6, 0
	ds_read_b128 v[10:13], v6 offset:416
	s_waitcnt lgkmcnt(0)
	v_mul_f64 v[6:7], v[4:5], v[12:13]
	v_mul_f64 v[102:103], v[2:3], v[12:13]
	v_fma_f64 v[100:101], v[2:3], v[10:11], -v[6:7]
	v_fmac_f64_e32 v[102:103], v[4:5], v[10:11]
	scratch_store_dwordx4 off, v[100:103], off offset:416
.LBB92_19:
	s_or_b64 exec, exec, s[4:5]
	scratch_load_dwordx4 v[2:5], v75, off
	v_cmp_lt_u32_e64 s[0:1], 25, v0
	s_waitcnt vmcnt(0)
	ds_write_b128 v9, v[2:5]
	s_waitcnt lgkmcnt(0)
	; wave barrier
	s_waitcnt lgkmcnt(0)
	s_and_saveexec_b64 s[4:5], s[0:1]
	s_cbranch_execz .LBB92_27
; %bb.20:
	ds_read_b128 v[2:5], v9
	s_andn2_b64 vcc, exec, s[6:7]
	s_cbranch_vccnz .LBB92_22
; %bb.21:
	scratch_load_dwordx4 v[10:13], v8, off
	s_waitcnt vmcnt(0) lgkmcnt(0)
	v_mul_f64 v[6:7], v[4:5], v[12:13]
	v_mul_f64 v[12:13], v[2:3], v[12:13]
	v_fmac_f64_e32 v[12:13], v[4:5], v[10:11]
	v_fma_f64 v[2:3], v[2:3], v[10:11], -v[6:7]
	v_mov_b64_e32 v[4:5], v[12:13]
.LBB92_22:
	s_and_saveexec_b64 s[8:9], s[2:3]
	s_cbranch_execz .LBB92_26
; %bb.23:
	v_mov_b32_e32 v7, 0
	v_subrev_u32_e32 v6, 26, v0
	v_add_u32_e32 v7, 0x1a8, v7
	s_movk_i32 s10, 0x370
	s_mov_b64 s[2:3], 0
.LBB92_24:                              ; =>This Inner Loop Header: Depth=1
	v_add_u32_e32 v10, -8, v7
	scratch_load_dwordx4 v[10:13], v10, off
	v_mov_b32_e32 v100, s10
	ds_read_b128 v[100:103], v100
	v_add_u32_e32 v6, -1, v6
	s_add_i32 s10, s10, 16
	v_cmp_eq_u32_e32 vcc, 0, v6
	v_add_u32_e32 v7, 16, v7
	s_or_b64 s[2:3], vcc, s[2:3]
	s_waitcnt vmcnt(0) lgkmcnt(0)
	v_mul_f64 v[104:105], v[102:103], v[12:13]
	v_mul_f64 v[12:13], v[100:101], v[12:13]
	v_fma_f64 v[100:101], v[100:101], v[10:11], -v[104:105]
	v_fmac_f64_e32 v[12:13], v[102:103], v[10:11]
	v_add_f64 v[2:3], v[2:3], v[100:101]
	v_add_f64 v[4:5], v[4:5], v[12:13]
	s_andn2_b64 exec, exec, s[2:3]
	s_cbranch_execnz .LBB92_24
; %bb.25:
	s_or_b64 exec, exec, s[2:3]
.LBB92_26:
	s_or_b64 exec, exec, s[8:9]
	v_mov_b32_e32 v6, 0
	ds_read_b128 v[10:13], v6 offset:400
	s_waitcnt lgkmcnt(0)
	v_mul_f64 v[6:7], v[4:5], v[12:13]
	v_mul_f64 v[102:103], v[2:3], v[12:13]
	v_fma_f64 v[100:101], v[2:3], v[10:11], -v[6:7]
	v_fmac_f64_e32 v[102:103], v[4:5], v[10:11]
	scratch_store_dwordx4 off, v[100:103], off offset:400
.LBB92_27:
	s_or_b64 exec, exec, s[4:5]
	scratch_load_dwordx4 v[2:5], v77, off
	v_cmp_lt_u32_e64 s[2:3], 24, v0
	s_waitcnt vmcnt(0)
	ds_write_b128 v9, v[2:5]
	s_waitcnt lgkmcnt(0)
	; wave barrier
	s_waitcnt lgkmcnt(0)
	s_and_saveexec_b64 s[4:5], s[2:3]
	s_cbranch_execz .LBB92_35
; %bb.28:
	ds_read_b128 v[2:5], v9
	s_andn2_b64 vcc, exec, s[6:7]
	s_cbranch_vccnz .LBB92_30
; %bb.29:
	scratch_load_dwordx4 v[10:13], v8, off
	s_waitcnt vmcnt(0) lgkmcnt(0)
	v_mul_f64 v[6:7], v[4:5], v[12:13]
	v_mul_f64 v[12:13], v[2:3], v[12:13]
	v_fmac_f64_e32 v[12:13], v[4:5], v[10:11]
	v_fma_f64 v[2:3], v[2:3], v[10:11], -v[6:7]
	v_mov_b64_e32 v[4:5], v[12:13]
.LBB92_30:
	s_and_saveexec_b64 s[8:9], s[0:1]
	s_cbranch_execz .LBB92_34
; %bb.31:
	v_mov_b32_e32 v7, 0
	v_subrev_u32_e32 v6, 25, v0
	v_add_u32_e32 v7, 0x198, v7
	s_movk_i32 s10, 0x360
	s_mov_b64 s[0:1], 0
.LBB92_32:                              ; =>This Inner Loop Header: Depth=1
	v_add_u32_e32 v10, -8, v7
	scratch_load_dwordx4 v[10:13], v10, off
	v_mov_b32_e32 v100, s10
	ds_read_b128 v[100:103], v100
	v_add_u32_e32 v6, -1, v6
	s_add_i32 s10, s10, 16
	v_cmp_eq_u32_e32 vcc, 0, v6
	v_add_u32_e32 v7, 16, v7
	s_or_b64 s[0:1], vcc, s[0:1]
	s_waitcnt vmcnt(0) lgkmcnt(0)
	v_mul_f64 v[104:105], v[102:103], v[12:13]
	v_mul_f64 v[12:13], v[100:101], v[12:13]
	v_fma_f64 v[100:101], v[100:101], v[10:11], -v[104:105]
	v_fmac_f64_e32 v[12:13], v[102:103], v[10:11]
	v_add_f64 v[2:3], v[2:3], v[100:101]
	v_add_f64 v[4:5], v[4:5], v[12:13]
	s_andn2_b64 exec, exec, s[0:1]
	s_cbranch_execnz .LBB92_32
; %bb.33:
	s_or_b64 exec, exec, s[0:1]
.LBB92_34:
	s_or_b64 exec, exec, s[8:9]
	v_mov_b32_e32 v6, 0
	ds_read_b128 v[10:13], v6 offset:384
	s_waitcnt lgkmcnt(0)
	v_mul_f64 v[6:7], v[4:5], v[12:13]
	v_mul_f64 v[102:103], v[2:3], v[12:13]
	v_fma_f64 v[100:101], v[2:3], v[10:11], -v[6:7]
	v_fmac_f64_e32 v[102:103], v[4:5], v[10:11]
	scratch_store_dwordx4 off, v[100:103], off offset:384
.LBB92_35:
	s_or_b64 exec, exec, s[4:5]
	scratch_load_dwordx4 v[2:5], v76, off
	v_cmp_lt_u32_e64 s[0:1], 23, v0
	s_waitcnt vmcnt(0)
	ds_write_b128 v9, v[2:5]
	s_waitcnt lgkmcnt(0)
	; wave barrier
	s_waitcnt lgkmcnt(0)
	s_and_saveexec_b64 s[4:5], s[0:1]
	s_cbranch_execz .LBB92_43
; %bb.36:
	ds_read_b128 v[2:5], v9
	s_andn2_b64 vcc, exec, s[6:7]
	s_cbranch_vccnz .LBB92_38
; %bb.37:
	scratch_load_dwordx4 v[10:13], v8, off
	s_waitcnt vmcnt(0) lgkmcnt(0)
	v_mul_f64 v[6:7], v[4:5], v[12:13]
	v_mul_f64 v[12:13], v[2:3], v[12:13]
	v_fmac_f64_e32 v[12:13], v[4:5], v[10:11]
	v_fma_f64 v[2:3], v[2:3], v[10:11], -v[6:7]
	v_mov_b64_e32 v[4:5], v[12:13]
.LBB92_38:
	s_and_saveexec_b64 s[8:9], s[2:3]
	s_cbranch_execz .LBB92_42
; %bb.39:
	v_mov_b32_e32 v7, 0
	v_subrev_u32_e32 v6, 24, v0
	v_add_u32_e32 v7, 0x188, v7
	s_movk_i32 s10, 0x350
	s_mov_b64 s[2:3], 0
.LBB92_40:                              ; =>This Inner Loop Header: Depth=1
	v_add_u32_e32 v10, -8, v7
	scratch_load_dwordx4 v[10:13], v10, off
	v_mov_b32_e32 v100, s10
	ds_read_b128 v[100:103], v100
	v_add_u32_e32 v6, -1, v6
	s_add_i32 s10, s10, 16
	v_cmp_eq_u32_e32 vcc, 0, v6
	v_add_u32_e32 v7, 16, v7
	s_or_b64 s[2:3], vcc, s[2:3]
	s_waitcnt vmcnt(0) lgkmcnt(0)
	v_mul_f64 v[104:105], v[102:103], v[12:13]
	v_mul_f64 v[12:13], v[100:101], v[12:13]
	v_fma_f64 v[100:101], v[100:101], v[10:11], -v[104:105]
	v_fmac_f64_e32 v[12:13], v[102:103], v[10:11]
	v_add_f64 v[2:3], v[2:3], v[100:101]
	v_add_f64 v[4:5], v[4:5], v[12:13]
	s_andn2_b64 exec, exec, s[2:3]
	s_cbranch_execnz .LBB92_40
; %bb.41:
	s_or_b64 exec, exec, s[2:3]
.LBB92_42:
	s_or_b64 exec, exec, s[8:9]
	v_mov_b32_e32 v6, 0
	ds_read_b128 v[10:13], v6 offset:368
	s_waitcnt lgkmcnt(0)
	v_mul_f64 v[6:7], v[4:5], v[12:13]
	v_mul_f64 v[102:103], v[2:3], v[12:13]
	v_fma_f64 v[100:101], v[2:3], v[10:11], -v[6:7]
	v_fmac_f64_e32 v[102:103], v[4:5], v[10:11]
	scratch_store_dwordx4 off, v[100:103], off offset:368
.LBB92_43:
	s_or_b64 exec, exec, s[4:5]
	scratch_load_dwordx4 v[2:5], v79, off
	v_cmp_lt_u32_e64 s[2:3], 22, v0
	s_waitcnt vmcnt(0)
	ds_write_b128 v9, v[2:5]
	s_waitcnt lgkmcnt(0)
	; wave barrier
	s_waitcnt lgkmcnt(0)
	s_and_saveexec_b64 s[4:5], s[2:3]
	s_cbranch_execz .LBB92_51
; %bb.44:
	ds_read_b128 v[2:5], v9
	s_andn2_b64 vcc, exec, s[6:7]
	s_cbranch_vccnz .LBB92_46
; %bb.45:
	scratch_load_dwordx4 v[10:13], v8, off
	s_waitcnt vmcnt(0) lgkmcnt(0)
	v_mul_f64 v[6:7], v[4:5], v[12:13]
	v_mul_f64 v[12:13], v[2:3], v[12:13]
	v_fmac_f64_e32 v[12:13], v[4:5], v[10:11]
	v_fma_f64 v[2:3], v[2:3], v[10:11], -v[6:7]
	v_mov_b64_e32 v[4:5], v[12:13]
.LBB92_46:
	s_and_saveexec_b64 s[8:9], s[0:1]
	s_cbranch_execz .LBB92_50
; %bb.47:
	v_mov_b32_e32 v7, 0
	v_subrev_u32_e32 v6, 23, v0
	v_add_u32_e32 v7, 0x178, v7
	s_movk_i32 s10, 0x340
	s_mov_b64 s[0:1], 0
.LBB92_48:                              ; =>This Inner Loop Header: Depth=1
	v_add_u32_e32 v10, -8, v7
	scratch_load_dwordx4 v[10:13], v10, off
	v_mov_b32_e32 v100, s10
	ds_read_b128 v[100:103], v100
	v_add_u32_e32 v6, -1, v6
	s_add_i32 s10, s10, 16
	v_cmp_eq_u32_e32 vcc, 0, v6
	v_add_u32_e32 v7, 16, v7
	s_or_b64 s[0:1], vcc, s[0:1]
	s_waitcnt vmcnt(0) lgkmcnt(0)
	v_mul_f64 v[104:105], v[102:103], v[12:13]
	v_mul_f64 v[12:13], v[100:101], v[12:13]
	v_fma_f64 v[100:101], v[100:101], v[10:11], -v[104:105]
	v_fmac_f64_e32 v[12:13], v[102:103], v[10:11]
	v_add_f64 v[2:3], v[2:3], v[100:101]
	v_add_f64 v[4:5], v[4:5], v[12:13]
	s_andn2_b64 exec, exec, s[0:1]
	s_cbranch_execnz .LBB92_48
; %bb.49:
	s_or_b64 exec, exec, s[0:1]
.LBB92_50:
	s_or_b64 exec, exec, s[8:9]
	v_mov_b32_e32 v6, 0
	ds_read_b128 v[10:13], v6 offset:352
	s_waitcnt lgkmcnt(0)
	v_mul_f64 v[6:7], v[4:5], v[12:13]
	v_mul_f64 v[102:103], v[2:3], v[12:13]
	v_fma_f64 v[100:101], v[2:3], v[10:11], -v[6:7]
	v_fmac_f64_e32 v[102:103], v[4:5], v[10:11]
	scratch_store_dwordx4 off, v[100:103], off offset:352
.LBB92_51:
	s_or_b64 exec, exec, s[4:5]
	scratch_load_dwordx4 v[2:5], v78, off
	v_cmp_lt_u32_e64 s[0:1], 21, v0
	s_waitcnt vmcnt(0)
	ds_write_b128 v9, v[2:5]
	s_waitcnt lgkmcnt(0)
	; wave barrier
	s_waitcnt lgkmcnt(0)
	s_and_saveexec_b64 s[4:5], s[0:1]
	s_cbranch_execz .LBB92_59
; %bb.52:
	ds_read_b128 v[2:5], v9
	s_andn2_b64 vcc, exec, s[6:7]
	s_cbranch_vccnz .LBB92_54
; %bb.53:
	scratch_load_dwordx4 v[10:13], v8, off
	s_waitcnt vmcnt(0) lgkmcnt(0)
	v_mul_f64 v[6:7], v[4:5], v[12:13]
	v_mul_f64 v[12:13], v[2:3], v[12:13]
	v_fmac_f64_e32 v[12:13], v[4:5], v[10:11]
	v_fma_f64 v[2:3], v[2:3], v[10:11], -v[6:7]
	v_mov_b64_e32 v[4:5], v[12:13]
.LBB92_54:
	s_and_saveexec_b64 s[8:9], s[2:3]
	s_cbranch_execz .LBB92_58
; %bb.55:
	v_mov_b32_e32 v7, 0
	v_subrev_u32_e32 v6, 22, v0
	v_add_u32_e32 v7, 0x168, v7
	s_movk_i32 s10, 0x330
	s_mov_b64 s[2:3], 0
.LBB92_56:                              ; =>This Inner Loop Header: Depth=1
	v_add_u32_e32 v10, -8, v7
	scratch_load_dwordx4 v[10:13], v10, off
	v_mov_b32_e32 v100, s10
	ds_read_b128 v[100:103], v100
	v_add_u32_e32 v6, -1, v6
	s_add_i32 s10, s10, 16
	v_cmp_eq_u32_e32 vcc, 0, v6
	v_add_u32_e32 v7, 16, v7
	s_or_b64 s[2:3], vcc, s[2:3]
	s_waitcnt vmcnt(0) lgkmcnt(0)
	v_mul_f64 v[104:105], v[102:103], v[12:13]
	v_mul_f64 v[12:13], v[100:101], v[12:13]
	v_fma_f64 v[100:101], v[100:101], v[10:11], -v[104:105]
	v_fmac_f64_e32 v[12:13], v[102:103], v[10:11]
	v_add_f64 v[2:3], v[2:3], v[100:101]
	v_add_f64 v[4:5], v[4:5], v[12:13]
	s_andn2_b64 exec, exec, s[2:3]
	s_cbranch_execnz .LBB92_56
; %bb.57:
	s_or_b64 exec, exec, s[2:3]
.LBB92_58:
	s_or_b64 exec, exec, s[8:9]
	v_mov_b32_e32 v6, 0
	ds_read_b128 v[10:13], v6 offset:336
	s_waitcnt lgkmcnt(0)
	v_mul_f64 v[6:7], v[4:5], v[12:13]
	v_mul_f64 v[102:103], v[2:3], v[12:13]
	v_fma_f64 v[100:101], v[2:3], v[10:11], -v[6:7]
	v_fmac_f64_e32 v[102:103], v[4:5], v[10:11]
	scratch_store_dwordx4 off, v[100:103], off offset:336
.LBB92_59:
	s_or_b64 exec, exec, s[4:5]
	scratch_load_dwordx4 v[2:5], v81, off
	v_cmp_lt_u32_e64 s[2:3], 20, v0
	s_waitcnt vmcnt(0)
	ds_write_b128 v9, v[2:5]
	s_waitcnt lgkmcnt(0)
	; wave barrier
	s_waitcnt lgkmcnt(0)
	s_and_saveexec_b64 s[4:5], s[2:3]
	s_cbranch_execz .LBB92_67
; %bb.60:
	ds_read_b128 v[2:5], v9
	s_andn2_b64 vcc, exec, s[6:7]
	s_cbranch_vccnz .LBB92_62
; %bb.61:
	scratch_load_dwordx4 v[10:13], v8, off
	s_waitcnt vmcnt(0) lgkmcnt(0)
	v_mul_f64 v[6:7], v[4:5], v[12:13]
	v_mul_f64 v[12:13], v[2:3], v[12:13]
	v_fmac_f64_e32 v[12:13], v[4:5], v[10:11]
	v_fma_f64 v[2:3], v[2:3], v[10:11], -v[6:7]
	v_mov_b64_e32 v[4:5], v[12:13]
.LBB92_62:
	s_and_saveexec_b64 s[8:9], s[0:1]
	s_cbranch_execz .LBB92_66
; %bb.63:
	v_mov_b32_e32 v7, 0
	v_subrev_u32_e32 v6, 21, v0
	v_add_u32_e32 v7, 0x158, v7
	s_movk_i32 s10, 0x320
	s_mov_b64 s[0:1], 0
.LBB92_64:                              ; =>This Inner Loop Header: Depth=1
	v_add_u32_e32 v10, -8, v7
	scratch_load_dwordx4 v[10:13], v10, off
	v_mov_b32_e32 v100, s10
	ds_read_b128 v[100:103], v100
	v_add_u32_e32 v6, -1, v6
	s_add_i32 s10, s10, 16
	v_cmp_eq_u32_e32 vcc, 0, v6
	v_add_u32_e32 v7, 16, v7
	s_or_b64 s[0:1], vcc, s[0:1]
	s_waitcnt vmcnt(0) lgkmcnt(0)
	v_mul_f64 v[104:105], v[102:103], v[12:13]
	v_mul_f64 v[12:13], v[100:101], v[12:13]
	v_fma_f64 v[100:101], v[100:101], v[10:11], -v[104:105]
	v_fmac_f64_e32 v[12:13], v[102:103], v[10:11]
	v_add_f64 v[2:3], v[2:3], v[100:101]
	v_add_f64 v[4:5], v[4:5], v[12:13]
	s_andn2_b64 exec, exec, s[0:1]
	s_cbranch_execnz .LBB92_64
; %bb.65:
	s_or_b64 exec, exec, s[0:1]
.LBB92_66:
	s_or_b64 exec, exec, s[8:9]
	v_mov_b32_e32 v6, 0
	ds_read_b128 v[10:13], v6 offset:320
	s_waitcnt lgkmcnt(0)
	v_mul_f64 v[6:7], v[4:5], v[12:13]
	v_mul_f64 v[102:103], v[2:3], v[12:13]
	v_fma_f64 v[100:101], v[2:3], v[10:11], -v[6:7]
	v_fmac_f64_e32 v[102:103], v[4:5], v[10:11]
	scratch_store_dwordx4 off, v[100:103], off offset:320
.LBB92_67:
	s_or_b64 exec, exec, s[4:5]
	scratch_load_dwordx4 v[2:5], v80, off
	v_cmp_lt_u32_e64 s[0:1], 19, v0
	s_waitcnt vmcnt(0)
	ds_write_b128 v9, v[2:5]
	s_waitcnt lgkmcnt(0)
	; wave barrier
	s_waitcnt lgkmcnt(0)
	s_and_saveexec_b64 s[4:5], s[0:1]
	s_cbranch_execz .LBB92_75
; %bb.68:
	ds_read_b128 v[2:5], v9
	s_andn2_b64 vcc, exec, s[6:7]
	s_cbranch_vccnz .LBB92_70
; %bb.69:
	scratch_load_dwordx4 v[10:13], v8, off
	s_waitcnt vmcnt(0) lgkmcnt(0)
	v_mul_f64 v[6:7], v[4:5], v[12:13]
	v_mul_f64 v[12:13], v[2:3], v[12:13]
	v_fmac_f64_e32 v[12:13], v[4:5], v[10:11]
	v_fma_f64 v[2:3], v[2:3], v[10:11], -v[6:7]
	v_mov_b64_e32 v[4:5], v[12:13]
.LBB92_70:
	s_and_saveexec_b64 s[8:9], s[2:3]
	s_cbranch_execz .LBB92_74
; %bb.71:
	v_mov_b32_e32 v7, 0
	v_subrev_u32_e32 v6, 20, v0
	v_add_u32_e32 v7, 0x148, v7
	s_movk_i32 s10, 0x310
	s_mov_b64 s[2:3], 0
.LBB92_72:                              ; =>This Inner Loop Header: Depth=1
	v_add_u32_e32 v10, -8, v7
	scratch_load_dwordx4 v[10:13], v10, off
	v_mov_b32_e32 v100, s10
	ds_read_b128 v[100:103], v100
	v_add_u32_e32 v6, -1, v6
	s_add_i32 s10, s10, 16
	v_cmp_eq_u32_e32 vcc, 0, v6
	v_add_u32_e32 v7, 16, v7
	s_or_b64 s[2:3], vcc, s[2:3]
	s_waitcnt vmcnt(0) lgkmcnt(0)
	v_mul_f64 v[104:105], v[102:103], v[12:13]
	v_mul_f64 v[12:13], v[100:101], v[12:13]
	v_fma_f64 v[100:101], v[100:101], v[10:11], -v[104:105]
	v_fmac_f64_e32 v[12:13], v[102:103], v[10:11]
	v_add_f64 v[2:3], v[2:3], v[100:101]
	v_add_f64 v[4:5], v[4:5], v[12:13]
	s_andn2_b64 exec, exec, s[2:3]
	s_cbranch_execnz .LBB92_72
; %bb.73:
	s_or_b64 exec, exec, s[2:3]
.LBB92_74:
	s_or_b64 exec, exec, s[8:9]
	v_mov_b32_e32 v6, 0
	ds_read_b128 v[10:13], v6 offset:304
	s_waitcnt lgkmcnt(0)
	v_mul_f64 v[6:7], v[4:5], v[12:13]
	v_mul_f64 v[102:103], v[2:3], v[12:13]
	v_fma_f64 v[100:101], v[2:3], v[10:11], -v[6:7]
	v_fmac_f64_e32 v[102:103], v[4:5], v[10:11]
	scratch_store_dwordx4 off, v[100:103], off offset:304
.LBB92_75:
	s_or_b64 exec, exec, s[4:5]
	scratch_load_dwordx4 v[2:5], v82, off
	v_cmp_lt_u32_e64 s[2:3], 18, v0
	s_waitcnt vmcnt(0)
	ds_write_b128 v9, v[2:5]
	s_waitcnt lgkmcnt(0)
	; wave barrier
	s_waitcnt lgkmcnt(0)
	s_and_saveexec_b64 s[4:5], s[2:3]
	s_cbranch_execz .LBB92_83
; %bb.76:
	ds_read_b128 v[2:5], v9
	s_andn2_b64 vcc, exec, s[6:7]
	s_cbranch_vccnz .LBB92_78
; %bb.77:
	scratch_load_dwordx4 v[10:13], v8, off
	s_waitcnt vmcnt(0) lgkmcnt(0)
	v_mul_f64 v[6:7], v[4:5], v[12:13]
	v_mul_f64 v[12:13], v[2:3], v[12:13]
	v_fmac_f64_e32 v[12:13], v[4:5], v[10:11]
	v_fma_f64 v[2:3], v[2:3], v[10:11], -v[6:7]
	v_mov_b64_e32 v[4:5], v[12:13]
.LBB92_78:
	s_and_saveexec_b64 s[8:9], s[0:1]
	s_cbranch_execz .LBB92_82
; %bb.79:
	v_mov_b32_e32 v7, 0
	v_subrev_u32_e32 v6, 19, v0
	v_add_u32_e32 v7, 0x138, v7
	s_movk_i32 s10, 0x300
	s_mov_b64 s[0:1], 0
.LBB92_80:                              ; =>This Inner Loop Header: Depth=1
	v_add_u32_e32 v10, -8, v7
	scratch_load_dwordx4 v[10:13], v10, off
	v_mov_b32_e32 v100, s10
	ds_read_b128 v[100:103], v100
	v_add_u32_e32 v6, -1, v6
	s_add_i32 s10, s10, 16
	v_cmp_eq_u32_e32 vcc, 0, v6
	v_add_u32_e32 v7, 16, v7
	s_or_b64 s[0:1], vcc, s[0:1]
	s_waitcnt vmcnt(0) lgkmcnt(0)
	v_mul_f64 v[104:105], v[102:103], v[12:13]
	v_mul_f64 v[12:13], v[100:101], v[12:13]
	v_fma_f64 v[100:101], v[100:101], v[10:11], -v[104:105]
	v_fmac_f64_e32 v[12:13], v[102:103], v[10:11]
	v_add_f64 v[2:3], v[2:3], v[100:101]
	v_add_f64 v[4:5], v[4:5], v[12:13]
	s_andn2_b64 exec, exec, s[0:1]
	s_cbranch_execnz .LBB92_80
; %bb.81:
	s_or_b64 exec, exec, s[0:1]
.LBB92_82:
	s_or_b64 exec, exec, s[8:9]
	v_mov_b32_e32 v6, 0
	ds_read_b128 v[10:13], v6 offset:288
	s_waitcnt lgkmcnt(0)
	v_mul_f64 v[6:7], v[4:5], v[12:13]
	v_mul_f64 v[102:103], v[2:3], v[12:13]
	v_fma_f64 v[100:101], v[2:3], v[10:11], -v[6:7]
	v_fmac_f64_e32 v[102:103], v[4:5], v[10:11]
	scratch_store_dwordx4 off, v[100:103], off offset:288
.LBB92_83:
	s_or_b64 exec, exec, s[4:5]
	scratch_load_dwordx4 v[2:5], v83, off
	v_cmp_lt_u32_e64 s[0:1], 17, v0
	s_waitcnt vmcnt(0)
	ds_write_b128 v9, v[2:5]
	s_waitcnt lgkmcnt(0)
	; wave barrier
	s_waitcnt lgkmcnt(0)
	s_and_saveexec_b64 s[4:5], s[0:1]
	s_cbranch_execz .LBB92_91
; %bb.84:
	ds_read_b128 v[2:5], v9
	s_andn2_b64 vcc, exec, s[6:7]
	s_cbranch_vccnz .LBB92_86
; %bb.85:
	scratch_load_dwordx4 v[10:13], v8, off
	s_waitcnt vmcnt(0) lgkmcnt(0)
	v_mul_f64 v[6:7], v[4:5], v[12:13]
	v_mul_f64 v[12:13], v[2:3], v[12:13]
	v_fmac_f64_e32 v[12:13], v[4:5], v[10:11]
	v_fma_f64 v[2:3], v[2:3], v[10:11], -v[6:7]
	v_mov_b64_e32 v[4:5], v[12:13]
.LBB92_86:
	s_and_saveexec_b64 s[8:9], s[2:3]
	s_cbranch_execz .LBB92_90
; %bb.87:
	v_mov_b32_e32 v7, 0
	v_subrev_u32_e32 v6, 18, v0
	v_add_u32_e32 v7, 0x128, v7
	s_movk_i32 s10, 0x2f0
	s_mov_b64 s[2:3], 0
.LBB92_88:                              ; =>This Inner Loop Header: Depth=1
	v_add_u32_e32 v10, -8, v7
	scratch_load_dwordx4 v[10:13], v10, off
	v_mov_b32_e32 v100, s10
	ds_read_b128 v[100:103], v100
	v_add_u32_e32 v6, -1, v6
	s_add_i32 s10, s10, 16
	v_cmp_eq_u32_e32 vcc, 0, v6
	v_add_u32_e32 v7, 16, v7
	s_or_b64 s[2:3], vcc, s[2:3]
	s_waitcnt vmcnt(0) lgkmcnt(0)
	v_mul_f64 v[104:105], v[102:103], v[12:13]
	v_mul_f64 v[12:13], v[100:101], v[12:13]
	v_fma_f64 v[100:101], v[100:101], v[10:11], -v[104:105]
	v_fmac_f64_e32 v[12:13], v[102:103], v[10:11]
	v_add_f64 v[2:3], v[2:3], v[100:101]
	v_add_f64 v[4:5], v[4:5], v[12:13]
	s_andn2_b64 exec, exec, s[2:3]
	s_cbranch_execnz .LBB92_88
; %bb.89:
	s_or_b64 exec, exec, s[2:3]
.LBB92_90:
	s_or_b64 exec, exec, s[8:9]
	v_mov_b32_e32 v6, 0
	ds_read_b128 v[10:13], v6 offset:272
	s_waitcnt lgkmcnt(0)
	v_mul_f64 v[6:7], v[4:5], v[12:13]
	v_mul_f64 v[102:103], v[2:3], v[12:13]
	v_fma_f64 v[100:101], v[2:3], v[10:11], -v[6:7]
	v_fmac_f64_e32 v[102:103], v[4:5], v[10:11]
	scratch_store_dwordx4 off, v[100:103], off offset:272
.LBB92_91:
	s_or_b64 exec, exec, s[4:5]
	scratch_load_dwordx4 v[2:5], v84, off
	v_cmp_lt_u32_e64 s[2:3], 16, v0
	s_waitcnt vmcnt(0)
	ds_write_b128 v9, v[2:5]
	s_waitcnt lgkmcnt(0)
	; wave barrier
	s_waitcnt lgkmcnt(0)
	s_and_saveexec_b64 s[4:5], s[2:3]
	s_cbranch_execz .LBB92_99
; %bb.92:
	ds_read_b128 v[2:5], v9
	s_andn2_b64 vcc, exec, s[6:7]
	s_cbranch_vccnz .LBB92_94
; %bb.93:
	scratch_load_dwordx4 v[10:13], v8, off
	s_waitcnt vmcnt(0) lgkmcnt(0)
	v_mul_f64 v[6:7], v[4:5], v[12:13]
	v_mul_f64 v[12:13], v[2:3], v[12:13]
	v_fmac_f64_e32 v[12:13], v[4:5], v[10:11]
	v_fma_f64 v[2:3], v[2:3], v[10:11], -v[6:7]
	v_mov_b64_e32 v[4:5], v[12:13]
.LBB92_94:
	s_and_saveexec_b64 s[8:9], s[0:1]
	s_cbranch_execz .LBB92_98
; %bb.95:
	v_mov_b32_e32 v7, 0
	v_subrev_u32_e32 v6, 17, v0
	v_add_u32_e32 v7, 0x118, v7
	s_movk_i32 s10, 0x2e0
	s_mov_b64 s[0:1], 0
.LBB92_96:                              ; =>This Inner Loop Header: Depth=1
	v_add_u32_e32 v10, -8, v7
	scratch_load_dwordx4 v[10:13], v10, off
	v_mov_b32_e32 v100, s10
	ds_read_b128 v[100:103], v100
	v_add_u32_e32 v6, -1, v6
	s_add_i32 s10, s10, 16
	v_cmp_eq_u32_e32 vcc, 0, v6
	v_add_u32_e32 v7, 16, v7
	s_or_b64 s[0:1], vcc, s[0:1]
	s_waitcnt vmcnt(0) lgkmcnt(0)
	v_mul_f64 v[104:105], v[102:103], v[12:13]
	v_mul_f64 v[12:13], v[100:101], v[12:13]
	v_fma_f64 v[100:101], v[100:101], v[10:11], -v[104:105]
	v_fmac_f64_e32 v[12:13], v[102:103], v[10:11]
	v_add_f64 v[2:3], v[2:3], v[100:101]
	v_add_f64 v[4:5], v[4:5], v[12:13]
	s_andn2_b64 exec, exec, s[0:1]
	s_cbranch_execnz .LBB92_96
; %bb.97:
	s_or_b64 exec, exec, s[0:1]
.LBB92_98:
	s_or_b64 exec, exec, s[8:9]
	v_mov_b32_e32 v6, 0
	ds_read_b128 v[10:13], v6 offset:256
	s_waitcnt lgkmcnt(0)
	v_mul_f64 v[6:7], v[4:5], v[12:13]
	v_mul_f64 v[102:103], v[2:3], v[12:13]
	v_fma_f64 v[100:101], v[2:3], v[10:11], -v[6:7]
	v_fmac_f64_e32 v[102:103], v[4:5], v[10:11]
	scratch_store_dwordx4 off, v[100:103], off offset:256
.LBB92_99:
	s_or_b64 exec, exec, s[4:5]
	scratch_load_dwordx4 v[2:5], v85, off
	v_cmp_lt_u32_e64 s[0:1], 15, v0
	s_waitcnt vmcnt(0)
	ds_write_b128 v9, v[2:5]
	s_waitcnt lgkmcnt(0)
	; wave barrier
	s_waitcnt lgkmcnt(0)
	s_and_saveexec_b64 s[4:5], s[0:1]
	s_cbranch_execz .LBB92_107
; %bb.100:
	ds_read_b128 v[2:5], v9
	s_andn2_b64 vcc, exec, s[6:7]
	s_cbranch_vccnz .LBB92_102
; %bb.101:
	scratch_load_dwordx4 v[10:13], v8, off
	s_waitcnt vmcnt(0) lgkmcnt(0)
	v_mul_f64 v[6:7], v[4:5], v[12:13]
	v_mul_f64 v[12:13], v[2:3], v[12:13]
	v_fmac_f64_e32 v[12:13], v[4:5], v[10:11]
	v_fma_f64 v[2:3], v[2:3], v[10:11], -v[6:7]
	v_mov_b64_e32 v[4:5], v[12:13]
.LBB92_102:
	s_and_saveexec_b64 s[8:9], s[2:3]
	s_cbranch_execz .LBB92_106
; %bb.103:
	v_mov_b32_e32 v7, 0
	v_add_u32_e32 v6, -16, v0
	v_add_u32_e32 v7, 0x108, v7
	s_movk_i32 s10, 0x2d0
	s_mov_b64 s[2:3], 0
.LBB92_104:                             ; =>This Inner Loop Header: Depth=1
	v_add_u32_e32 v10, -8, v7
	scratch_load_dwordx4 v[10:13], v10, off
	v_mov_b32_e32 v100, s10
	ds_read_b128 v[100:103], v100
	v_add_u32_e32 v6, -1, v6
	s_add_i32 s10, s10, 16
	v_cmp_eq_u32_e32 vcc, 0, v6
	v_add_u32_e32 v7, 16, v7
	s_or_b64 s[2:3], vcc, s[2:3]
	s_waitcnt vmcnt(0) lgkmcnt(0)
	v_mul_f64 v[104:105], v[102:103], v[12:13]
	v_mul_f64 v[12:13], v[100:101], v[12:13]
	v_fma_f64 v[100:101], v[100:101], v[10:11], -v[104:105]
	v_fmac_f64_e32 v[12:13], v[102:103], v[10:11]
	v_add_f64 v[2:3], v[2:3], v[100:101]
	v_add_f64 v[4:5], v[4:5], v[12:13]
	s_andn2_b64 exec, exec, s[2:3]
	s_cbranch_execnz .LBB92_104
; %bb.105:
	s_or_b64 exec, exec, s[2:3]
.LBB92_106:
	s_or_b64 exec, exec, s[8:9]
	v_mov_b32_e32 v6, 0
	ds_read_b128 v[10:13], v6 offset:240
	s_waitcnt lgkmcnt(0)
	v_mul_f64 v[6:7], v[4:5], v[12:13]
	v_mul_f64 v[102:103], v[2:3], v[12:13]
	v_fma_f64 v[100:101], v[2:3], v[10:11], -v[6:7]
	v_fmac_f64_e32 v[102:103], v[4:5], v[10:11]
	scratch_store_dwordx4 off, v[100:103], off offset:240
.LBB92_107:
	s_or_b64 exec, exec, s[4:5]
	scratch_load_dwordx4 v[2:5], v86, off
	v_cmp_lt_u32_e64 s[2:3], 14, v0
	s_waitcnt vmcnt(0)
	ds_write_b128 v9, v[2:5]
	s_waitcnt lgkmcnt(0)
	; wave barrier
	s_waitcnt lgkmcnt(0)
	s_and_saveexec_b64 s[4:5], s[2:3]
	s_cbranch_execz .LBB92_115
; %bb.108:
	ds_read_b128 v[2:5], v9
	s_andn2_b64 vcc, exec, s[6:7]
	s_cbranch_vccnz .LBB92_110
; %bb.109:
	scratch_load_dwordx4 v[10:13], v8, off
	s_waitcnt vmcnt(0) lgkmcnt(0)
	v_mul_f64 v[6:7], v[4:5], v[12:13]
	v_mul_f64 v[12:13], v[2:3], v[12:13]
	v_fmac_f64_e32 v[12:13], v[4:5], v[10:11]
	v_fma_f64 v[2:3], v[2:3], v[10:11], -v[6:7]
	v_mov_b64_e32 v[4:5], v[12:13]
.LBB92_110:
	s_and_saveexec_b64 s[8:9], s[0:1]
	s_cbranch_execz .LBB92_114
; %bb.111:
	v_mov_b32_e32 v7, 0
	v_add_u32_e32 v6, -15, v0
	v_add_u32_e32 v7, 0xf8, v7
	s_movk_i32 s10, 0x2c0
	s_mov_b64 s[0:1], 0
.LBB92_112:                             ; =>This Inner Loop Header: Depth=1
	v_add_u32_e32 v10, -8, v7
	scratch_load_dwordx4 v[10:13], v10, off
	v_mov_b32_e32 v100, s10
	ds_read_b128 v[100:103], v100
	v_add_u32_e32 v6, -1, v6
	s_add_i32 s10, s10, 16
	v_cmp_eq_u32_e32 vcc, 0, v6
	v_add_u32_e32 v7, 16, v7
	s_or_b64 s[0:1], vcc, s[0:1]
	s_waitcnt vmcnt(0) lgkmcnt(0)
	v_mul_f64 v[104:105], v[102:103], v[12:13]
	v_mul_f64 v[12:13], v[100:101], v[12:13]
	v_fma_f64 v[100:101], v[100:101], v[10:11], -v[104:105]
	v_fmac_f64_e32 v[12:13], v[102:103], v[10:11]
	v_add_f64 v[2:3], v[2:3], v[100:101]
	v_add_f64 v[4:5], v[4:5], v[12:13]
	s_andn2_b64 exec, exec, s[0:1]
	s_cbranch_execnz .LBB92_112
; %bb.113:
	s_or_b64 exec, exec, s[0:1]
.LBB92_114:
	s_or_b64 exec, exec, s[8:9]
	v_mov_b32_e32 v6, 0
	ds_read_b128 v[10:13], v6 offset:224
	s_waitcnt lgkmcnt(0)
	v_mul_f64 v[6:7], v[4:5], v[12:13]
	v_mul_f64 v[102:103], v[2:3], v[12:13]
	v_fma_f64 v[100:101], v[2:3], v[10:11], -v[6:7]
	v_fmac_f64_e32 v[102:103], v[4:5], v[10:11]
	scratch_store_dwordx4 off, v[100:103], off offset:224
.LBB92_115:
	;; [unrolled: 63-line block ×15, first 2 shown]
	s_or_b64 exec, exec, s[4:5]
	scratch_load_dwordx4 v[2:5], off, off
	v_cmp_ne_u32_e32 vcc, 0, v0
	s_mov_b64 s[2:3], 0
	s_mov_b64 s[4:5], 0
                                        ; implicit-def: $vgpr6_vgpr7
                                        ; implicit-def: $vgpr10
	s_waitcnt vmcnt(0)
	ds_write_b128 v9, v[2:5]
	s_waitcnt lgkmcnt(0)
	; wave barrier
	s_waitcnt lgkmcnt(0)
	s_and_saveexec_b64 s[8:9], vcc
	s_cbranch_execz .LBB92_227
; %bb.220:
	ds_read_b128 v[2:5], v9
	s_andn2_b64 vcc, exec, s[6:7]
	s_cbranch_vccnz .LBB92_222
; %bb.221:
	scratch_load_dwordx4 v[10:13], v8, off
	s_waitcnt vmcnt(0) lgkmcnt(0)
	v_mul_f64 v[6:7], v[4:5], v[12:13]
	v_mul_f64 v[12:13], v[2:3], v[12:13]
	v_fmac_f64_e32 v[12:13], v[4:5], v[10:11]
	v_fma_f64 v[2:3], v[2:3], v[10:11], -v[6:7]
	v_mov_b64_e32 v[4:5], v[12:13]
.LBB92_222:
	s_and_saveexec_b64 s[4:5], s[0:1]
	s_cbranch_execz .LBB92_226
; %bb.223:
	v_mov_b32_e32 v7, 0
	v_add_u32_e32 v6, -1, v0
	v_add_u32_e32 v7, 24, v7
	s_movk_i32 s10, 0x1e0
	s_mov_b64 s[0:1], 0
.LBB92_224:                             ; =>This Inner Loop Header: Depth=1
	v_add_u32_e32 v10, -8, v7
	scratch_load_dwordx4 v[10:13], v10, off
	v_mov_b32_e32 v100, s10
	ds_read_b128 v[100:103], v100
	v_add_u32_e32 v6, -1, v6
	s_add_i32 s10, s10, 16
	v_cmp_eq_u32_e32 vcc, 0, v6
	v_add_u32_e32 v7, 16, v7
	s_or_b64 s[0:1], vcc, s[0:1]
	s_waitcnt vmcnt(0) lgkmcnt(0)
	v_mul_f64 v[104:105], v[102:103], v[12:13]
	v_mul_f64 v[12:13], v[100:101], v[12:13]
	v_fma_f64 v[100:101], v[100:101], v[10:11], -v[104:105]
	v_fmac_f64_e32 v[12:13], v[102:103], v[10:11]
	v_add_f64 v[2:3], v[2:3], v[100:101]
	v_add_f64 v[4:5], v[4:5], v[12:13]
	s_andn2_b64 exec, exec, s[0:1]
	s_cbranch_execnz .LBB92_224
; %bb.225:
	s_or_b64 exec, exec, s[0:1]
.LBB92_226:
	s_or_b64 exec, exec, s[4:5]
	v_mov_b32_e32 v6, 0
	ds_read_b128 v[100:103], v6
	v_mov_b32_e32 v6, 0
	v_or_b32_e32 v10, 8, v6
	s_mov_b64 s[4:5], exec
	s_waitcnt lgkmcnt(0)
	v_mul_f64 v[12:13], v[4:5], v[102:103]
	v_mul_f64 v[6:7], v[2:3], v[102:103]
	v_fma_f64 v[2:3], v[2:3], v[100:101], -v[12:13]
	v_fmac_f64_e32 v[6:7], v[4:5], v[100:101]
	scratch_store_dwordx2 off, v[2:3], off
.LBB92_227:
	s_or_b64 exec, exec, s[8:9]
	s_and_b64 vcc, exec, s[2:3]
	s_cbranch_vccnz .LBB92_229
	s_branch .LBB92_448
.LBB92_228:
	s_mov_b64 s[4:5], 0
                                        ; implicit-def: $vgpr6_vgpr7
                                        ; implicit-def: $vgpr10
	s_cbranch_execz .LBB92_448
.LBB92_229:
	scratch_load_dwordx4 v[2:5], v94, off
	v_cndmask_b32_e64 v6, 0, 1, s[6:7]
	v_cmp_eq_u32_e64 s[2:3], 0, v0
	v_cmp_ne_u32_e64 s[0:1], 1, v6
	s_waitcnt vmcnt(0)
	ds_write_b128 v9, v[2:5]
	s_waitcnt lgkmcnt(0)
	; wave barrier
	s_waitcnt lgkmcnt(0)
	s_and_saveexec_b64 s[6:7], s[2:3]
	s_cbranch_execz .LBB92_233
; %bb.230:
	ds_read_b128 v[2:5], v9
	s_and_b64 vcc, exec, s[0:1]
	s_cbranch_vccnz .LBB92_232
; %bb.231:
	scratch_load_dwordx4 v[10:13], v8, off
	s_waitcnt vmcnt(0) lgkmcnt(0)
	v_mul_f64 v[6:7], v[4:5], v[12:13]
	v_mul_f64 v[12:13], v[2:3], v[12:13]
	v_fmac_f64_e32 v[12:13], v[4:5], v[10:11]
	v_fma_f64 v[2:3], v[2:3], v[10:11], -v[6:7]
	v_mov_b64_e32 v[4:5], v[12:13]
.LBB92_232:
	v_mov_b32_e32 v6, 0
	ds_read_b128 v[10:13], v6 offset:16
	s_waitcnt lgkmcnt(0)
	v_mul_f64 v[6:7], v[4:5], v[12:13]
	v_mul_f64 v[102:103], v[2:3], v[12:13]
	v_fma_f64 v[100:101], v[2:3], v[10:11], -v[6:7]
	v_fmac_f64_e32 v[102:103], v[4:5], v[10:11]
	scratch_store_dwordx4 off, v[100:103], off offset:16
.LBB92_233:
	s_or_b64 exec, exec, s[6:7]
	scratch_load_dwordx4 v[2:5], v91, off
	v_cmp_gt_u32_e32 vcc, 2, v0
	s_waitcnt vmcnt(0)
	ds_write_b128 v9, v[2:5]
	s_waitcnt lgkmcnt(0)
	; wave barrier
	s_waitcnt lgkmcnt(0)
	s_and_saveexec_b64 s[6:7], vcc
	s_cbranch_execz .LBB92_239
; %bb.234:
	ds_read_b128 v[2:5], v9
	s_and_b64 vcc, exec, s[0:1]
	s_cbranch_vccnz .LBB92_236
; %bb.235:
	scratch_load_dwordx4 v[10:13], v8, off
	s_waitcnt vmcnt(0) lgkmcnt(0)
	v_mul_f64 v[6:7], v[4:5], v[12:13]
	v_mul_f64 v[12:13], v[2:3], v[12:13]
	v_fmac_f64_e32 v[12:13], v[4:5], v[10:11]
	v_fma_f64 v[2:3], v[2:3], v[10:11], -v[6:7]
	v_mov_b64_e32 v[4:5], v[12:13]
.LBB92_236:
	s_and_saveexec_b64 s[8:9], s[2:3]
	s_cbranch_execz .LBB92_238
; %bb.237:
	scratch_load_dwordx4 v[10:13], v8, off offset:16
	ds_read_b128 v[100:103], v9 offset:16
	s_waitcnt vmcnt(0) lgkmcnt(0)
	v_mul_f64 v[6:7], v[102:103], v[12:13]
	v_mul_f64 v[12:13], v[100:101], v[12:13]
	v_fma_f64 v[6:7], v[100:101], v[10:11], -v[6:7]
	v_fmac_f64_e32 v[12:13], v[102:103], v[10:11]
	v_add_f64 v[2:3], v[2:3], v[6:7]
	v_add_f64 v[4:5], v[4:5], v[12:13]
.LBB92_238:
	s_or_b64 exec, exec, s[8:9]
	v_mov_b32_e32 v6, 0
	ds_read_b128 v[10:13], v6 offset:32
	s_waitcnt lgkmcnt(0)
	v_mul_f64 v[6:7], v[4:5], v[12:13]
	v_mul_f64 v[102:103], v[2:3], v[12:13]
	v_fma_f64 v[100:101], v[2:3], v[10:11], -v[6:7]
	v_fmac_f64_e32 v[102:103], v[4:5], v[10:11]
	scratch_store_dwordx4 off, v[100:103], off offset:32
.LBB92_239:
	s_or_b64 exec, exec, s[6:7]
	scratch_load_dwordx4 v[2:5], v93, off
	v_cmp_gt_u32_e32 vcc, 3, v0
	s_waitcnt vmcnt(0)
	ds_write_b128 v9, v[2:5]
	s_waitcnt lgkmcnt(0)
	; wave barrier
	s_waitcnt lgkmcnt(0)
	s_and_saveexec_b64 s[6:7], vcc
	s_cbranch_execz .LBB92_247
; %bb.240:
	ds_read_b128 v[2:5], v9
	s_and_b64 vcc, exec, s[0:1]
	s_cbranch_vccnz .LBB92_242
; %bb.241:
	scratch_load_dwordx4 v[10:13], v8, off
	s_waitcnt vmcnt(0) lgkmcnt(0)
	v_mul_f64 v[6:7], v[4:5], v[12:13]
	v_mul_f64 v[12:13], v[2:3], v[12:13]
	v_fmac_f64_e32 v[12:13], v[4:5], v[10:11]
	v_fma_f64 v[2:3], v[2:3], v[10:11], -v[6:7]
	v_mov_b64_e32 v[4:5], v[12:13]
.LBB92_242:
	v_cmp_ne_u32_e32 vcc, 2, v0
	s_and_saveexec_b64 s[8:9], vcc
	s_cbranch_execz .LBB92_246
; %bb.243:
	scratch_load_dwordx4 v[10:13], v8, off offset:16
	ds_read_b128 v[100:103], v9 offset:16
	s_waitcnt vmcnt(0) lgkmcnt(0)
	v_mul_f64 v[6:7], v[102:103], v[12:13]
	v_mul_f64 v[12:13], v[100:101], v[12:13]
	v_fma_f64 v[6:7], v[100:101], v[10:11], -v[6:7]
	v_fmac_f64_e32 v[12:13], v[102:103], v[10:11]
	v_add_f64 v[2:3], v[2:3], v[6:7]
	v_add_f64 v[4:5], v[4:5], v[12:13]
	s_and_saveexec_b64 s[10:11], s[2:3]
	s_cbranch_execz .LBB92_245
; %bb.244:
	scratch_load_dwordx4 v[10:13], off, off offset:32
	v_mov_b32_e32 v6, 0
	ds_read_b128 v[100:103], v6 offset:496
	s_waitcnt vmcnt(0) lgkmcnt(0)
	v_mul_f64 v[6:7], v[100:101], v[12:13]
	v_mul_f64 v[12:13], v[102:103], v[12:13]
	v_fmac_f64_e32 v[6:7], v[102:103], v[10:11]
	v_fma_f64 v[10:11], v[100:101], v[10:11], -v[12:13]
	v_add_f64 v[4:5], v[4:5], v[6:7]
	v_add_f64 v[2:3], v[2:3], v[10:11]
.LBB92_245:
	s_or_b64 exec, exec, s[10:11]
.LBB92_246:
	s_or_b64 exec, exec, s[8:9]
	v_mov_b32_e32 v6, 0
	ds_read_b128 v[10:13], v6 offset:48
	s_waitcnt lgkmcnt(0)
	v_mul_f64 v[6:7], v[4:5], v[12:13]
	v_mul_f64 v[102:103], v[2:3], v[12:13]
	v_fma_f64 v[100:101], v[2:3], v[10:11], -v[6:7]
	v_fmac_f64_e32 v[102:103], v[4:5], v[10:11]
	scratch_store_dwordx4 off, v[100:103], off offset:48
.LBB92_247:
	s_or_b64 exec, exec, s[6:7]
	scratch_load_dwordx4 v[2:5], v90, off
	v_cmp_gt_u32_e32 vcc, 4, v0
	s_waitcnt vmcnt(0)
	ds_write_b128 v9, v[2:5]
	s_waitcnt lgkmcnt(0)
	; wave barrier
	s_waitcnt lgkmcnt(0)
	s_and_saveexec_b64 s[2:3], vcc
	s_cbranch_execz .LBB92_255
; %bb.248:
	ds_read_b128 v[2:5], v9
	s_and_b64 vcc, exec, s[0:1]
	s_cbranch_vccnz .LBB92_250
; %bb.249:
	scratch_load_dwordx4 v[10:13], v8, off
	s_waitcnt vmcnt(0) lgkmcnt(0)
	v_mul_f64 v[6:7], v[4:5], v[12:13]
	v_mul_f64 v[12:13], v[2:3], v[12:13]
	v_fmac_f64_e32 v[12:13], v[4:5], v[10:11]
	v_fma_f64 v[2:3], v[2:3], v[10:11], -v[6:7]
	v_mov_b64_e32 v[4:5], v[12:13]
.LBB92_250:
	v_cmp_ne_u32_e32 vcc, 3, v0
	s_and_saveexec_b64 s[6:7], vcc
	s_cbranch_execz .LBB92_254
; %bb.251:
	v_mov_b32_e32 v7, 0
	v_add_u32_e32 v6, 0x1e0, v60
	v_add3_u32 v7, v60, v7, 24
	s_mov_b64 s[8:9], 0
	v_mov_b32_e32 v10, v0
.LBB92_252:                             ; =>This Inner Loop Header: Depth=1
	v_add_u32_e32 v11, -8, v7
	scratch_load_dwordx4 v[100:103], v11, off
	ds_read_b128 v[104:107], v6
	v_add_u32_e32 v10, 1, v10
	v_cmp_lt_u32_e32 vcc, 2, v10
	v_add_u32_e32 v6, 16, v6
	v_add_u32_e32 v7, 16, v7
	s_or_b64 s[8:9], vcc, s[8:9]
	s_waitcnt vmcnt(0) lgkmcnt(0)
	v_mul_f64 v[12:13], v[106:107], v[102:103]
	v_mul_f64 v[102:103], v[104:105], v[102:103]
	v_fma_f64 v[12:13], v[104:105], v[100:101], -v[12:13]
	v_fmac_f64_e32 v[102:103], v[106:107], v[100:101]
	v_add_f64 v[2:3], v[2:3], v[12:13]
	v_add_f64 v[4:5], v[4:5], v[102:103]
	s_andn2_b64 exec, exec, s[8:9]
	s_cbranch_execnz .LBB92_252
; %bb.253:
	s_or_b64 exec, exec, s[8:9]
.LBB92_254:
	s_or_b64 exec, exec, s[6:7]
	v_mov_b32_e32 v6, 0
	ds_read_b128 v[10:13], v6 offset:64
	s_waitcnt lgkmcnt(0)
	v_mul_f64 v[6:7], v[4:5], v[12:13]
	v_mul_f64 v[102:103], v[2:3], v[12:13]
	v_fma_f64 v[100:101], v[2:3], v[10:11], -v[6:7]
	v_fmac_f64_e32 v[102:103], v[4:5], v[10:11]
	scratch_store_dwordx4 off, v[100:103], off offset:64
.LBB92_255:
	s_or_b64 exec, exec, s[2:3]
	scratch_load_dwordx4 v[2:5], v95, off
	v_cmp_gt_u32_e32 vcc, 5, v0
	s_waitcnt vmcnt(0)
	ds_write_b128 v9, v[2:5]
	s_waitcnt lgkmcnt(0)
	; wave barrier
	s_waitcnt lgkmcnt(0)
	s_and_saveexec_b64 s[2:3], vcc
	s_cbranch_execz .LBB92_263
; %bb.256:
	ds_read_b128 v[2:5], v9
	s_and_b64 vcc, exec, s[0:1]
	s_cbranch_vccnz .LBB92_258
; %bb.257:
	scratch_load_dwordx4 v[10:13], v8, off
	s_waitcnt vmcnt(0) lgkmcnt(0)
	v_mul_f64 v[6:7], v[4:5], v[12:13]
	v_mul_f64 v[12:13], v[2:3], v[12:13]
	v_fmac_f64_e32 v[12:13], v[4:5], v[10:11]
	v_fma_f64 v[2:3], v[2:3], v[10:11], -v[6:7]
	v_mov_b64_e32 v[4:5], v[12:13]
.LBB92_258:
	v_cmp_ne_u32_e32 vcc, 4, v0
	s_and_saveexec_b64 s[6:7], vcc
	s_cbranch_execz .LBB92_262
; %bb.259:
	v_mov_b32_e32 v7, 0
	v_add_u32_e32 v6, 0x1e0, v60
	v_add3_u32 v7, v60, v7, 24
	s_mov_b64 s[8:9], 0
	v_mov_b32_e32 v10, v0
.LBB92_260:                             ; =>This Inner Loop Header: Depth=1
	v_add_u32_e32 v11, -8, v7
	scratch_load_dwordx4 v[100:103], v11, off
	ds_read_b128 v[104:107], v6
	v_add_u32_e32 v10, 1, v10
	v_cmp_lt_u32_e32 vcc, 3, v10
	v_add_u32_e32 v6, 16, v6
	v_add_u32_e32 v7, 16, v7
	s_or_b64 s[8:9], vcc, s[8:9]
	s_waitcnt vmcnt(0) lgkmcnt(0)
	v_mul_f64 v[12:13], v[106:107], v[102:103]
	v_mul_f64 v[102:103], v[104:105], v[102:103]
	v_fma_f64 v[12:13], v[104:105], v[100:101], -v[12:13]
	v_fmac_f64_e32 v[102:103], v[106:107], v[100:101]
	v_add_f64 v[2:3], v[2:3], v[12:13]
	v_add_f64 v[4:5], v[4:5], v[102:103]
	s_andn2_b64 exec, exec, s[8:9]
	s_cbranch_execnz .LBB92_260
; %bb.261:
	s_or_b64 exec, exec, s[8:9]
.LBB92_262:
	s_or_b64 exec, exec, s[6:7]
	v_mov_b32_e32 v6, 0
	ds_read_b128 v[10:13], v6 offset:80
	s_waitcnt lgkmcnt(0)
	v_mul_f64 v[6:7], v[4:5], v[12:13]
	v_mul_f64 v[102:103], v[2:3], v[12:13]
	v_fma_f64 v[100:101], v[2:3], v[10:11], -v[6:7]
	v_fmac_f64_e32 v[102:103], v[4:5], v[10:11]
	scratch_store_dwordx4 off, v[100:103], off offset:80
.LBB92_263:
	;; [unrolled: 63-line block ×23, first 2 shown]
	s_or_b64 exec, exec, s[2:3]
	scratch_load_dwordx4 v[2:5], v61, off
	v_cmp_gt_u32_e64 s[2:3], 27, v0
	s_waitcnt vmcnt(0)
	ds_write_b128 v9, v[2:5]
	s_waitcnt lgkmcnt(0)
	; wave barrier
	s_waitcnt lgkmcnt(0)
	s_and_saveexec_b64 s[6:7], s[2:3]
	s_cbranch_execz .LBB92_439
; %bb.432:
	ds_read_b128 v[2:5], v9
	s_and_b64 vcc, exec, s[0:1]
	s_cbranch_vccnz .LBB92_434
; %bb.433:
	scratch_load_dwordx4 v[10:13], v8, off
	s_waitcnt vmcnt(0) lgkmcnt(0)
	v_mul_f64 v[6:7], v[4:5], v[12:13]
	v_mul_f64 v[12:13], v[2:3], v[12:13]
	v_fmac_f64_e32 v[12:13], v[4:5], v[10:11]
	v_fma_f64 v[2:3], v[2:3], v[10:11], -v[6:7]
	v_mov_b64_e32 v[4:5], v[12:13]
.LBB92_434:
	v_cmp_ne_u32_e32 vcc, 26, v0
	s_and_saveexec_b64 s[8:9], vcc
	s_cbranch_execz .LBB92_438
; %bb.435:
	v_mov_b32_e32 v7, 0
	v_add_u32_e32 v6, 0x1e0, v60
	v_add3_u32 v7, v60, v7, 24
	s_mov_b64 s[10:11], 0
	v_mov_b32_e32 v10, v0
.LBB92_436:                             ; =>This Inner Loop Header: Depth=1
	v_add_u32_e32 v11, -8, v7
	scratch_load_dwordx4 v[100:103], v11, off
	ds_read_b128 v[104:107], v6
	v_add_u32_e32 v10, 1, v10
	v_cmp_lt_u32_e32 vcc, 25, v10
	v_add_u32_e32 v6, 16, v6
	v_add_u32_e32 v7, 16, v7
	s_or_b64 s[10:11], vcc, s[10:11]
	s_waitcnt vmcnt(0) lgkmcnt(0)
	v_mul_f64 v[12:13], v[106:107], v[102:103]
	v_mul_f64 v[102:103], v[104:105], v[102:103]
	v_fma_f64 v[12:13], v[104:105], v[100:101], -v[12:13]
	v_fmac_f64_e32 v[102:103], v[106:107], v[100:101]
	v_add_f64 v[2:3], v[2:3], v[12:13]
	v_add_f64 v[4:5], v[4:5], v[102:103]
	s_andn2_b64 exec, exec, s[10:11]
	s_cbranch_execnz .LBB92_436
; %bb.437:
	s_or_b64 exec, exec, s[10:11]
.LBB92_438:
	s_or_b64 exec, exec, s[8:9]
	v_mov_b32_e32 v6, 0
	ds_read_b128 v[10:13], v6 offset:432
	s_waitcnt lgkmcnt(0)
	v_mul_f64 v[6:7], v[4:5], v[12:13]
	v_mul_f64 v[102:103], v[2:3], v[12:13]
	v_fma_f64 v[100:101], v[2:3], v[10:11], -v[6:7]
	v_fmac_f64_e32 v[102:103], v[4:5], v[10:11]
	scratch_store_dwordx4 off, v[100:103], off offset:432
.LBB92_439:
	s_or_b64 exec, exec, s[6:7]
	scratch_load_dwordx4 v[2:5], v1, off
	v_cmp_ne_u32_e32 vcc, 28, v0
                                        ; implicit-def: $vgpr6_vgpr7
                                        ; implicit-def: $vgpr10
	s_waitcnt vmcnt(0)
	ds_write_b128 v9, v[2:5]
	s_waitcnt lgkmcnt(0)
	; wave barrier
	s_waitcnt lgkmcnt(0)
	s_and_saveexec_b64 s[6:7], vcc
	s_cbranch_execz .LBB92_447
; %bb.440:
	ds_read_b128 v[2:5], v9
	s_and_b64 vcc, exec, s[0:1]
	s_cbranch_vccnz .LBB92_442
; %bb.441:
	scratch_load_dwordx4 v[6:9], v8, off
	s_waitcnt vmcnt(0) lgkmcnt(0)
	v_mul_f64 v[10:11], v[4:5], v[8:9]
	v_mul_f64 v[8:9], v[2:3], v[8:9]
	v_fmac_f64_e32 v[8:9], v[4:5], v[6:7]
	v_fma_f64 v[2:3], v[2:3], v[6:7], -v[10:11]
	v_mov_b64_e32 v[4:5], v[8:9]
.LBB92_442:
	s_and_saveexec_b64 s[0:1], s[2:3]
	s_cbranch_execz .LBB92_446
; %bb.443:
	v_mov_b32_e32 v7, 0
	v_add_u32_e32 v6, 0x1e0, v60
	v_add3_u32 v7, v60, v7, 24
	s_mov_b64 s[2:3], 0
.LBB92_444:                             ; =>This Inner Loop Header: Depth=1
	v_add_u32_e32 v8, -8, v7
	scratch_load_dwordx4 v[8:11], v8, off
	ds_read_b128 v[100:103], v6
	v_add_u32_e32 v0, 1, v0
	v_cmp_lt_u32_e32 vcc, 26, v0
	v_add_u32_e32 v6, 16, v6
	v_add_u32_e32 v7, 16, v7
	s_or_b64 s[2:3], vcc, s[2:3]
	s_waitcnt vmcnt(0) lgkmcnt(0)
	v_mul_f64 v[12:13], v[102:103], v[10:11]
	v_mul_f64 v[10:11], v[100:101], v[10:11]
	v_fma_f64 v[12:13], v[100:101], v[8:9], -v[12:13]
	v_fmac_f64_e32 v[10:11], v[102:103], v[8:9]
	v_add_f64 v[2:3], v[2:3], v[12:13]
	v_add_f64 v[4:5], v[4:5], v[10:11]
	s_andn2_b64 exec, exec, s[2:3]
	s_cbranch_execnz .LBB92_444
; %bb.445:
	s_or_b64 exec, exec, s[2:3]
.LBB92_446:
	s_or_b64 exec, exec, s[0:1]
	v_mov_b32_e32 v0, 0
	ds_read_b128 v[100:103], v0 offset:448
	v_mov_b32_e32 v0, 0
	v_add_u32_e32 v10, 0x1c8, v0
	s_or_b64 s[4:5], s[4:5], exec
	s_waitcnt lgkmcnt(0)
	v_mul_f64 v[8:9], v[4:5], v[102:103]
	v_mul_f64 v[6:7], v[2:3], v[102:103]
	v_fma_f64 v[2:3], v[2:3], v[100:101], -v[8:9]
	v_fmac_f64_e32 v[6:7], v[4:5], v[100:101]
	scratch_store_dwordx2 off, v[2:3], off offset:448
.LBB92_447:
	s_or_b64 exec, exec, s[6:7]
.LBB92_448:
	s_and_saveexec_b64 s[0:1], s[4:5]
	s_cbranch_execz .LBB92_450
; %bb.449:
	scratch_store_dwordx2 v10, v[6:7], off
.LBB92_450:
	s_or_b64 exec, exec, s[0:1]
	scratch_load_dwordx4 v[2:5], off, off
	scratch_load_dwordx4 v[6:9], v94, off
	scratch_load_dwordx4 v[10:13], v91, off
	;; [unrolled: 1-line block ×9, first 2 shown]
                                        ; kill: killed $vgpr99
                                        ; kill: killed $vgpr94
                                        ; kill: killed $vgpr98
                                        ; kill: killed $vgpr93
                                        ; kill: killed $vgpr95
                                        ; kill: killed $vgpr97
                                        ; kill: killed $vgpr91
                                        ; kill: killed $vgpr96
                                        ; kill: killed $vgpr90
	s_nop 0
	scratch_load_dwordx4 v[90:93], v92, off
	s_waitcnt vmcnt(10)
	global_store_dwordx4 v[16:17], v[2:5], off
	scratch_load_dwordx4 v[2:5], v88, off
	s_nop 0
	scratch_load_dwordx4 v[94:97], v89, off
	s_waitcnt vmcnt(12)
	global_store_dwordx4 v[14:15], v[6:9], off
	scratch_load_dwordx4 v[6:9], v87, off
	;; [unrolled: 5-line block ×9, first 2 shown]
	s_nop 0
	scratch_load_dwordx4 v[118:121], v1, off
	s_waitcnt vmcnt(28)
	global_store_dwordx4 v[32:33], v[124:127], off
	s_waitcnt vmcnt(28)
	global_store_dwordx4 v[34:35], v[90:93], off
	;; [unrolled: 2-line block ×20, first 2 shown]
.LBB92_451:
	s_endpgm
	.section	.rodata,"a",@progbits
	.p2align	6, 0x0
	.amdhsa_kernel _ZN9rocsolver6v33100L18trti2_kernel_smallILi29E19rocblas_complex_numIdEPKPS3_EEv13rocblas_fill_17rocblas_diagonal_T1_iil
		.amdhsa_group_segment_fixed_size 928
		.amdhsa_private_segment_fixed_size 480
		.amdhsa_kernarg_size 32
		.amdhsa_user_sgpr_count 2
		.amdhsa_user_sgpr_dispatch_ptr 0
		.amdhsa_user_sgpr_queue_ptr 0
		.amdhsa_user_sgpr_kernarg_segment_ptr 1
		.amdhsa_user_sgpr_dispatch_id 0
		.amdhsa_user_sgpr_kernarg_preload_length 0
		.amdhsa_user_sgpr_kernarg_preload_offset 0
		.amdhsa_user_sgpr_private_segment_size 0
		.amdhsa_uses_dynamic_stack 0
		.amdhsa_enable_private_segment 1
		.amdhsa_system_sgpr_workgroup_id_x 1
		.amdhsa_system_sgpr_workgroup_id_y 0
		.amdhsa_system_sgpr_workgroup_id_z 0
		.amdhsa_system_sgpr_workgroup_info 0
		.amdhsa_system_vgpr_workitem_id 0
		.amdhsa_next_free_vgpr 128
		.amdhsa_next_free_sgpr 12
		.amdhsa_accum_offset 128
		.amdhsa_reserve_vcc 1
		.amdhsa_float_round_mode_32 0
		.amdhsa_float_round_mode_16_64 0
		.amdhsa_float_denorm_mode_32 3
		.amdhsa_float_denorm_mode_16_64 3
		.amdhsa_dx10_clamp 1
		.amdhsa_ieee_mode 1
		.amdhsa_fp16_overflow 0
		.amdhsa_tg_split 0
		.amdhsa_exception_fp_ieee_invalid_op 0
		.amdhsa_exception_fp_denorm_src 0
		.amdhsa_exception_fp_ieee_div_zero 0
		.amdhsa_exception_fp_ieee_overflow 0
		.amdhsa_exception_fp_ieee_underflow 0
		.amdhsa_exception_fp_ieee_inexact 0
		.amdhsa_exception_int_div_zero 0
	.end_amdhsa_kernel
	.section	.text._ZN9rocsolver6v33100L18trti2_kernel_smallILi29E19rocblas_complex_numIdEPKPS3_EEv13rocblas_fill_17rocblas_diagonal_T1_iil,"axG",@progbits,_ZN9rocsolver6v33100L18trti2_kernel_smallILi29E19rocblas_complex_numIdEPKPS3_EEv13rocblas_fill_17rocblas_diagonal_T1_iil,comdat
.Lfunc_end92:
	.size	_ZN9rocsolver6v33100L18trti2_kernel_smallILi29E19rocblas_complex_numIdEPKPS3_EEv13rocblas_fill_17rocblas_diagonal_T1_iil, .Lfunc_end92-_ZN9rocsolver6v33100L18trti2_kernel_smallILi29E19rocblas_complex_numIdEPKPS3_EEv13rocblas_fill_17rocblas_diagonal_T1_iil
                                        ; -- End function
	.section	.AMDGPU.csdata,"",@progbits
; Kernel info:
; codeLenInByte = 18996
; NumSgprs: 18
; NumVgprs: 128
; NumAgprs: 0
; TotalNumVgprs: 128
; ScratchSize: 480
; MemoryBound: 0
; FloatMode: 240
; IeeeMode: 1
; LDSByteSize: 928 bytes/workgroup (compile time only)
; SGPRBlocks: 2
; VGPRBlocks: 15
; NumSGPRsForWavesPerEU: 18
; NumVGPRsForWavesPerEU: 128
; AccumOffset: 128
; Occupancy: 4
; WaveLimiterHint : 1
; COMPUTE_PGM_RSRC2:SCRATCH_EN: 1
; COMPUTE_PGM_RSRC2:USER_SGPR: 2
; COMPUTE_PGM_RSRC2:TRAP_HANDLER: 0
; COMPUTE_PGM_RSRC2:TGID_X_EN: 1
; COMPUTE_PGM_RSRC2:TGID_Y_EN: 0
; COMPUTE_PGM_RSRC2:TGID_Z_EN: 0
; COMPUTE_PGM_RSRC2:TIDIG_COMP_CNT: 0
; COMPUTE_PGM_RSRC3_GFX90A:ACCUM_OFFSET: 31
; COMPUTE_PGM_RSRC3_GFX90A:TG_SPLIT: 0
	.section	.text._ZN9rocsolver6v33100L18trti2_kernel_smallILi30E19rocblas_complex_numIdEPKPS3_EEv13rocblas_fill_17rocblas_diagonal_T1_iil,"axG",@progbits,_ZN9rocsolver6v33100L18trti2_kernel_smallILi30E19rocblas_complex_numIdEPKPS3_EEv13rocblas_fill_17rocblas_diagonal_T1_iil,comdat
	.globl	_ZN9rocsolver6v33100L18trti2_kernel_smallILi30E19rocblas_complex_numIdEPKPS3_EEv13rocblas_fill_17rocblas_diagonal_T1_iil ; -- Begin function _ZN9rocsolver6v33100L18trti2_kernel_smallILi30E19rocblas_complex_numIdEPKPS3_EEv13rocblas_fill_17rocblas_diagonal_T1_iil
	.p2align	8
	.type	_ZN9rocsolver6v33100L18trti2_kernel_smallILi30E19rocblas_complex_numIdEPKPS3_EEv13rocblas_fill_17rocblas_diagonal_T1_iil,@function
_ZN9rocsolver6v33100L18trti2_kernel_smallILi30E19rocblas_complex_numIdEPKPS3_EEv13rocblas_fill_17rocblas_diagonal_T1_iil: ; @_ZN9rocsolver6v33100L18trti2_kernel_smallILi30E19rocblas_complex_numIdEPKPS3_EEv13rocblas_fill_17rocblas_diagonal_T1_iil
; %bb.0:
	v_cmp_gt_u32_e32 vcc, 30, v0
	s_and_saveexec_b64 s[4:5], vcc
	s_cbranch_execz .LBB93_467
; %bb.1:
	s_load_dwordx2 s[8:9], s[0:1], 0x10
	s_load_dwordx4 s[4:7], s[0:1], 0x0
	s_ashr_i32 s3, s2, 31
	s_lshl_b64 s[0:1], s[2:3], 3
	v_lshlrev_b32_e32 v14, 4, v0
	s_waitcnt lgkmcnt(0)
	s_ashr_i32 s3, s8, 31
	s_add_u32 s0, s6, s0
	s_addc_u32 s1, s7, s1
	s_load_dwordx2 s[0:1], s[0:1], 0x0
	s_mov_b32 s2, s8
	s_lshl_b64 s[2:3], s[2:3], 4
	v_mov_b32_e32 v15, 0
	v_mov_b32_e32 v1, 0
	s_waitcnt lgkmcnt(0)
	s_add_u32 s0, s0, s2
	s_addc_u32 s1, s1, s3
	global_load_dwordx4 v[2:5], v14, s[0:1]
	s_add_i32 s6, s9, s9
	v_add_u32_e32 v6, s6, v0
	v_add_u32_e32 v16, s9, v6
	;; [unrolled: 1-line block ×3, first 2 shown]
	v_ashrrev_i32_e32 v17, 31, v16
	v_add_u32_e32 v20, s9, v18
	v_lshl_add_u64 v[34:35], v[16:17], 4, s[0:1]
	v_ashrrev_i32_e32 v19, 31, v18
	v_add_u32_e32 v16, s9, v20
	v_lshl_add_u64 v[24:25], v[18:19], 4, s[0:1]
	v_add_u32_e32 v18, s9, v16
	v_ashrrev_i32_e32 v21, 31, v20
	v_ashrrev_i32_e32 v17, 31, v16
	v_add_u32_e32 v22, s9, v18
	v_lshl_add_u64 v[30:31], v[20:21], 4, s[0:1]
	v_lshl_add_u64 v[20:21], v[16:17], 4, s[0:1]
	v_add_u32_e32 v16, s9, v22
	v_add_u32_e32 v32, s9, v16
	;; [unrolled: 1-line block ×19, first 2 shown]
	v_ashrrev_i32_e32 v19, 31, v18
	v_ashrrev_i32_e32 v23, 31, v22
	;; [unrolled: 1-line block ×8, first 2 shown]
	v_add_u32_e32 v122, s9, v120
	s_mov_b32 s2, s9
	s_ashr_i32 s3, s9, 31
	v_lshl_add_u64 v[40:41], s[0:1], 0, v[14:15]
	v_lshl_add_u64 v[26:27], v[18:19], 4, s[0:1]
	;; [unrolled: 1-line block ×9, first 2 shown]
	v_add_u32_e32 v46, s9, v122
	v_ashrrev_i32_e32 v7, 31, v6
	v_lshl_add_u64 v[38:39], s[2:3], 4, v[40:41]
	v_ashrrev_i32_e32 v47, 31, v46
	v_lshl_add_u64 v[28:29], v[6:7], 4, s[0:1]
	global_load_dwordx4 v[6:9], v[38:39], off
	global_load_dwordx4 v[10:13], v[28:29], off
	;; [unrolled: 1-line block ×12, first 2 shown]
	v_lshl_add_u64 v[46:47], v[46:47], 4, s[0:1]
	global_load_dwordx4 v[92:95], v[46:47], off
	v_ashrrev_i32_e32 v49, 31, v48
	v_ashrrev_i32_e32 v101, 31, v100
	;; [unrolled: 1-line block ×7, first 2 shown]
	v_lshl_add_u64 v[48:49], v[48:49], 4, s[0:1]
	v_ashrrev_i32_e32 v51, 31, v50
	v_ashrrev_i32_e32 v103, 31, v102
	;; [unrolled: 1-line block ×3, first 2 shown]
	s_waitcnt vmcnt(13)
	scratch_store_dwordx4 off, v[2:5], off
	global_load_dwordx4 v[2:5], v[42:43], off
	s_nop 0
	global_load_dwordx4 v[96:99], v[44:45], off
	v_ashrrev_i32_e32 v111, 31, v110
	v_ashrrev_i32_e32 v115, 31, v114
	;; [unrolled: 1-line block ×4, first 2 shown]
	v_lshl_add_u64 v[50:51], v[50:51], 4, s[0:1]
	s_cmpk_lg_i32 s5, 0x84
	s_cselect_b64 s[6:7], -1, 0
	s_cmpk_eq_i32 s5, 0x84
	s_waitcnt vmcnt(15)
	scratch_store_dwordx4 off, v[6:9], off offset:16
	s_waitcnt vmcnt(15)
	scratch_store_dwordx4 off, v[10:13], off offset:32
	;; [unrolled: 2-line block ×14, first 2 shown]
	v_lshl_add_u64 v[52:53], v[100:101], 4, s[0:1]
	v_lshl_add_u64 v[56:57], v[104:105], 4, s[0:1]
	;; [unrolled: 1-line block ×6, first 2 shown]
	global_load_dwordx4 v[2:5], v[48:49], off
	global_load_dwordx4 v[6:9], v[50:51], off
	v_lshl_add_u64 v[54:55], v[102:103], 4, s[0:1]
	global_load_dwordx4 v[10:13], v[52:53], off
	global_load_dwordx4 v[76:79], v[54:55], off
	v_lshl_add_u64 v[58:59], v[106:107], 4, s[0:1]
	;; [unrolled: 3-line block ×6, first 2 shown]
	global_load_dwordx4 v[116:119], v[72:73], off
	global_load_dwordx4 v[120:123], v[74:75], off
	s_waitcnt vmcnt(13)
	scratch_store_dwordx4 off, v[2:5], off offset:240
	s_waitcnt vmcnt(13)
	scratch_store_dwordx4 off, v[6:9], off offset:256
	;; [unrolled: 2-line block ×14, first 2 shown]
	scratch_store_dwordx4 off, v[92:95], off offset:464
	s_cbranch_scc1 .LBB93_7
; %bb.2:
	scratch_load_dwordx4 v[2:5], v14, off
                                        ; implicit-def: $vgpr10_vgpr11
	s_waitcnt vmcnt(0)
	v_xor_b32_e32 v7, 0x80000000, v3
	v_cmp_gt_f64_e32 vcc, 0, v[2:3]
	v_xor_b32_e32 v8, 0x80000000, v5
	v_mov_b32_e32 v6, v2
	v_cndmask_b32_e32 v7, v3, v7, vcc
	v_cmp_gt_f64_e32 vcc, 0, v[4:5]
	s_nop 1
	v_cndmask_b32_e32 v9, v5, v8, vcc
	v_mov_b32_e32 v8, v4
	v_cmp_ngt_f64_e32 vcc, v[6:7], v[8:9]
                                        ; implicit-def: $vgpr6_vgpr7
	s_and_saveexec_b64 s[0:1], vcc
	s_xor_b64 s[0:1], exec, s[0:1]
	s_cbranch_execz .LBB93_4
; %bb.3:
	v_div_scale_f64 v[6:7], s[2:3], v[4:5], v[4:5], v[2:3]
	v_rcp_f64_e32 v[8:9], v[6:7]
	v_div_scale_f64 v[10:11], vcc, v[2:3], v[4:5], v[2:3]
	v_fma_f64 v[12:13], -v[6:7], v[8:9], 1.0
	v_fmac_f64_e32 v[8:9], v[8:9], v[12:13]
	v_fma_f64 v[12:13], -v[6:7], v[8:9], 1.0
	v_fmac_f64_e32 v[8:9], v[8:9], v[12:13]
	v_mul_f64 v[12:13], v[10:11], v[8:9]
	v_fma_f64 v[6:7], -v[6:7], v[12:13], v[10:11]
	v_div_fmas_f64 v[6:7], v[6:7], v[8:9], v[12:13]
	v_div_fixup_f64 v[6:7], v[6:7], v[4:5], v[2:3]
	v_fmac_f64_e32 v[4:5], v[2:3], v[6:7]
	v_div_scale_f64 v[2:3], s[2:3], v[4:5], v[4:5], 1.0
	v_rcp_f64_e32 v[8:9], v[2:3]
	s_nop 0
	v_fma_f64 v[10:11], -v[2:3], v[8:9], 1.0
	v_fmac_f64_e32 v[8:9], v[8:9], v[10:11]
	v_fma_f64 v[10:11], -v[2:3], v[8:9], 1.0
	v_fmac_f64_e32 v[8:9], v[8:9], v[10:11]
	v_div_scale_f64 v[10:11], vcc, 1.0, v[4:5], 1.0
	v_mul_f64 v[12:13], v[10:11], v[8:9]
	v_fma_f64 v[2:3], -v[2:3], v[12:13], v[10:11]
	s_nop 1
	v_div_fmas_f64 v[2:3], v[2:3], v[8:9], v[12:13]
	v_div_fixup_f64 v[8:9], v[2:3], v[4:5], 1.0
	v_mul_f64 v[6:7], v[6:7], v[8:9]
	v_xor_b32_e32 v9, 0x80000000, v9
	v_xor_b32_e32 v11, 0x80000000, v7
	v_mov_b32_e32 v10, v6
                                        ; implicit-def: $vgpr2_vgpr3
.LBB93_4:
	s_or_saveexec_b64 s[0:1], s[0:1]
	v_add_u32_e32 v12, 0, v14
	s_xor_b64 exec, exec, s[0:1]
	s_cbranch_execz .LBB93_6
; %bb.5:
	v_div_scale_f64 v[6:7], s[2:3], v[2:3], v[2:3], v[4:5]
	v_rcp_f64_e32 v[8:9], v[6:7]
	v_div_scale_f64 v[10:11], vcc, v[4:5], v[2:3], v[4:5]
	v_fma_f64 v[76:77], -v[6:7], v[8:9], 1.0
	v_fmac_f64_e32 v[8:9], v[8:9], v[76:77]
	v_fma_f64 v[76:77], -v[6:7], v[8:9], 1.0
	v_fmac_f64_e32 v[8:9], v[8:9], v[76:77]
	v_mul_f64 v[76:77], v[10:11], v[8:9]
	v_fma_f64 v[6:7], -v[6:7], v[76:77], v[10:11]
	v_div_fmas_f64 v[6:7], v[6:7], v[8:9], v[76:77]
	v_div_fixup_f64 v[8:9], v[6:7], v[2:3], v[4:5]
	v_fmac_f64_e32 v[2:3], v[4:5], v[8:9]
	v_div_scale_f64 v[4:5], s[2:3], v[2:3], v[2:3], 1.0
	v_rcp_f64_e32 v[6:7], v[4:5]
	s_nop 0
	v_fma_f64 v[10:11], -v[4:5], v[6:7], 1.0
	v_fmac_f64_e32 v[6:7], v[6:7], v[10:11]
	v_fma_f64 v[10:11], -v[4:5], v[6:7], 1.0
	v_fmac_f64_e32 v[6:7], v[6:7], v[10:11]
	v_div_scale_f64 v[10:11], vcc, 1.0, v[2:3], 1.0
	v_mul_f64 v[76:77], v[10:11], v[6:7]
	v_fma_f64 v[4:5], -v[4:5], v[76:77], v[10:11]
	s_nop 1
	v_div_fmas_f64 v[4:5], v[4:5], v[6:7], v[76:77]
	v_div_fixup_f64 v[6:7], v[4:5], v[2:3], 1.0
	v_xor_b32_e32 v11, 0x80000000, v7
	v_mov_b32_e32 v10, v6
	v_mul_f64 v[8:9], v[8:9], -v[6:7]
.LBB93_6:
	s_or_b64 exec, exec, s[0:1]
	scratch_store_dwordx4 v12, v[6:9], off
	s_nop 1
	v_xor_b32_e32 v9, 0x80000000, v9
	s_branch .LBB93_8
.LBB93_7:
	v_mov_b64_e32 v[8:9], 0
	v_mov_b64_e32 v[10:11], -1.0
.LBB93_8:
	v_add_u32_e32 v95, 16, v1
	v_add_u32_e32 v99, 32, v1
	;; [unrolled: 1-line block ×29, first 2 shown]
	v_mov_b32_e32 v12, v8
	v_mov_b32_e32 v13, v9
	s_cmpk_eq_i32 s4, 0x79
	v_add_u32_e32 v9, 0x1e0, v14
	v_add_u32_e32 v8, 0, v14
	ds_write_b128 v14, v[10:13]
	s_cbranch_scc1 .LBB93_236
; %bb.9:
	scratch_load_dwordx4 v[2:5], v15, off
	v_cmp_eq_u32_e64 s[0:1], 29, v0
	s_waitcnt vmcnt(0)
	ds_write_b128 v9, v[2:5]
	s_waitcnt lgkmcnt(0)
	; wave barrier
	s_waitcnt lgkmcnt(0)
	s_and_saveexec_b64 s[2:3], s[0:1]
	s_cbranch_execz .LBB93_13
; %bb.10:
	ds_read_b128 v[2:5], v9
	s_andn2_b64 vcc, exec, s[6:7]
	s_cbranch_vccnz .LBB93_12
; %bb.11:
	scratch_load_dwordx4 v[10:13], v8, off
	s_waitcnt vmcnt(0) lgkmcnt(0)
	v_mul_f64 v[6:7], v[4:5], v[12:13]
	v_mul_f64 v[12:13], v[2:3], v[12:13]
	v_fmac_f64_e32 v[12:13], v[4:5], v[10:11]
	v_fma_f64 v[2:3], v[2:3], v[10:11], -v[6:7]
	v_mov_b64_e32 v[4:5], v[12:13]
.LBB93_12:
	v_mov_b32_e32 v6, 0
	ds_read_b128 v[10:13], v6 offset:448
	s_waitcnt lgkmcnt(0)
	v_mul_f64 v[6:7], v[4:5], v[12:13]
	v_mul_f64 v[106:107], v[2:3], v[12:13]
	v_fma_f64 v[104:105], v[2:3], v[10:11], -v[6:7]
	v_fmac_f64_e32 v[106:107], v[4:5], v[10:11]
	scratch_store_dwordx4 off, v[104:107], off offset:448
.LBB93_13:
	s_or_b64 exec, exec, s[2:3]
	scratch_load_dwordx4 v[2:5], v77, off
	v_cmp_lt_u32_e64 s[2:3], 27, v0
	s_waitcnt vmcnt(0)
	ds_write_b128 v9, v[2:5]
	s_waitcnt lgkmcnt(0)
	; wave barrier
	s_waitcnt lgkmcnt(0)
	s_and_saveexec_b64 s[4:5], s[2:3]
	s_cbranch_execz .LBB93_19
; %bb.14:
	ds_read_b128 v[2:5], v9
	s_andn2_b64 vcc, exec, s[6:7]
	s_cbranch_vccnz .LBB93_16
; %bb.15:
	scratch_load_dwordx4 v[10:13], v8, off
	s_waitcnt vmcnt(0) lgkmcnt(0)
	v_mul_f64 v[6:7], v[4:5], v[12:13]
	v_mul_f64 v[12:13], v[2:3], v[12:13]
	v_fmac_f64_e32 v[12:13], v[4:5], v[10:11]
	v_fma_f64 v[2:3], v[2:3], v[10:11], -v[6:7]
	v_mov_b64_e32 v[4:5], v[12:13]
.LBB93_16:
	s_and_saveexec_b64 s[8:9], s[0:1]
	s_cbranch_execz .LBB93_18
; %bb.17:
	scratch_load_dwordx4 v[10:13], off, off offset:448
	v_mov_b32_e32 v6, 0
	ds_read_b128 v[104:107], v6 offset:928
	s_waitcnt vmcnt(0) lgkmcnt(0)
	v_mul_f64 v[6:7], v[104:105], v[12:13]
	v_mul_f64 v[12:13], v[106:107], v[12:13]
	v_fmac_f64_e32 v[6:7], v[106:107], v[10:11]
	v_fma_f64 v[10:11], v[104:105], v[10:11], -v[12:13]
	v_add_f64 v[4:5], v[4:5], v[6:7]
	v_add_f64 v[2:3], v[2:3], v[10:11]
.LBB93_18:
	s_or_b64 exec, exec, s[8:9]
	v_mov_b32_e32 v6, 0
	ds_read_b128 v[10:13], v6 offset:432
	s_waitcnt lgkmcnt(0)
	v_mul_f64 v[6:7], v[4:5], v[12:13]
	v_mul_f64 v[106:107], v[2:3], v[12:13]
	v_fma_f64 v[104:105], v[2:3], v[10:11], -v[6:7]
	v_fmac_f64_e32 v[106:107], v[4:5], v[10:11]
	scratch_store_dwordx4 off, v[104:107], off offset:432
.LBB93_19:
	s_or_b64 exec, exec, s[4:5]
	scratch_load_dwordx4 v[2:5], v76, off
	v_cmp_lt_u32_e64 s[0:1], 26, v0
	s_waitcnt vmcnt(0)
	ds_write_b128 v9, v[2:5]
	s_waitcnt lgkmcnt(0)
	; wave barrier
	s_waitcnt lgkmcnt(0)
	s_and_saveexec_b64 s[4:5], s[0:1]
	s_cbranch_execz .LBB93_27
; %bb.20:
	ds_read_b128 v[2:5], v9
	s_andn2_b64 vcc, exec, s[6:7]
	s_cbranch_vccnz .LBB93_22
; %bb.21:
	scratch_load_dwordx4 v[10:13], v8, off
	s_waitcnt vmcnt(0) lgkmcnt(0)
	v_mul_f64 v[6:7], v[4:5], v[12:13]
	v_mul_f64 v[12:13], v[2:3], v[12:13]
	v_fmac_f64_e32 v[12:13], v[4:5], v[10:11]
	v_fma_f64 v[2:3], v[2:3], v[10:11], -v[6:7]
	v_mov_b64_e32 v[4:5], v[12:13]
.LBB93_22:
	s_and_saveexec_b64 s[8:9], s[2:3]
	s_cbranch_execz .LBB93_26
; %bb.23:
	v_mov_b32_e32 v7, 0
	v_subrev_u32_e32 v6, 27, v0
	v_add_u32_e32 v7, 0x1b8, v7
	s_movk_i32 s10, 0x390
	s_mov_b64 s[2:3], 0
.LBB93_24:                              ; =>This Inner Loop Header: Depth=1
	v_add_u32_e32 v10, -8, v7
	scratch_load_dwordx4 v[10:13], v10, off
	v_mov_b32_e32 v103, s10
	ds_read_b128 v[104:107], v103
	v_add_u32_e32 v6, -1, v6
	s_add_i32 s10, s10, 16
	v_cmp_eq_u32_e32 vcc, 0, v6
	v_add_u32_e32 v7, 16, v7
	s_or_b64 s[2:3], vcc, s[2:3]
	s_waitcnt vmcnt(0) lgkmcnt(0)
	v_mul_f64 v[108:109], v[106:107], v[12:13]
	v_mul_f64 v[12:13], v[104:105], v[12:13]
	v_fma_f64 v[104:105], v[104:105], v[10:11], -v[108:109]
	v_fmac_f64_e32 v[12:13], v[106:107], v[10:11]
	v_add_f64 v[2:3], v[2:3], v[104:105]
	v_add_f64 v[4:5], v[4:5], v[12:13]
	s_andn2_b64 exec, exec, s[2:3]
	s_cbranch_execnz .LBB93_24
; %bb.25:
	s_or_b64 exec, exec, s[2:3]
.LBB93_26:
	s_or_b64 exec, exec, s[8:9]
	v_mov_b32_e32 v6, 0
	ds_read_b128 v[10:13], v6 offset:416
	s_waitcnt lgkmcnt(0)
	v_mul_f64 v[6:7], v[4:5], v[12:13]
	v_mul_f64 v[106:107], v[2:3], v[12:13]
	v_fma_f64 v[104:105], v[2:3], v[10:11], -v[6:7]
	v_fmac_f64_e32 v[106:107], v[4:5], v[10:11]
	scratch_store_dwordx4 off, v[104:107], off offset:416
.LBB93_27:
	s_or_b64 exec, exec, s[4:5]
	scratch_load_dwordx4 v[2:5], v79, off
	v_cmp_lt_u32_e64 s[2:3], 25, v0
	s_waitcnt vmcnt(0)
	ds_write_b128 v9, v[2:5]
	s_waitcnt lgkmcnt(0)
	; wave barrier
	s_waitcnt lgkmcnt(0)
	s_and_saveexec_b64 s[4:5], s[2:3]
	s_cbranch_execz .LBB93_35
; %bb.28:
	ds_read_b128 v[2:5], v9
	s_andn2_b64 vcc, exec, s[6:7]
	s_cbranch_vccnz .LBB93_30
; %bb.29:
	scratch_load_dwordx4 v[10:13], v8, off
	s_waitcnt vmcnt(0) lgkmcnt(0)
	v_mul_f64 v[6:7], v[4:5], v[12:13]
	v_mul_f64 v[12:13], v[2:3], v[12:13]
	v_fmac_f64_e32 v[12:13], v[4:5], v[10:11]
	v_fma_f64 v[2:3], v[2:3], v[10:11], -v[6:7]
	v_mov_b64_e32 v[4:5], v[12:13]
.LBB93_30:
	s_and_saveexec_b64 s[8:9], s[0:1]
	s_cbranch_execz .LBB93_34
; %bb.31:
	v_mov_b32_e32 v7, 0
	v_subrev_u32_e32 v6, 26, v0
	v_add_u32_e32 v7, 0x1a8, v7
	s_movk_i32 s10, 0x380
	s_mov_b64 s[0:1], 0
.LBB93_32:                              ; =>This Inner Loop Header: Depth=1
	v_add_u32_e32 v10, -8, v7
	scratch_load_dwordx4 v[10:13], v10, off
	v_mov_b32_e32 v103, s10
	ds_read_b128 v[104:107], v103
	v_add_u32_e32 v6, -1, v6
	s_add_i32 s10, s10, 16
	v_cmp_eq_u32_e32 vcc, 0, v6
	v_add_u32_e32 v7, 16, v7
	s_or_b64 s[0:1], vcc, s[0:1]
	s_waitcnt vmcnt(0) lgkmcnt(0)
	v_mul_f64 v[108:109], v[106:107], v[12:13]
	v_mul_f64 v[12:13], v[104:105], v[12:13]
	v_fma_f64 v[104:105], v[104:105], v[10:11], -v[108:109]
	v_fmac_f64_e32 v[12:13], v[106:107], v[10:11]
	v_add_f64 v[2:3], v[2:3], v[104:105]
	v_add_f64 v[4:5], v[4:5], v[12:13]
	s_andn2_b64 exec, exec, s[0:1]
	s_cbranch_execnz .LBB93_32
; %bb.33:
	s_or_b64 exec, exec, s[0:1]
.LBB93_34:
	s_or_b64 exec, exec, s[8:9]
	v_mov_b32_e32 v6, 0
	ds_read_b128 v[10:13], v6 offset:400
	s_waitcnt lgkmcnt(0)
	v_mul_f64 v[6:7], v[4:5], v[12:13]
	v_mul_f64 v[106:107], v[2:3], v[12:13]
	v_fma_f64 v[104:105], v[2:3], v[10:11], -v[6:7]
	v_fmac_f64_e32 v[106:107], v[4:5], v[10:11]
	scratch_store_dwordx4 off, v[104:107], off offset:400
.LBB93_35:
	s_or_b64 exec, exec, s[4:5]
	scratch_load_dwordx4 v[2:5], v78, off
	v_cmp_lt_u32_e64 s[0:1], 24, v0
	s_waitcnt vmcnt(0)
	ds_write_b128 v9, v[2:5]
	s_waitcnt lgkmcnt(0)
	; wave barrier
	s_waitcnt lgkmcnt(0)
	s_and_saveexec_b64 s[4:5], s[0:1]
	s_cbranch_execz .LBB93_43
; %bb.36:
	ds_read_b128 v[2:5], v9
	s_andn2_b64 vcc, exec, s[6:7]
	s_cbranch_vccnz .LBB93_38
; %bb.37:
	scratch_load_dwordx4 v[10:13], v8, off
	s_waitcnt vmcnt(0) lgkmcnt(0)
	v_mul_f64 v[6:7], v[4:5], v[12:13]
	v_mul_f64 v[12:13], v[2:3], v[12:13]
	v_fmac_f64_e32 v[12:13], v[4:5], v[10:11]
	v_fma_f64 v[2:3], v[2:3], v[10:11], -v[6:7]
	v_mov_b64_e32 v[4:5], v[12:13]
.LBB93_38:
	s_and_saveexec_b64 s[8:9], s[2:3]
	s_cbranch_execz .LBB93_42
; %bb.39:
	v_mov_b32_e32 v7, 0
	v_subrev_u32_e32 v6, 25, v0
	v_add_u32_e32 v7, 0x198, v7
	s_movk_i32 s10, 0x370
	s_mov_b64 s[2:3], 0
.LBB93_40:                              ; =>This Inner Loop Header: Depth=1
	v_add_u32_e32 v10, -8, v7
	scratch_load_dwordx4 v[10:13], v10, off
	v_mov_b32_e32 v103, s10
	ds_read_b128 v[104:107], v103
	v_add_u32_e32 v6, -1, v6
	s_add_i32 s10, s10, 16
	v_cmp_eq_u32_e32 vcc, 0, v6
	v_add_u32_e32 v7, 16, v7
	s_or_b64 s[2:3], vcc, s[2:3]
	s_waitcnt vmcnt(0) lgkmcnt(0)
	v_mul_f64 v[108:109], v[106:107], v[12:13]
	v_mul_f64 v[12:13], v[104:105], v[12:13]
	v_fma_f64 v[104:105], v[104:105], v[10:11], -v[108:109]
	v_fmac_f64_e32 v[12:13], v[106:107], v[10:11]
	v_add_f64 v[2:3], v[2:3], v[104:105]
	v_add_f64 v[4:5], v[4:5], v[12:13]
	s_andn2_b64 exec, exec, s[2:3]
	s_cbranch_execnz .LBB93_40
; %bb.41:
	s_or_b64 exec, exec, s[2:3]
.LBB93_42:
	s_or_b64 exec, exec, s[8:9]
	v_mov_b32_e32 v6, 0
	ds_read_b128 v[10:13], v6 offset:384
	s_waitcnt lgkmcnt(0)
	v_mul_f64 v[6:7], v[4:5], v[12:13]
	v_mul_f64 v[106:107], v[2:3], v[12:13]
	v_fma_f64 v[104:105], v[2:3], v[10:11], -v[6:7]
	v_fmac_f64_e32 v[106:107], v[4:5], v[10:11]
	scratch_store_dwordx4 off, v[104:107], off offset:384
.LBB93_43:
	s_or_b64 exec, exec, s[4:5]
	scratch_load_dwordx4 v[2:5], v81, off
	v_cmp_lt_u32_e64 s[2:3], 23, v0
	s_waitcnt vmcnt(0)
	ds_write_b128 v9, v[2:5]
	s_waitcnt lgkmcnt(0)
	; wave barrier
	s_waitcnt lgkmcnt(0)
	s_and_saveexec_b64 s[4:5], s[2:3]
	s_cbranch_execz .LBB93_51
; %bb.44:
	ds_read_b128 v[2:5], v9
	s_andn2_b64 vcc, exec, s[6:7]
	s_cbranch_vccnz .LBB93_46
; %bb.45:
	scratch_load_dwordx4 v[10:13], v8, off
	s_waitcnt vmcnt(0) lgkmcnt(0)
	v_mul_f64 v[6:7], v[4:5], v[12:13]
	v_mul_f64 v[12:13], v[2:3], v[12:13]
	v_fmac_f64_e32 v[12:13], v[4:5], v[10:11]
	v_fma_f64 v[2:3], v[2:3], v[10:11], -v[6:7]
	v_mov_b64_e32 v[4:5], v[12:13]
.LBB93_46:
	s_and_saveexec_b64 s[8:9], s[0:1]
	s_cbranch_execz .LBB93_50
; %bb.47:
	v_mov_b32_e32 v7, 0
	v_subrev_u32_e32 v6, 24, v0
	v_add_u32_e32 v7, 0x188, v7
	s_movk_i32 s10, 0x360
	s_mov_b64 s[0:1], 0
.LBB93_48:                              ; =>This Inner Loop Header: Depth=1
	v_add_u32_e32 v10, -8, v7
	scratch_load_dwordx4 v[10:13], v10, off
	v_mov_b32_e32 v103, s10
	ds_read_b128 v[104:107], v103
	v_add_u32_e32 v6, -1, v6
	s_add_i32 s10, s10, 16
	v_cmp_eq_u32_e32 vcc, 0, v6
	v_add_u32_e32 v7, 16, v7
	s_or_b64 s[0:1], vcc, s[0:1]
	s_waitcnt vmcnt(0) lgkmcnt(0)
	v_mul_f64 v[108:109], v[106:107], v[12:13]
	v_mul_f64 v[12:13], v[104:105], v[12:13]
	v_fma_f64 v[104:105], v[104:105], v[10:11], -v[108:109]
	v_fmac_f64_e32 v[12:13], v[106:107], v[10:11]
	v_add_f64 v[2:3], v[2:3], v[104:105]
	v_add_f64 v[4:5], v[4:5], v[12:13]
	s_andn2_b64 exec, exec, s[0:1]
	s_cbranch_execnz .LBB93_48
; %bb.49:
	s_or_b64 exec, exec, s[0:1]
.LBB93_50:
	s_or_b64 exec, exec, s[8:9]
	v_mov_b32_e32 v6, 0
	ds_read_b128 v[10:13], v6 offset:368
	s_waitcnt lgkmcnt(0)
	v_mul_f64 v[6:7], v[4:5], v[12:13]
	v_mul_f64 v[106:107], v[2:3], v[12:13]
	v_fma_f64 v[104:105], v[2:3], v[10:11], -v[6:7]
	v_fmac_f64_e32 v[106:107], v[4:5], v[10:11]
	scratch_store_dwordx4 off, v[104:107], off offset:368
.LBB93_51:
	s_or_b64 exec, exec, s[4:5]
	scratch_load_dwordx4 v[2:5], v80, off
	v_cmp_lt_u32_e64 s[0:1], 22, v0
	s_waitcnt vmcnt(0)
	ds_write_b128 v9, v[2:5]
	s_waitcnt lgkmcnt(0)
	; wave barrier
	s_waitcnt lgkmcnt(0)
	s_and_saveexec_b64 s[4:5], s[0:1]
	s_cbranch_execz .LBB93_59
; %bb.52:
	ds_read_b128 v[2:5], v9
	s_andn2_b64 vcc, exec, s[6:7]
	s_cbranch_vccnz .LBB93_54
; %bb.53:
	scratch_load_dwordx4 v[10:13], v8, off
	s_waitcnt vmcnt(0) lgkmcnt(0)
	v_mul_f64 v[6:7], v[4:5], v[12:13]
	v_mul_f64 v[12:13], v[2:3], v[12:13]
	v_fmac_f64_e32 v[12:13], v[4:5], v[10:11]
	v_fma_f64 v[2:3], v[2:3], v[10:11], -v[6:7]
	v_mov_b64_e32 v[4:5], v[12:13]
.LBB93_54:
	s_and_saveexec_b64 s[8:9], s[2:3]
	s_cbranch_execz .LBB93_58
; %bb.55:
	v_mov_b32_e32 v7, 0
	v_subrev_u32_e32 v6, 23, v0
	v_add_u32_e32 v7, 0x178, v7
	s_movk_i32 s10, 0x350
	s_mov_b64 s[2:3], 0
.LBB93_56:                              ; =>This Inner Loop Header: Depth=1
	v_add_u32_e32 v10, -8, v7
	scratch_load_dwordx4 v[10:13], v10, off
	v_mov_b32_e32 v103, s10
	ds_read_b128 v[104:107], v103
	v_add_u32_e32 v6, -1, v6
	s_add_i32 s10, s10, 16
	v_cmp_eq_u32_e32 vcc, 0, v6
	v_add_u32_e32 v7, 16, v7
	s_or_b64 s[2:3], vcc, s[2:3]
	s_waitcnt vmcnt(0) lgkmcnt(0)
	v_mul_f64 v[108:109], v[106:107], v[12:13]
	v_mul_f64 v[12:13], v[104:105], v[12:13]
	v_fma_f64 v[104:105], v[104:105], v[10:11], -v[108:109]
	v_fmac_f64_e32 v[12:13], v[106:107], v[10:11]
	v_add_f64 v[2:3], v[2:3], v[104:105]
	v_add_f64 v[4:5], v[4:5], v[12:13]
	s_andn2_b64 exec, exec, s[2:3]
	s_cbranch_execnz .LBB93_56
; %bb.57:
	s_or_b64 exec, exec, s[2:3]
.LBB93_58:
	s_or_b64 exec, exec, s[8:9]
	v_mov_b32_e32 v6, 0
	ds_read_b128 v[10:13], v6 offset:352
	s_waitcnt lgkmcnt(0)
	v_mul_f64 v[6:7], v[4:5], v[12:13]
	v_mul_f64 v[106:107], v[2:3], v[12:13]
	v_fma_f64 v[104:105], v[2:3], v[10:11], -v[6:7]
	v_fmac_f64_e32 v[106:107], v[4:5], v[10:11]
	scratch_store_dwordx4 off, v[104:107], off offset:352
.LBB93_59:
	s_or_b64 exec, exec, s[4:5]
	scratch_load_dwordx4 v[2:5], v83, off
	v_cmp_lt_u32_e64 s[2:3], 21, v0
	s_waitcnt vmcnt(0)
	ds_write_b128 v9, v[2:5]
	s_waitcnt lgkmcnt(0)
	; wave barrier
	s_waitcnt lgkmcnt(0)
	s_and_saveexec_b64 s[4:5], s[2:3]
	s_cbranch_execz .LBB93_67
; %bb.60:
	ds_read_b128 v[2:5], v9
	s_andn2_b64 vcc, exec, s[6:7]
	s_cbranch_vccnz .LBB93_62
; %bb.61:
	scratch_load_dwordx4 v[10:13], v8, off
	s_waitcnt vmcnt(0) lgkmcnt(0)
	v_mul_f64 v[6:7], v[4:5], v[12:13]
	v_mul_f64 v[12:13], v[2:3], v[12:13]
	v_fmac_f64_e32 v[12:13], v[4:5], v[10:11]
	v_fma_f64 v[2:3], v[2:3], v[10:11], -v[6:7]
	v_mov_b64_e32 v[4:5], v[12:13]
.LBB93_62:
	s_and_saveexec_b64 s[8:9], s[0:1]
	s_cbranch_execz .LBB93_66
; %bb.63:
	v_mov_b32_e32 v7, 0
	v_subrev_u32_e32 v6, 22, v0
	v_add_u32_e32 v7, 0x168, v7
	s_movk_i32 s10, 0x340
	s_mov_b64 s[0:1], 0
.LBB93_64:                              ; =>This Inner Loop Header: Depth=1
	v_add_u32_e32 v10, -8, v7
	scratch_load_dwordx4 v[10:13], v10, off
	v_mov_b32_e32 v103, s10
	ds_read_b128 v[104:107], v103
	v_add_u32_e32 v6, -1, v6
	s_add_i32 s10, s10, 16
	v_cmp_eq_u32_e32 vcc, 0, v6
	v_add_u32_e32 v7, 16, v7
	s_or_b64 s[0:1], vcc, s[0:1]
	s_waitcnt vmcnt(0) lgkmcnt(0)
	v_mul_f64 v[108:109], v[106:107], v[12:13]
	v_mul_f64 v[12:13], v[104:105], v[12:13]
	v_fma_f64 v[104:105], v[104:105], v[10:11], -v[108:109]
	v_fmac_f64_e32 v[12:13], v[106:107], v[10:11]
	v_add_f64 v[2:3], v[2:3], v[104:105]
	v_add_f64 v[4:5], v[4:5], v[12:13]
	s_andn2_b64 exec, exec, s[0:1]
	s_cbranch_execnz .LBB93_64
; %bb.65:
	s_or_b64 exec, exec, s[0:1]
.LBB93_66:
	s_or_b64 exec, exec, s[8:9]
	v_mov_b32_e32 v6, 0
	ds_read_b128 v[10:13], v6 offset:336
	s_waitcnt lgkmcnt(0)
	v_mul_f64 v[6:7], v[4:5], v[12:13]
	v_mul_f64 v[106:107], v[2:3], v[12:13]
	v_fma_f64 v[104:105], v[2:3], v[10:11], -v[6:7]
	v_fmac_f64_e32 v[106:107], v[4:5], v[10:11]
	scratch_store_dwordx4 off, v[104:107], off offset:336
.LBB93_67:
	s_or_b64 exec, exec, s[4:5]
	scratch_load_dwordx4 v[2:5], v82, off
	v_cmp_lt_u32_e64 s[0:1], 20, v0
	s_waitcnt vmcnt(0)
	ds_write_b128 v9, v[2:5]
	s_waitcnt lgkmcnt(0)
	; wave barrier
	s_waitcnt lgkmcnt(0)
	s_and_saveexec_b64 s[4:5], s[0:1]
	s_cbranch_execz .LBB93_75
; %bb.68:
	ds_read_b128 v[2:5], v9
	s_andn2_b64 vcc, exec, s[6:7]
	s_cbranch_vccnz .LBB93_70
; %bb.69:
	scratch_load_dwordx4 v[10:13], v8, off
	s_waitcnt vmcnt(0) lgkmcnt(0)
	v_mul_f64 v[6:7], v[4:5], v[12:13]
	v_mul_f64 v[12:13], v[2:3], v[12:13]
	v_fmac_f64_e32 v[12:13], v[4:5], v[10:11]
	v_fma_f64 v[2:3], v[2:3], v[10:11], -v[6:7]
	v_mov_b64_e32 v[4:5], v[12:13]
.LBB93_70:
	s_and_saveexec_b64 s[8:9], s[2:3]
	s_cbranch_execz .LBB93_74
; %bb.71:
	v_mov_b32_e32 v7, 0
	v_subrev_u32_e32 v6, 21, v0
	v_add_u32_e32 v7, 0x158, v7
	s_movk_i32 s10, 0x330
	s_mov_b64 s[2:3], 0
.LBB93_72:                              ; =>This Inner Loop Header: Depth=1
	v_add_u32_e32 v10, -8, v7
	scratch_load_dwordx4 v[10:13], v10, off
	v_mov_b32_e32 v103, s10
	ds_read_b128 v[104:107], v103
	v_add_u32_e32 v6, -1, v6
	s_add_i32 s10, s10, 16
	v_cmp_eq_u32_e32 vcc, 0, v6
	v_add_u32_e32 v7, 16, v7
	s_or_b64 s[2:3], vcc, s[2:3]
	s_waitcnt vmcnt(0) lgkmcnt(0)
	v_mul_f64 v[108:109], v[106:107], v[12:13]
	v_mul_f64 v[12:13], v[104:105], v[12:13]
	v_fma_f64 v[104:105], v[104:105], v[10:11], -v[108:109]
	v_fmac_f64_e32 v[12:13], v[106:107], v[10:11]
	v_add_f64 v[2:3], v[2:3], v[104:105]
	v_add_f64 v[4:5], v[4:5], v[12:13]
	s_andn2_b64 exec, exec, s[2:3]
	s_cbranch_execnz .LBB93_72
; %bb.73:
	s_or_b64 exec, exec, s[2:3]
.LBB93_74:
	s_or_b64 exec, exec, s[8:9]
	v_mov_b32_e32 v6, 0
	ds_read_b128 v[10:13], v6 offset:320
	s_waitcnt lgkmcnt(0)
	v_mul_f64 v[6:7], v[4:5], v[12:13]
	v_mul_f64 v[106:107], v[2:3], v[12:13]
	v_fma_f64 v[104:105], v[2:3], v[10:11], -v[6:7]
	v_fmac_f64_e32 v[106:107], v[4:5], v[10:11]
	scratch_store_dwordx4 off, v[104:107], off offset:320
.LBB93_75:
	s_or_b64 exec, exec, s[4:5]
	scratch_load_dwordx4 v[2:5], v84, off
	v_cmp_lt_u32_e64 s[2:3], 19, v0
	s_waitcnt vmcnt(0)
	ds_write_b128 v9, v[2:5]
	s_waitcnt lgkmcnt(0)
	; wave barrier
	s_waitcnt lgkmcnt(0)
	s_and_saveexec_b64 s[4:5], s[2:3]
	s_cbranch_execz .LBB93_83
; %bb.76:
	ds_read_b128 v[2:5], v9
	s_andn2_b64 vcc, exec, s[6:7]
	s_cbranch_vccnz .LBB93_78
; %bb.77:
	scratch_load_dwordx4 v[10:13], v8, off
	s_waitcnt vmcnt(0) lgkmcnt(0)
	v_mul_f64 v[6:7], v[4:5], v[12:13]
	v_mul_f64 v[12:13], v[2:3], v[12:13]
	v_fmac_f64_e32 v[12:13], v[4:5], v[10:11]
	v_fma_f64 v[2:3], v[2:3], v[10:11], -v[6:7]
	v_mov_b64_e32 v[4:5], v[12:13]
.LBB93_78:
	s_and_saveexec_b64 s[8:9], s[0:1]
	s_cbranch_execz .LBB93_82
; %bb.79:
	v_mov_b32_e32 v7, 0
	v_subrev_u32_e32 v6, 20, v0
	v_add_u32_e32 v7, 0x148, v7
	s_movk_i32 s10, 0x320
	s_mov_b64 s[0:1], 0
.LBB93_80:                              ; =>This Inner Loop Header: Depth=1
	v_add_u32_e32 v10, -8, v7
	scratch_load_dwordx4 v[10:13], v10, off
	v_mov_b32_e32 v103, s10
	ds_read_b128 v[104:107], v103
	v_add_u32_e32 v6, -1, v6
	s_add_i32 s10, s10, 16
	v_cmp_eq_u32_e32 vcc, 0, v6
	v_add_u32_e32 v7, 16, v7
	s_or_b64 s[0:1], vcc, s[0:1]
	s_waitcnt vmcnt(0) lgkmcnt(0)
	v_mul_f64 v[108:109], v[106:107], v[12:13]
	v_mul_f64 v[12:13], v[104:105], v[12:13]
	v_fma_f64 v[104:105], v[104:105], v[10:11], -v[108:109]
	v_fmac_f64_e32 v[12:13], v[106:107], v[10:11]
	v_add_f64 v[2:3], v[2:3], v[104:105]
	v_add_f64 v[4:5], v[4:5], v[12:13]
	s_andn2_b64 exec, exec, s[0:1]
	s_cbranch_execnz .LBB93_80
; %bb.81:
	s_or_b64 exec, exec, s[0:1]
.LBB93_82:
	s_or_b64 exec, exec, s[8:9]
	v_mov_b32_e32 v6, 0
	ds_read_b128 v[10:13], v6 offset:304
	s_waitcnt lgkmcnt(0)
	v_mul_f64 v[6:7], v[4:5], v[12:13]
	v_mul_f64 v[106:107], v[2:3], v[12:13]
	v_fma_f64 v[104:105], v[2:3], v[10:11], -v[6:7]
	v_fmac_f64_e32 v[106:107], v[4:5], v[10:11]
	scratch_store_dwordx4 off, v[104:107], off offset:304
.LBB93_83:
	s_or_b64 exec, exec, s[4:5]
	scratch_load_dwordx4 v[2:5], v85, off
	v_cmp_lt_u32_e64 s[0:1], 18, v0
	s_waitcnt vmcnt(0)
	ds_write_b128 v9, v[2:5]
	s_waitcnt lgkmcnt(0)
	; wave barrier
	s_waitcnt lgkmcnt(0)
	s_and_saveexec_b64 s[4:5], s[0:1]
	s_cbranch_execz .LBB93_91
; %bb.84:
	ds_read_b128 v[2:5], v9
	s_andn2_b64 vcc, exec, s[6:7]
	s_cbranch_vccnz .LBB93_86
; %bb.85:
	scratch_load_dwordx4 v[10:13], v8, off
	s_waitcnt vmcnt(0) lgkmcnt(0)
	v_mul_f64 v[6:7], v[4:5], v[12:13]
	v_mul_f64 v[12:13], v[2:3], v[12:13]
	v_fmac_f64_e32 v[12:13], v[4:5], v[10:11]
	v_fma_f64 v[2:3], v[2:3], v[10:11], -v[6:7]
	v_mov_b64_e32 v[4:5], v[12:13]
.LBB93_86:
	s_and_saveexec_b64 s[8:9], s[2:3]
	s_cbranch_execz .LBB93_90
; %bb.87:
	v_mov_b32_e32 v7, 0
	v_subrev_u32_e32 v6, 19, v0
	v_add_u32_e32 v7, 0x138, v7
	s_movk_i32 s10, 0x310
	s_mov_b64 s[2:3], 0
.LBB93_88:                              ; =>This Inner Loop Header: Depth=1
	v_add_u32_e32 v10, -8, v7
	scratch_load_dwordx4 v[10:13], v10, off
	v_mov_b32_e32 v103, s10
	ds_read_b128 v[104:107], v103
	v_add_u32_e32 v6, -1, v6
	s_add_i32 s10, s10, 16
	v_cmp_eq_u32_e32 vcc, 0, v6
	v_add_u32_e32 v7, 16, v7
	s_or_b64 s[2:3], vcc, s[2:3]
	s_waitcnt vmcnt(0) lgkmcnt(0)
	v_mul_f64 v[108:109], v[106:107], v[12:13]
	v_mul_f64 v[12:13], v[104:105], v[12:13]
	v_fma_f64 v[104:105], v[104:105], v[10:11], -v[108:109]
	v_fmac_f64_e32 v[12:13], v[106:107], v[10:11]
	v_add_f64 v[2:3], v[2:3], v[104:105]
	v_add_f64 v[4:5], v[4:5], v[12:13]
	s_andn2_b64 exec, exec, s[2:3]
	s_cbranch_execnz .LBB93_88
; %bb.89:
	s_or_b64 exec, exec, s[2:3]
.LBB93_90:
	s_or_b64 exec, exec, s[8:9]
	v_mov_b32_e32 v6, 0
	ds_read_b128 v[10:13], v6 offset:288
	s_waitcnt lgkmcnt(0)
	v_mul_f64 v[6:7], v[4:5], v[12:13]
	v_mul_f64 v[106:107], v[2:3], v[12:13]
	v_fma_f64 v[104:105], v[2:3], v[10:11], -v[6:7]
	v_fmac_f64_e32 v[106:107], v[4:5], v[10:11]
	scratch_store_dwordx4 off, v[104:107], off offset:288
.LBB93_91:
	s_or_b64 exec, exec, s[4:5]
	scratch_load_dwordx4 v[2:5], v86, off
	v_cmp_lt_u32_e64 s[2:3], 17, v0
	s_waitcnt vmcnt(0)
	ds_write_b128 v9, v[2:5]
	s_waitcnt lgkmcnt(0)
	; wave barrier
	s_waitcnt lgkmcnt(0)
	s_and_saveexec_b64 s[4:5], s[2:3]
	s_cbranch_execz .LBB93_99
; %bb.92:
	ds_read_b128 v[2:5], v9
	s_andn2_b64 vcc, exec, s[6:7]
	s_cbranch_vccnz .LBB93_94
; %bb.93:
	scratch_load_dwordx4 v[10:13], v8, off
	s_waitcnt vmcnt(0) lgkmcnt(0)
	v_mul_f64 v[6:7], v[4:5], v[12:13]
	v_mul_f64 v[12:13], v[2:3], v[12:13]
	v_fmac_f64_e32 v[12:13], v[4:5], v[10:11]
	v_fma_f64 v[2:3], v[2:3], v[10:11], -v[6:7]
	v_mov_b64_e32 v[4:5], v[12:13]
.LBB93_94:
	s_and_saveexec_b64 s[8:9], s[0:1]
	s_cbranch_execz .LBB93_98
; %bb.95:
	v_mov_b32_e32 v7, 0
	v_subrev_u32_e32 v6, 18, v0
	v_add_u32_e32 v7, 0x128, v7
	s_movk_i32 s10, 0x300
	s_mov_b64 s[0:1], 0
.LBB93_96:                              ; =>This Inner Loop Header: Depth=1
	v_add_u32_e32 v10, -8, v7
	scratch_load_dwordx4 v[10:13], v10, off
	v_mov_b32_e32 v103, s10
	ds_read_b128 v[104:107], v103
	v_add_u32_e32 v6, -1, v6
	s_add_i32 s10, s10, 16
	v_cmp_eq_u32_e32 vcc, 0, v6
	v_add_u32_e32 v7, 16, v7
	s_or_b64 s[0:1], vcc, s[0:1]
	s_waitcnt vmcnt(0) lgkmcnt(0)
	v_mul_f64 v[108:109], v[106:107], v[12:13]
	v_mul_f64 v[12:13], v[104:105], v[12:13]
	v_fma_f64 v[104:105], v[104:105], v[10:11], -v[108:109]
	v_fmac_f64_e32 v[12:13], v[106:107], v[10:11]
	v_add_f64 v[2:3], v[2:3], v[104:105]
	v_add_f64 v[4:5], v[4:5], v[12:13]
	s_andn2_b64 exec, exec, s[0:1]
	s_cbranch_execnz .LBB93_96
; %bb.97:
	s_or_b64 exec, exec, s[0:1]
.LBB93_98:
	s_or_b64 exec, exec, s[8:9]
	v_mov_b32_e32 v6, 0
	ds_read_b128 v[10:13], v6 offset:272
	s_waitcnt lgkmcnt(0)
	v_mul_f64 v[6:7], v[4:5], v[12:13]
	v_mul_f64 v[106:107], v[2:3], v[12:13]
	v_fma_f64 v[104:105], v[2:3], v[10:11], -v[6:7]
	v_fmac_f64_e32 v[106:107], v[4:5], v[10:11]
	scratch_store_dwordx4 off, v[104:107], off offset:272
.LBB93_99:
	s_or_b64 exec, exec, s[4:5]
	scratch_load_dwordx4 v[2:5], v87, off
	v_cmp_lt_u32_e64 s[0:1], 16, v0
	s_waitcnt vmcnt(0)
	ds_write_b128 v9, v[2:5]
	s_waitcnt lgkmcnt(0)
	; wave barrier
	s_waitcnt lgkmcnt(0)
	s_and_saveexec_b64 s[4:5], s[0:1]
	s_cbranch_execz .LBB93_107
; %bb.100:
	ds_read_b128 v[2:5], v9
	s_andn2_b64 vcc, exec, s[6:7]
	s_cbranch_vccnz .LBB93_102
; %bb.101:
	scratch_load_dwordx4 v[10:13], v8, off
	s_waitcnt vmcnt(0) lgkmcnt(0)
	v_mul_f64 v[6:7], v[4:5], v[12:13]
	v_mul_f64 v[12:13], v[2:3], v[12:13]
	v_fmac_f64_e32 v[12:13], v[4:5], v[10:11]
	v_fma_f64 v[2:3], v[2:3], v[10:11], -v[6:7]
	v_mov_b64_e32 v[4:5], v[12:13]
.LBB93_102:
	s_and_saveexec_b64 s[8:9], s[2:3]
	s_cbranch_execz .LBB93_106
; %bb.103:
	v_mov_b32_e32 v7, 0
	v_subrev_u32_e32 v6, 17, v0
	v_add_u32_e32 v7, 0x118, v7
	s_movk_i32 s10, 0x2f0
	s_mov_b64 s[2:3], 0
.LBB93_104:                             ; =>This Inner Loop Header: Depth=1
	v_add_u32_e32 v10, -8, v7
	scratch_load_dwordx4 v[10:13], v10, off
	v_mov_b32_e32 v103, s10
	ds_read_b128 v[104:107], v103
	v_add_u32_e32 v6, -1, v6
	s_add_i32 s10, s10, 16
	v_cmp_eq_u32_e32 vcc, 0, v6
	v_add_u32_e32 v7, 16, v7
	s_or_b64 s[2:3], vcc, s[2:3]
	s_waitcnt vmcnt(0) lgkmcnt(0)
	v_mul_f64 v[108:109], v[106:107], v[12:13]
	v_mul_f64 v[12:13], v[104:105], v[12:13]
	v_fma_f64 v[104:105], v[104:105], v[10:11], -v[108:109]
	v_fmac_f64_e32 v[12:13], v[106:107], v[10:11]
	v_add_f64 v[2:3], v[2:3], v[104:105]
	v_add_f64 v[4:5], v[4:5], v[12:13]
	s_andn2_b64 exec, exec, s[2:3]
	s_cbranch_execnz .LBB93_104
; %bb.105:
	s_or_b64 exec, exec, s[2:3]
.LBB93_106:
	s_or_b64 exec, exec, s[8:9]
	v_mov_b32_e32 v6, 0
	ds_read_b128 v[10:13], v6 offset:256
	s_waitcnt lgkmcnt(0)
	v_mul_f64 v[6:7], v[4:5], v[12:13]
	v_mul_f64 v[106:107], v[2:3], v[12:13]
	v_fma_f64 v[104:105], v[2:3], v[10:11], -v[6:7]
	v_fmac_f64_e32 v[106:107], v[4:5], v[10:11]
	scratch_store_dwordx4 off, v[104:107], off offset:256
.LBB93_107:
	s_or_b64 exec, exec, s[4:5]
	scratch_load_dwordx4 v[2:5], v88, off
	v_cmp_lt_u32_e64 s[2:3], 15, v0
	s_waitcnt vmcnt(0)
	ds_write_b128 v9, v[2:5]
	s_waitcnt lgkmcnt(0)
	; wave barrier
	s_waitcnt lgkmcnt(0)
	s_and_saveexec_b64 s[4:5], s[2:3]
	s_cbranch_execz .LBB93_115
; %bb.108:
	ds_read_b128 v[2:5], v9
	s_andn2_b64 vcc, exec, s[6:7]
	s_cbranch_vccnz .LBB93_110
; %bb.109:
	scratch_load_dwordx4 v[10:13], v8, off
	s_waitcnt vmcnt(0) lgkmcnt(0)
	v_mul_f64 v[6:7], v[4:5], v[12:13]
	v_mul_f64 v[12:13], v[2:3], v[12:13]
	v_fmac_f64_e32 v[12:13], v[4:5], v[10:11]
	v_fma_f64 v[2:3], v[2:3], v[10:11], -v[6:7]
	v_mov_b64_e32 v[4:5], v[12:13]
.LBB93_110:
	s_and_saveexec_b64 s[8:9], s[0:1]
	s_cbranch_execz .LBB93_114
; %bb.111:
	v_mov_b32_e32 v7, 0
	v_add_u32_e32 v6, -16, v0
	v_add_u32_e32 v7, 0x108, v7
	s_movk_i32 s10, 0x2e0
	s_mov_b64 s[0:1], 0
.LBB93_112:                             ; =>This Inner Loop Header: Depth=1
	v_add_u32_e32 v10, -8, v7
	scratch_load_dwordx4 v[10:13], v10, off
	v_mov_b32_e32 v103, s10
	ds_read_b128 v[104:107], v103
	v_add_u32_e32 v6, -1, v6
	s_add_i32 s10, s10, 16
	v_cmp_eq_u32_e32 vcc, 0, v6
	v_add_u32_e32 v7, 16, v7
	s_or_b64 s[0:1], vcc, s[0:1]
	s_waitcnt vmcnt(0) lgkmcnt(0)
	v_mul_f64 v[108:109], v[106:107], v[12:13]
	v_mul_f64 v[12:13], v[104:105], v[12:13]
	v_fma_f64 v[104:105], v[104:105], v[10:11], -v[108:109]
	v_fmac_f64_e32 v[12:13], v[106:107], v[10:11]
	v_add_f64 v[2:3], v[2:3], v[104:105]
	v_add_f64 v[4:5], v[4:5], v[12:13]
	s_andn2_b64 exec, exec, s[0:1]
	s_cbranch_execnz .LBB93_112
; %bb.113:
	s_or_b64 exec, exec, s[0:1]
.LBB93_114:
	s_or_b64 exec, exec, s[8:9]
	v_mov_b32_e32 v6, 0
	ds_read_b128 v[10:13], v6 offset:240
	s_waitcnt lgkmcnt(0)
	v_mul_f64 v[6:7], v[4:5], v[12:13]
	v_mul_f64 v[106:107], v[2:3], v[12:13]
	v_fma_f64 v[104:105], v[2:3], v[10:11], -v[6:7]
	v_fmac_f64_e32 v[106:107], v[4:5], v[10:11]
	scratch_store_dwordx4 off, v[104:107], off offset:240
.LBB93_115:
	s_or_b64 exec, exec, s[4:5]
	scratch_load_dwordx4 v[2:5], v89, off
	v_cmp_lt_u32_e64 s[0:1], 14, v0
	s_waitcnt vmcnt(0)
	ds_write_b128 v9, v[2:5]
	s_waitcnt lgkmcnt(0)
	; wave barrier
	s_waitcnt lgkmcnt(0)
	s_and_saveexec_b64 s[4:5], s[0:1]
	s_cbranch_execz .LBB93_123
; %bb.116:
	ds_read_b128 v[2:5], v9
	s_andn2_b64 vcc, exec, s[6:7]
	s_cbranch_vccnz .LBB93_118
; %bb.117:
	scratch_load_dwordx4 v[10:13], v8, off
	s_waitcnt vmcnt(0) lgkmcnt(0)
	v_mul_f64 v[6:7], v[4:5], v[12:13]
	v_mul_f64 v[12:13], v[2:3], v[12:13]
	v_fmac_f64_e32 v[12:13], v[4:5], v[10:11]
	v_fma_f64 v[2:3], v[2:3], v[10:11], -v[6:7]
	v_mov_b64_e32 v[4:5], v[12:13]
.LBB93_118:
	s_and_saveexec_b64 s[8:9], s[2:3]
	s_cbranch_execz .LBB93_122
; %bb.119:
	v_mov_b32_e32 v7, 0
	v_add_u32_e32 v6, -15, v0
	v_add_u32_e32 v7, 0xf8, v7
	s_movk_i32 s10, 0x2d0
	s_mov_b64 s[2:3], 0
.LBB93_120:                             ; =>This Inner Loop Header: Depth=1
	v_add_u32_e32 v10, -8, v7
	scratch_load_dwordx4 v[10:13], v10, off
	v_mov_b32_e32 v103, s10
	ds_read_b128 v[104:107], v103
	v_add_u32_e32 v6, -1, v6
	s_add_i32 s10, s10, 16
	v_cmp_eq_u32_e32 vcc, 0, v6
	v_add_u32_e32 v7, 16, v7
	s_or_b64 s[2:3], vcc, s[2:3]
	s_waitcnt vmcnt(0) lgkmcnt(0)
	v_mul_f64 v[108:109], v[106:107], v[12:13]
	v_mul_f64 v[12:13], v[104:105], v[12:13]
	v_fma_f64 v[104:105], v[104:105], v[10:11], -v[108:109]
	v_fmac_f64_e32 v[12:13], v[106:107], v[10:11]
	v_add_f64 v[2:3], v[2:3], v[104:105]
	v_add_f64 v[4:5], v[4:5], v[12:13]
	s_andn2_b64 exec, exec, s[2:3]
	s_cbranch_execnz .LBB93_120
; %bb.121:
	s_or_b64 exec, exec, s[2:3]
.LBB93_122:
	s_or_b64 exec, exec, s[8:9]
	v_mov_b32_e32 v6, 0
	ds_read_b128 v[10:13], v6 offset:224
	s_waitcnt lgkmcnt(0)
	v_mul_f64 v[6:7], v[4:5], v[12:13]
	v_mul_f64 v[106:107], v[2:3], v[12:13]
	v_fma_f64 v[104:105], v[2:3], v[10:11], -v[6:7]
	v_fmac_f64_e32 v[106:107], v[4:5], v[10:11]
	scratch_store_dwordx4 off, v[104:107], off offset:224
.LBB93_123:
	;; [unrolled: 63-line block ×15, first 2 shown]
	s_or_b64 exec, exec, s[2:3]
	scratch_load_dwordx4 v[2:5], off, off
	v_cmp_ne_u32_e32 vcc, 0, v0
	s_mov_b64 s[2:3], 0
	s_mov_b64 s[4:5], 0
                                        ; implicit-def: $vgpr6_vgpr7
                                        ; implicit-def: $vgpr10
	s_waitcnt vmcnt(0)
	ds_write_b128 v9, v[2:5]
	s_waitcnt lgkmcnt(0)
	; wave barrier
	s_waitcnt lgkmcnt(0)
	s_and_saveexec_b64 s[8:9], vcc
	s_cbranch_execz .LBB93_235
; %bb.228:
	ds_read_b128 v[2:5], v9
	s_andn2_b64 vcc, exec, s[6:7]
	s_cbranch_vccnz .LBB93_230
; %bb.229:
	scratch_load_dwordx4 v[10:13], v8, off
	s_waitcnt vmcnt(0) lgkmcnt(0)
	v_mul_f64 v[6:7], v[4:5], v[12:13]
	v_mul_f64 v[12:13], v[2:3], v[12:13]
	v_fmac_f64_e32 v[12:13], v[4:5], v[10:11]
	v_fma_f64 v[2:3], v[2:3], v[10:11], -v[6:7]
	v_mov_b64_e32 v[4:5], v[12:13]
.LBB93_230:
	s_and_saveexec_b64 s[4:5], s[0:1]
	s_cbranch_execz .LBB93_234
; %bb.231:
	v_mov_b32_e32 v7, 0
	v_add_u32_e32 v6, -1, v0
	v_add_u32_e32 v7, 24, v7
	s_movk_i32 s10, 0x1f0
	s_mov_b64 s[0:1], 0
.LBB93_232:                             ; =>This Inner Loop Header: Depth=1
	v_add_u32_e32 v10, -8, v7
	scratch_load_dwordx4 v[10:13], v10, off
	v_mov_b32_e32 v103, s10
	ds_read_b128 v[104:107], v103
	v_add_u32_e32 v6, -1, v6
	s_add_i32 s10, s10, 16
	v_cmp_eq_u32_e32 vcc, 0, v6
	v_add_u32_e32 v7, 16, v7
	s_or_b64 s[0:1], vcc, s[0:1]
	s_waitcnt vmcnt(0) lgkmcnt(0)
	v_mul_f64 v[108:109], v[106:107], v[12:13]
	v_mul_f64 v[12:13], v[104:105], v[12:13]
	v_fma_f64 v[104:105], v[104:105], v[10:11], -v[108:109]
	v_fmac_f64_e32 v[12:13], v[106:107], v[10:11]
	v_add_f64 v[2:3], v[2:3], v[104:105]
	v_add_f64 v[4:5], v[4:5], v[12:13]
	s_andn2_b64 exec, exec, s[0:1]
	s_cbranch_execnz .LBB93_232
; %bb.233:
	s_or_b64 exec, exec, s[0:1]
.LBB93_234:
	s_or_b64 exec, exec, s[4:5]
	v_mov_b32_e32 v6, 0
	ds_read_b128 v[104:107], v6
	v_mov_b32_e32 v6, 0
	v_or_b32_e32 v10, 8, v6
	s_mov_b64 s[4:5], exec
	s_waitcnt lgkmcnt(0)
	v_mul_f64 v[12:13], v[4:5], v[106:107]
	v_mul_f64 v[6:7], v[2:3], v[106:107]
	v_fma_f64 v[2:3], v[2:3], v[104:105], -v[12:13]
	v_fmac_f64_e32 v[6:7], v[4:5], v[104:105]
	scratch_store_dwordx2 off, v[2:3], off
.LBB93_235:
	s_or_b64 exec, exec, s[8:9]
	s_and_b64 vcc, exec, s[2:3]
	s_cbranch_vccnz .LBB93_237
	s_branch .LBB93_464
.LBB93_236:
	s_mov_b64 s[4:5], 0
                                        ; implicit-def: $vgpr6_vgpr7
                                        ; implicit-def: $vgpr10
	s_cbranch_execz .LBB93_464
.LBB93_237:
	scratch_load_dwordx4 v[2:5], v95, off
	v_cndmask_b32_e64 v6, 0, 1, s[6:7]
	v_cmp_eq_u32_e64 s[2:3], 0, v0
	v_cmp_ne_u32_e64 s[0:1], 1, v6
	s_waitcnt vmcnt(0)
	ds_write_b128 v9, v[2:5]
	s_waitcnt lgkmcnt(0)
	; wave barrier
	s_waitcnt lgkmcnt(0)
	s_and_saveexec_b64 s[6:7], s[2:3]
	s_cbranch_execz .LBB93_241
; %bb.238:
	ds_read_b128 v[2:5], v9
	s_and_b64 vcc, exec, s[0:1]
	s_cbranch_vccnz .LBB93_240
; %bb.239:
	scratch_load_dwordx4 v[10:13], v8, off
	s_waitcnt vmcnt(0) lgkmcnt(0)
	v_mul_f64 v[6:7], v[4:5], v[12:13]
	v_mul_f64 v[12:13], v[2:3], v[12:13]
	v_fmac_f64_e32 v[12:13], v[4:5], v[10:11]
	v_fma_f64 v[2:3], v[2:3], v[10:11], -v[6:7]
	v_mov_b64_e32 v[4:5], v[12:13]
.LBB93_240:
	v_mov_b32_e32 v6, 0
	ds_read_b128 v[10:13], v6 offset:16
	s_waitcnt lgkmcnt(0)
	v_mul_f64 v[6:7], v[4:5], v[12:13]
	v_mul_f64 v[106:107], v[2:3], v[12:13]
	v_fma_f64 v[104:105], v[2:3], v[10:11], -v[6:7]
	v_fmac_f64_e32 v[106:107], v[4:5], v[10:11]
	scratch_store_dwordx4 off, v[104:107], off offset:16
.LBB93_241:
	s_or_b64 exec, exec, s[6:7]
	scratch_load_dwordx4 v[2:5], v99, off
	v_cmp_gt_u32_e32 vcc, 2, v0
	s_waitcnt vmcnt(0)
	ds_write_b128 v9, v[2:5]
	s_waitcnt lgkmcnt(0)
	; wave barrier
	s_waitcnt lgkmcnt(0)
	s_and_saveexec_b64 s[6:7], vcc
	s_cbranch_execz .LBB93_247
; %bb.242:
	ds_read_b128 v[2:5], v9
	s_and_b64 vcc, exec, s[0:1]
	s_cbranch_vccnz .LBB93_244
; %bb.243:
	scratch_load_dwordx4 v[10:13], v8, off
	s_waitcnt vmcnt(0) lgkmcnt(0)
	v_mul_f64 v[6:7], v[4:5], v[12:13]
	v_mul_f64 v[12:13], v[2:3], v[12:13]
	v_fmac_f64_e32 v[12:13], v[4:5], v[10:11]
	v_fma_f64 v[2:3], v[2:3], v[10:11], -v[6:7]
	v_mov_b64_e32 v[4:5], v[12:13]
.LBB93_244:
	s_and_saveexec_b64 s[8:9], s[2:3]
	s_cbranch_execz .LBB93_246
; %bb.245:
	scratch_load_dwordx4 v[10:13], v8, off offset:16
	ds_read_b128 v[104:107], v9 offset:16
	s_waitcnt vmcnt(0) lgkmcnt(0)
	v_mul_f64 v[6:7], v[106:107], v[12:13]
	v_mul_f64 v[12:13], v[104:105], v[12:13]
	v_fma_f64 v[6:7], v[104:105], v[10:11], -v[6:7]
	v_fmac_f64_e32 v[12:13], v[106:107], v[10:11]
	v_add_f64 v[2:3], v[2:3], v[6:7]
	v_add_f64 v[4:5], v[4:5], v[12:13]
.LBB93_246:
	s_or_b64 exec, exec, s[8:9]
	v_mov_b32_e32 v6, 0
	ds_read_b128 v[10:13], v6 offset:32
	s_waitcnt lgkmcnt(0)
	v_mul_f64 v[6:7], v[4:5], v[12:13]
	v_mul_f64 v[106:107], v[2:3], v[12:13]
	v_fma_f64 v[104:105], v[2:3], v[10:11], -v[6:7]
	v_fmac_f64_e32 v[106:107], v[4:5], v[10:11]
	scratch_store_dwordx4 off, v[104:107], off offset:32
.LBB93_247:
	s_or_b64 exec, exec, s[6:7]
	scratch_load_dwordx4 v[2:5], v94, off
	v_cmp_gt_u32_e32 vcc, 3, v0
	s_waitcnt vmcnt(0)
	ds_write_b128 v9, v[2:5]
	s_waitcnt lgkmcnt(0)
	; wave barrier
	s_waitcnt lgkmcnt(0)
	s_and_saveexec_b64 s[6:7], vcc
	s_cbranch_execz .LBB93_255
; %bb.248:
	ds_read_b128 v[2:5], v9
	s_and_b64 vcc, exec, s[0:1]
	s_cbranch_vccnz .LBB93_250
; %bb.249:
	scratch_load_dwordx4 v[10:13], v8, off
	s_waitcnt vmcnt(0) lgkmcnt(0)
	v_mul_f64 v[6:7], v[4:5], v[12:13]
	v_mul_f64 v[12:13], v[2:3], v[12:13]
	v_fmac_f64_e32 v[12:13], v[4:5], v[10:11]
	v_fma_f64 v[2:3], v[2:3], v[10:11], -v[6:7]
	v_mov_b64_e32 v[4:5], v[12:13]
.LBB93_250:
	v_cmp_ne_u32_e32 vcc, 2, v0
	s_and_saveexec_b64 s[8:9], vcc
	s_cbranch_execz .LBB93_254
; %bb.251:
	scratch_load_dwordx4 v[10:13], v8, off offset:16
	ds_read_b128 v[104:107], v9 offset:16
	s_waitcnt vmcnt(0) lgkmcnt(0)
	v_mul_f64 v[6:7], v[106:107], v[12:13]
	v_mul_f64 v[12:13], v[104:105], v[12:13]
	v_fma_f64 v[6:7], v[104:105], v[10:11], -v[6:7]
	v_fmac_f64_e32 v[12:13], v[106:107], v[10:11]
	v_add_f64 v[2:3], v[2:3], v[6:7]
	v_add_f64 v[4:5], v[4:5], v[12:13]
	s_and_saveexec_b64 s[10:11], s[2:3]
	s_cbranch_execz .LBB93_253
; %bb.252:
	scratch_load_dwordx4 v[10:13], off, off offset:32
	v_mov_b32_e32 v6, 0
	ds_read_b128 v[104:107], v6 offset:512
	s_waitcnt vmcnt(0) lgkmcnt(0)
	v_mul_f64 v[6:7], v[104:105], v[12:13]
	v_mul_f64 v[12:13], v[106:107], v[12:13]
	v_fmac_f64_e32 v[6:7], v[106:107], v[10:11]
	v_fma_f64 v[10:11], v[104:105], v[10:11], -v[12:13]
	v_add_f64 v[4:5], v[4:5], v[6:7]
	v_add_f64 v[2:3], v[2:3], v[10:11]
.LBB93_253:
	s_or_b64 exec, exec, s[10:11]
.LBB93_254:
	s_or_b64 exec, exec, s[8:9]
	v_mov_b32_e32 v6, 0
	ds_read_b128 v[10:13], v6 offset:48
	s_waitcnt lgkmcnt(0)
	v_mul_f64 v[6:7], v[4:5], v[12:13]
	v_mul_f64 v[106:107], v[2:3], v[12:13]
	v_fma_f64 v[104:105], v[2:3], v[10:11], -v[6:7]
	v_fmac_f64_e32 v[106:107], v[4:5], v[10:11]
	scratch_store_dwordx4 off, v[104:107], off offset:48
.LBB93_255:
	s_or_b64 exec, exec, s[6:7]
	scratch_load_dwordx4 v[2:5], v100, off
	v_cmp_gt_u32_e32 vcc, 4, v0
	s_waitcnt vmcnt(0)
	ds_write_b128 v9, v[2:5]
	s_waitcnt lgkmcnt(0)
	; wave barrier
	s_waitcnt lgkmcnt(0)
	s_and_saveexec_b64 s[2:3], vcc
	s_cbranch_execz .LBB93_263
; %bb.256:
	ds_read_b128 v[2:5], v9
	s_and_b64 vcc, exec, s[0:1]
	s_cbranch_vccnz .LBB93_258
; %bb.257:
	scratch_load_dwordx4 v[10:13], v8, off
	s_waitcnt vmcnt(0) lgkmcnt(0)
	v_mul_f64 v[6:7], v[4:5], v[12:13]
	v_mul_f64 v[12:13], v[2:3], v[12:13]
	v_fmac_f64_e32 v[12:13], v[4:5], v[10:11]
	v_fma_f64 v[2:3], v[2:3], v[10:11], -v[6:7]
	v_mov_b64_e32 v[4:5], v[12:13]
.LBB93_258:
	v_cmp_ne_u32_e32 vcc, 3, v0
	s_and_saveexec_b64 s[6:7], vcc
	s_cbranch_execz .LBB93_262
; %bb.259:
	v_mov_b32_e32 v7, 0
	v_add_u32_e32 v6, 0x1f0, v14
	v_add3_u32 v7, v14, v7, 24
	s_mov_b64 s[8:9], 0
	v_mov_b32_e32 v10, v0
.LBB93_260:                             ; =>This Inner Loop Header: Depth=1
	v_add_u32_e32 v11, -8, v7
	scratch_load_dwordx4 v[104:107], v11, off
	ds_read_b128 v[108:111], v6
	v_add_u32_e32 v10, 1, v10
	v_cmp_lt_u32_e32 vcc, 2, v10
	v_add_u32_e32 v6, 16, v6
	v_add_u32_e32 v7, 16, v7
	s_or_b64 s[8:9], vcc, s[8:9]
	s_waitcnt vmcnt(0) lgkmcnt(0)
	v_mul_f64 v[12:13], v[110:111], v[106:107]
	v_mul_f64 v[106:107], v[108:109], v[106:107]
	v_fma_f64 v[12:13], v[108:109], v[104:105], -v[12:13]
	v_fmac_f64_e32 v[106:107], v[110:111], v[104:105]
	v_add_f64 v[2:3], v[2:3], v[12:13]
	v_add_f64 v[4:5], v[4:5], v[106:107]
	s_andn2_b64 exec, exec, s[8:9]
	s_cbranch_execnz .LBB93_260
; %bb.261:
	s_or_b64 exec, exec, s[8:9]
.LBB93_262:
	s_or_b64 exec, exec, s[6:7]
	v_mov_b32_e32 v6, 0
	ds_read_b128 v[10:13], v6 offset:64
	s_waitcnt lgkmcnt(0)
	v_mul_f64 v[6:7], v[4:5], v[12:13]
	v_mul_f64 v[106:107], v[2:3], v[12:13]
	v_fma_f64 v[104:105], v[2:3], v[10:11], -v[6:7]
	v_fmac_f64_e32 v[106:107], v[4:5], v[10:11]
	scratch_store_dwordx4 off, v[104:107], off offset:64
.LBB93_263:
	s_or_b64 exec, exec, s[2:3]
	scratch_load_dwordx4 v[2:5], v96, off
	v_cmp_gt_u32_e32 vcc, 5, v0
	s_waitcnt vmcnt(0)
	ds_write_b128 v9, v[2:5]
	s_waitcnt lgkmcnt(0)
	; wave barrier
	s_waitcnt lgkmcnt(0)
	s_and_saveexec_b64 s[2:3], vcc
	s_cbranch_execz .LBB93_271
; %bb.264:
	ds_read_b128 v[2:5], v9
	s_and_b64 vcc, exec, s[0:1]
	s_cbranch_vccnz .LBB93_266
; %bb.265:
	scratch_load_dwordx4 v[10:13], v8, off
	s_waitcnt vmcnt(0) lgkmcnt(0)
	v_mul_f64 v[6:7], v[4:5], v[12:13]
	v_mul_f64 v[12:13], v[2:3], v[12:13]
	v_fmac_f64_e32 v[12:13], v[4:5], v[10:11]
	v_fma_f64 v[2:3], v[2:3], v[10:11], -v[6:7]
	v_mov_b64_e32 v[4:5], v[12:13]
.LBB93_266:
	v_cmp_ne_u32_e32 vcc, 4, v0
	s_and_saveexec_b64 s[6:7], vcc
	s_cbranch_execz .LBB93_270
; %bb.267:
	v_mov_b32_e32 v7, 0
	v_add_u32_e32 v6, 0x1f0, v14
	v_add3_u32 v7, v14, v7, 24
	s_mov_b64 s[8:9], 0
	v_mov_b32_e32 v10, v0
.LBB93_268:                             ; =>This Inner Loop Header: Depth=1
	v_add_u32_e32 v11, -8, v7
	scratch_load_dwordx4 v[104:107], v11, off
	ds_read_b128 v[108:111], v6
	v_add_u32_e32 v10, 1, v10
	v_cmp_lt_u32_e32 vcc, 3, v10
	v_add_u32_e32 v6, 16, v6
	v_add_u32_e32 v7, 16, v7
	s_or_b64 s[8:9], vcc, s[8:9]
	s_waitcnt vmcnt(0) lgkmcnt(0)
	v_mul_f64 v[12:13], v[110:111], v[106:107]
	v_mul_f64 v[106:107], v[108:109], v[106:107]
	v_fma_f64 v[12:13], v[108:109], v[104:105], -v[12:13]
	v_fmac_f64_e32 v[106:107], v[110:111], v[104:105]
	v_add_f64 v[2:3], v[2:3], v[12:13]
	v_add_f64 v[4:5], v[4:5], v[106:107]
	s_andn2_b64 exec, exec, s[8:9]
	s_cbranch_execnz .LBB93_268
; %bb.269:
	s_or_b64 exec, exec, s[8:9]
.LBB93_270:
	s_or_b64 exec, exec, s[6:7]
	v_mov_b32_e32 v6, 0
	ds_read_b128 v[10:13], v6 offset:80
	s_waitcnt lgkmcnt(0)
	v_mul_f64 v[6:7], v[4:5], v[12:13]
	v_mul_f64 v[106:107], v[2:3], v[12:13]
	v_fma_f64 v[104:105], v[2:3], v[10:11], -v[6:7]
	v_fmac_f64_e32 v[106:107], v[4:5], v[10:11]
	scratch_store_dwordx4 off, v[104:107], off offset:80
.LBB93_271:
	;; [unrolled: 63-line block ×24, first 2 shown]
	s_or_b64 exec, exec, s[2:3]
	scratch_load_dwordx4 v[2:5], v15, off
	v_cmp_gt_u32_e64 s[2:3], 28, v0
	s_waitcnt vmcnt(0)
	ds_write_b128 v9, v[2:5]
	s_waitcnt lgkmcnt(0)
	; wave barrier
	s_waitcnt lgkmcnt(0)
	s_and_saveexec_b64 s[6:7], s[2:3]
	s_cbranch_execz .LBB93_455
; %bb.448:
	ds_read_b128 v[2:5], v9
	s_and_b64 vcc, exec, s[0:1]
	s_cbranch_vccnz .LBB93_450
; %bb.449:
	scratch_load_dwordx4 v[10:13], v8, off
	s_waitcnt vmcnt(0) lgkmcnt(0)
	v_mul_f64 v[6:7], v[4:5], v[12:13]
	v_mul_f64 v[12:13], v[2:3], v[12:13]
	v_fmac_f64_e32 v[12:13], v[4:5], v[10:11]
	v_fma_f64 v[2:3], v[2:3], v[10:11], -v[6:7]
	v_mov_b64_e32 v[4:5], v[12:13]
.LBB93_450:
	v_cmp_ne_u32_e32 vcc, 27, v0
	s_and_saveexec_b64 s[8:9], vcc
	s_cbranch_execz .LBB93_454
; %bb.451:
	v_mov_b32_e32 v7, 0
	v_add_u32_e32 v6, 0x1f0, v14
	v_add3_u32 v7, v14, v7, 24
	s_mov_b64 s[10:11], 0
	v_mov_b32_e32 v10, v0
.LBB93_452:                             ; =>This Inner Loop Header: Depth=1
	v_add_u32_e32 v11, -8, v7
	scratch_load_dwordx4 v[104:107], v11, off
	ds_read_b128 v[108:111], v6
	v_add_u32_e32 v10, 1, v10
	v_cmp_lt_u32_e32 vcc, 26, v10
	v_add_u32_e32 v6, 16, v6
	v_add_u32_e32 v7, 16, v7
	s_or_b64 s[10:11], vcc, s[10:11]
	s_waitcnt vmcnt(0) lgkmcnt(0)
	v_mul_f64 v[12:13], v[110:111], v[106:107]
	v_mul_f64 v[106:107], v[108:109], v[106:107]
	v_fma_f64 v[12:13], v[108:109], v[104:105], -v[12:13]
	v_fmac_f64_e32 v[106:107], v[110:111], v[104:105]
	v_add_f64 v[2:3], v[2:3], v[12:13]
	v_add_f64 v[4:5], v[4:5], v[106:107]
	s_andn2_b64 exec, exec, s[10:11]
	s_cbranch_execnz .LBB93_452
; %bb.453:
	s_or_b64 exec, exec, s[10:11]
.LBB93_454:
	s_or_b64 exec, exec, s[8:9]
	v_mov_b32_e32 v6, 0
	ds_read_b128 v[10:13], v6 offset:448
	s_waitcnt lgkmcnt(0)
	v_mul_f64 v[6:7], v[4:5], v[12:13]
	v_mul_f64 v[106:107], v[2:3], v[12:13]
	v_fma_f64 v[104:105], v[2:3], v[10:11], -v[6:7]
	v_fmac_f64_e32 v[106:107], v[4:5], v[10:11]
	scratch_store_dwordx4 off, v[104:107], off offset:448
.LBB93_455:
	s_or_b64 exec, exec, s[6:7]
	scratch_load_dwordx4 v[2:5], v1, off
	v_cmp_ne_u32_e32 vcc, 29, v0
                                        ; implicit-def: $vgpr6_vgpr7
                                        ; implicit-def: $vgpr10
	s_waitcnt vmcnt(0)
	ds_write_b128 v9, v[2:5]
	s_waitcnt lgkmcnt(0)
	; wave barrier
	s_waitcnt lgkmcnt(0)
	s_and_saveexec_b64 s[6:7], vcc
	s_cbranch_execz .LBB93_463
; %bb.456:
	ds_read_b128 v[2:5], v9
	s_and_b64 vcc, exec, s[0:1]
	s_cbranch_vccnz .LBB93_458
; %bb.457:
	scratch_load_dwordx4 v[6:9], v8, off
	s_waitcnt vmcnt(0) lgkmcnt(0)
	v_mul_f64 v[10:11], v[4:5], v[8:9]
	v_mul_f64 v[8:9], v[2:3], v[8:9]
	v_fmac_f64_e32 v[8:9], v[4:5], v[6:7]
	v_fma_f64 v[2:3], v[2:3], v[6:7], -v[10:11]
	v_mov_b64_e32 v[4:5], v[8:9]
.LBB93_458:
	s_and_saveexec_b64 s[0:1], s[2:3]
	s_cbranch_execz .LBB93_462
; %bb.459:
	v_mov_b32_e32 v7, 0
	v_add_u32_e32 v6, 0x1f0, v14
	v_add3_u32 v7, v14, v7, 24
	s_mov_b64 s[2:3], 0
.LBB93_460:                             ; =>This Inner Loop Header: Depth=1
	v_add_u32_e32 v8, -8, v7
	scratch_load_dwordx4 v[8:11], v8, off
	ds_read_b128 v[104:107], v6
	v_add_u32_e32 v0, 1, v0
	v_cmp_lt_u32_e32 vcc, 27, v0
	v_add_u32_e32 v6, 16, v6
	v_add_u32_e32 v7, 16, v7
	s_or_b64 s[2:3], vcc, s[2:3]
	s_waitcnt vmcnt(0) lgkmcnt(0)
	v_mul_f64 v[12:13], v[106:107], v[10:11]
	v_mul_f64 v[10:11], v[104:105], v[10:11]
	v_fma_f64 v[12:13], v[104:105], v[8:9], -v[12:13]
	v_fmac_f64_e32 v[10:11], v[106:107], v[8:9]
	v_add_f64 v[2:3], v[2:3], v[12:13]
	v_add_f64 v[4:5], v[4:5], v[10:11]
	s_andn2_b64 exec, exec, s[2:3]
	s_cbranch_execnz .LBB93_460
; %bb.461:
	s_or_b64 exec, exec, s[2:3]
.LBB93_462:
	s_or_b64 exec, exec, s[0:1]
	v_mov_b32_e32 v0, 0
	ds_read_b128 v[104:107], v0 offset:464
	v_mov_b32_e32 v0, 0
	v_add_u32_e32 v10, 0x1d8, v0
	s_or_b64 s[4:5], s[4:5], exec
	s_waitcnt lgkmcnt(0)
	v_mul_f64 v[8:9], v[4:5], v[106:107]
	v_mul_f64 v[6:7], v[2:3], v[106:107]
	v_fma_f64 v[2:3], v[2:3], v[104:105], -v[8:9]
	v_fmac_f64_e32 v[6:7], v[4:5], v[104:105]
	scratch_store_dwordx2 off, v[2:3], off offset:464
.LBB93_463:
	s_or_b64 exec, exec, s[6:7]
.LBB93_464:
	s_and_saveexec_b64 s[0:1], s[4:5]
	s_cbranch_execz .LBB93_466
; %bb.465:
	scratch_store_dwordx2 v10, v[6:7], off
.LBB93_466:
	s_or_b64 exec, exec, s[0:1]
	scratch_load_dwordx4 v[2:5], off, off
	scratch_load_dwordx4 v[6:9], v95, off
	scratch_load_dwordx4 v[10:13], v99, off
	scratch_load_dwordx4 v[104:107], v94, off
	scratch_load_dwordx4 v[108:111], v100, off
	scratch_load_dwordx4 v[112:115], v96, off
	scratch_load_dwordx4 v[116:119], v102, off
	scratch_load_dwordx4 v[120:123], v98, off
	scratch_load_dwordx4 v[124:127], v101, off
                                        ; kill: killed $vgpr99
                                        ; kill: killed $vgpr100
                                        ; kill: killed $vgpr102
                                        ; kill: killed $vgpr95
                                        ; kill: killed $vgpr101
                                        ; kill: killed $vgpr94
                                        ; kill: killed $vgpr96
                                        ; kill: killed $vgpr98
	s_nop 0
	scratch_load_dwordx4 v[94:97], v97, off
	s_waitcnt vmcnt(9)
	global_store_dwordx4 v[40:41], v[2:5], off
	scratch_load_dwordx4 v[2:5], v92, off
	s_nop 0
	scratch_load_dwordx4 v[98:101], v93, off
	s_waitcnt vmcnt(11)
	global_store_dwordx4 v[38:39], v[6:9], off
	scratch_load_dwordx4 v[6:9], v90, off
	s_nop 0
	scratch_load_dwordx4 v[38:41], v91, off
	s_waitcnt vmcnt(13)
	global_store_dwordx4 v[28:29], v[10:13], off
	scratch_load_dwordx4 v[10:13], v89, off
	s_nop 0
	scratch_load_dwordx4 v[90:93], v88, off
	s_waitcnt vmcnt(15)
	global_store_dwordx4 v[34:35], v[104:107], off
	scratch_load_dwordx4 v[102:105], v87, off
	s_nop 0
	scratch_load_dwordx4 v[128:131], v86, off
	s_waitcnt vmcnt(17)
	global_store_dwordx4 v[24:25], v[108:111], off
	scratch_load_dwordx4 v[86:89], v85, off
	s_nop 0
	scratch_load_dwordx4 v[106:109], v84, off
	s_waitcnt vmcnt(19)
	global_store_dwordx4 v[30:31], v[112:115], off
	scratch_load_dwordx4 v[28:31], v82, off
	s_nop 0
	scratch_load_dwordx4 v[110:113], v83, off
	s_waitcnt vmcnt(21)
	global_store_dwordx4 v[20:21], v[116:119], off
	scratch_load_dwordx4 v[82:85], v80, off
	s_nop 0
	scratch_load_dwordx4 v[114:117], v81, off
	s_waitcnt vmcnt(23)
	global_store_dwordx4 v[26:27], v[120:123], off
	scratch_load_dwordx4 v[24:27], v78, off
	s_nop 0
	scratch_load_dwordx4 v[118:121], v79, off
	s_waitcnt vmcnt(25)
	global_store_dwordx4 v[18:19], v[124:127], off
	scratch_load_dwordx4 v[18:21], v76, off
	s_nop 0
	scratch_load_dwordx4 v[78:81], v77, off
	s_waitcnt vmcnt(27)
	global_store_dwordx4 v[22:23], v[94:97], off
	scratch_load_dwordx4 v[94:97], v15, off
	s_nop 0
	scratch_load_dwordx4 v[122:125], v1, off
	s_waitcnt vmcnt(28)
	global_store_dwordx4 v[16:17], v[2:5], off
	s_waitcnt vmcnt(28)
	global_store_dwordx4 v[32:33], v[98:101], off
	;; [unrolled: 2-line block ×20, first 2 shown]
.LBB93_467:
	s_endpgm
	.section	.rodata,"a",@progbits
	.p2align	6, 0x0
	.amdhsa_kernel _ZN9rocsolver6v33100L18trti2_kernel_smallILi30E19rocblas_complex_numIdEPKPS3_EEv13rocblas_fill_17rocblas_diagonal_T1_iil
		.amdhsa_group_segment_fixed_size 960
		.amdhsa_private_segment_fixed_size 496
		.amdhsa_kernarg_size 32
		.amdhsa_user_sgpr_count 2
		.amdhsa_user_sgpr_dispatch_ptr 0
		.amdhsa_user_sgpr_queue_ptr 0
		.amdhsa_user_sgpr_kernarg_segment_ptr 1
		.amdhsa_user_sgpr_dispatch_id 0
		.amdhsa_user_sgpr_kernarg_preload_length 0
		.amdhsa_user_sgpr_kernarg_preload_offset 0
		.amdhsa_user_sgpr_private_segment_size 0
		.amdhsa_uses_dynamic_stack 0
		.amdhsa_enable_private_segment 1
		.amdhsa_system_sgpr_workgroup_id_x 1
		.amdhsa_system_sgpr_workgroup_id_y 0
		.amdhsa_system_sgpr_workgroup_id_z 0
		.amdhsa_system_sgpr_workgroup_info 0
		.amdhsa_system_vgpr_workitem_id 0
		.amdhsa_next_free_vgpr 132
		.amdhsa_next_free_sgpr 12
		.amdhsa_accum_offset 132
		.amdhsa_reserve_vcc 1
		.amdhsa_float_round_mode_32 0
		.amdhsa_float_round_mode_16_64 0
		.amdhsa_float_denorm_mode_32 3
		.amdhsa_float_denorm_mode_16_64 3
		.amdhsa_dx10_clamp 1
		.amdhsa_ieee_mode 1
		.amdhsa_fp16_overflow 0
		.amdhsa_tg_split 0
		.amdhsa_exception_fp_ieee_invalid_op 0
		.amdhsa_exception_fp_denorm_src 0
		.amdhsa_exception_fp_ieee_div_zero 0
		.amdhsa_exception_fp_ieee_overflow 0
		.amdhsa_exception_fp_ieee_underflow 0
		.amdhsa_exception_fp_ieee_inexact 0
		.amdhsa_exception_int_div_zero 0
	.end_amdhsa_kernel
	.section	.text._ZN9rocsolver6v33100L18trti2_kernel_smallILi30E19rocblas_complex_numIdEPKPS3_EEv13rocblas_fill_17rocblas_diagonal_T1_iil,"axG",@progbits,_ZN9rocsolver6v33100L18trti2_kernel_smallILi30E19rocblas_complex_numIdEPKPS3_EEv13rocblas_fill_17rocblas_diagonal_T1_iil,comdat
.Lfunc_end93:
	.size	_ZN9rocsolver6v33100L18trti2_kernel_smallILi30E19rocblas_complex_numIdEPKPS3_EEv13rocblas_fill_17rocblas_diagonal_T1_iil, .Lfunc_end93-_ZN9rocsolver6v33100L18trti2_kernel_smallILi30E19rocblas_complex_numIdEPKPS3_EEv13rocblas_fill_17rocblas_diagonal_T1_iil
                                        ; -- End function
	.section	.AMDGPU.csdata,"",@progbits
; Kernel info:
; codeLenInByte = 19664
; NumSgprs: 18
; NumVgprs: 132
; NumAgprs: 0
; TotalNumVgprs: 132
; ScratchSize: 496
; MemoryBound: 0
; FloatMode: 240
; IeeeMode: 1
; LDSByteSize: 960 bytes/workgroup (compile time only)
; SGPRBlocks: 2
; VGPRBlocks: 16
; NumSGPRsForWavesPerEU: 18
; NumVGPRsForWavesPerEU: 132
; AccumOffset: 132
; Occupancy: 3
; WaveLimiterHint : 1
; COMPUTE_PGM_RSRC2:SCRATCH_EN: 1
; COMPUTE_PGM_RSRC2:USER_SGPR: 2
; COMPUTE_PGM_RSRC2:TRAP_HANDLER: 0
; COMPUTE_PGM_RSRC2:TGID_X_EN: 1
; COMPUTE_PGM_RSRC2:TGID_Y_EN: 0
; COMPUTE_PGM_RSRC2:TGID_Z_EN: 0
; COMPUTE_PGM_RSRC2:TIDIG_COMP_CNT: 0
; COMPUTE_PGM_RSRC3_GFX90A:ACCUM_OFFSET: 32
; COMPUTE_PGM_RSRC3_GFX90A:TG_SPLIT: 0
	.section	.text._ZN9rocsolver6v33100L18trti2_kernel_smallILi31E19rocblas_complex_numIdEPKPS3_EEv13rocblas_fill_17rocblas_diagonal_T1_iil,"axG",@progbits,_ZN9rocsolver6v33100L18trti2_kernel_smallILi31E19rocblas_complex_numIdEPKPS3_EEv13rocblas_fill_17rocblas_diagonal_T1_iil,comdat
	.globl	_ZN9rocsolver6v33100L18trti2_kernel_smallILi31E19rocblas_complex_numIdEPKPS3_EEv13rocblas_fill_17rocblas_diagonal_T1_iil ; -- Begin function _ZN9rocsolver6v33100L18trti2_kernel_smallILi31E19rocblas_complex_numIdEPKPS3_EEv13rocblas_fill_17rocblas_diagonal_T1_iil
	.p2align	8
	.type	_ZN9rocsolver6v33100L18trti2_kernel_smallILi31E19rocblas_complex_numIdEPKPS3_EEv13rocblas_fill_17rocblas_diagonal_T1_iil,@function
_ZN9rocsolver6v33100L18trti2_kernel_smallILi31E19rocblas_complex_numIdEPKPS3_EEv13rocblas_fill_17rocblas_diagonal_T1_iil: ; @_ZN9rocsolver6v33100L18trti2_kernel_smallILi31E19rocblas_complex_numIdEPKPS3_EEv13rocblas_fill_17rocblas_diagonal_T1_iil
; %bb.0:
	v_cmp_gt_u32_e32 vcc, 31, v0
	s_and_saveexec_b64 s[4:5], vcc
	s_cbranch_execz .LBB94_483
; %bb.1:
	s_load_dwordx2 s[8:9], s[0:1], 0x10
	s_load_dwordx4 s[4:7], s[0:1], 0x0
	s_ashr_i32 s3, s2, 31
	s_lshl_b64 s[0:1], s[2:3], 3
	v_lshlrev_b32_e32 v62, 4, v0
	s_waitcnt lgkmcnt(0)
	s_ashr_i32 s3, s8, 31
	s_add_u32 s0, s6, s0
	s_addc_u32 s1, s7, s1
	s_load_dwordx2 s[0:1], s[0:1], 0x0
	s_mov_b32 s2, s8
	s_lshl_b64 s[2:3], s[2:3], 4
	v_mov_b32_e32 v63, 0
	v_mov_b32_e32 v1, 0
	s_waitcnt lgkmcnt(0)
	s_add_u32 s0, s0, s2
	s_addc_u32 s1, s1, s3
	v_lshl_add_u64 v[14:15], s[0:1], 0, v[62:63]
	s_ashr_i32 s3, s9, 31
	s_mov_b32 s2, s9
	v_lshl_add_u64 v[16:17], s[2:3], 4, v[14:15]
	s_add_i32 s2, s9, s9
	v_add_u32_e32 v20, s2, v0
	v_add_u32_e32 v22, s9, v20
	;; [unrolled: 1-line block ×6, first 2 shown]
	v_ashrrev_i32_e32 v21, 31, v20
	v_ashrrev_i32_e32 v23, 31, v22
	;; [unrolled: 1-line block ×6, first 2 shown]
	v_lshl_add_u64 v[18:19], v[20:21], 4, s[0:1]
	v_lshl_add_u64 v[20:21], v[22:23], 4, s[0:1]
	;; [unrolled: 1-line block ×6, first 2 shown]
	v_add_u32_e32 v30, s9, v30
	v_add_u32_e32 v32, s9, v30
	;; [unrolled: 1-line block ×6, first 2 shown]
	v_ashrrev_i32_e32 v43, 31, v42
	v_lshl_add_u64 v[40:41], v[42:43], 4, s[0:1]
	v_add_u32_e32 v42, s9, v42
	v_add_u32_e32 v44, s9, v42
	v_ashrrev_i32_e32 v33, 31, v32
	v_ashrrev_i32_e32 v37, 31, v36
	v_ashrrev_i32_e32 v45, 31, v44
	v_add_u32_e32 v48, s9, v44
	v_ashrrev_i32_e32 v31, 31, v30
	v_lshl_add_u64 v[32:33], v[32:33], 4, s[0:1]
	v_ashrrev_i32_e32 v35, 31, v34
	v_lshl_add_u64 v[36:37], v[36:37], 4, s[0:1]
	v_ashrrev_i32_e32 v39, 31, v38
	v_ashrrev_i32_e32 v43, 31, v42
	v_lshl_add_u64 v[44:45], v[44:45], 4, s[0:1]
	v_ashrrev_i32_e32 v49, 31, v48
	global_load_dwordx4 v[2:5], v62, s[0:1]
	global_load_dwordx4 v[6:9], v[16:17], off
	global_load_dwordx4 v[10:13], v[18:19], off
	;; [unrolled: 1-line block ×6, first 2 shown]
	v_lshl_add_u64 v[30:31], v[30:31], 4, s[0:1]
	global_load_dwordx4 v[76:79], v[28:29], off
	global_load_dwordx4 v[80:83], v[30:31], off
	v_lshl_add_u64 v[34:35], v[34:35], 4, s[0:1]
	global_load_dwordx4 v[84:87], v[32:33], off
	global_load_dwordx4 v[88:91], v[34:35], off
	;; [unrolled: 3-line block ×5, first 2 shown]
	v_add_u32_e32 v48, s9, v48
	v_add_u32_e32 v50, s9, v48
	v_ashrrev_i32_e32 v49, 31, v48
	v_add_u32_e32 v52, s9, v50
	v_lshl_add_u64 v[48:49], v[48:49], 4, s[0:1]
	v_ashrrev_i32_e32 v51, 31, v50
	v_add_u32_e32 v60, s9, v52
	v_lshl_add_u64 v[50:51], v[50:51], 4, s[0:1]
	global_load_dwordx4 v[116:119], v[48:49], off
	global_load_dwordx4 v[120:123], v[50:51], off
	v_ashrrev_i32_e32 v61, 31, v60
	v_lshl_add_u64 v[54:55], v[60:61], 4, s[0:1]
	v_ashrrev_i32_e32 v53, 31, v52
	v_lshl_add_u64 v[52:53], v[52:53], 4, s[0:1]
	s_cmpk_lg_i32 s5, 0x84
	s_cselect_b64 s[6:7], -1, 0
	s_cmpk_eq_i32 s5, 0x84
	s_waitcnt vmcnt(18)
	scratch_store_dwordx4 off, v[2:5], off
	s_waitcnt vmcnt(18)
	scratch_store_dwordx4 off, v[6:9], off offset:16
	s_waitcnt vmcnt(18)
	scratch_store_dwordx4 off, v[10:13], off offset:32
	s_waitcnt vmcnt(18)
	scratch_store_dwordx4 off, v[56:59], off offset:48
	s_waitcnt vmcnt(18)
	scratch_store_dwordx4 off, v[64:67], off offset:64
	s_waitcnt vmcnt(18)
	scratch_store_dwordx4 off, v[68:71], off offset:80
	s_waitcnt vmcnt(18)
	scratch_store_dwordx4 off, v[72:75], off offset:96
	s_waitcnt vmcnt(18)
	scratch_store_dwordx4 off, v[76:79], off offset:112
	s_waitcnt vmcnt(18)
	scratch_store_dwordx4 off, v[80:83], off offset:128
	s_waitcnt vmcnt(18)
	scratch_store_dwordx4 off, v[84:87], off offset:144
	s_waitcnt vmcnt(18)
	scratch_store_dwordx4 off, v[88:91], off offset:160
	s_waitcnt vmcnt(18)
	scratch_store_dwordx4 off, v[92:95], off offset:176
	s_waitcnt vmcnt(18)
	scratch_store_dwordx4 off, v[96:99], off offset:192
	s_waitcnt vmcnt(18)
	scratch_store_dwordx4 off, v[100:103], off offset:208
	s_waitcnt vmcnt(18)
	scratch_store_dwordx4 off, v[104:107], off offset:224
	s_waitcnt vmcnt(18)
	scratch_store_dwordx4 off, v[108:111], off offset:240
	s_waitcnt vmcnt(18)
	scratch_store_dwordx4 off, v[112:115], off offset:256
	v_add_u32_e32 v10, s9, v60
	v_add_u32_e32 v60, s9, v10
	;; [unrolled: 1-line block ×9, first 2 shown]
	v_ashrrev_i32_e32 v61, 31, v60
	v_ashrrev_i32_e32 v65, 31, v64
	;; [unrolled: 1-line block ×9, first 2 shown]
	v_lshl_add_u64 v[58:59], v[60:61], 4, s[0:1]
	v_lshl_add_u64 v[60:61], v[64:65], 4, s[0:1]
	;; [unrolled: 1-line block ×8, first 2 shown]
	v_add_u32_e32 v76, s9, v76
	v_lshl_add_u64 v[56:57], v[10:11], 4, s[0:1]
	v_ashrrev_i32_e32 v77, 31, v76
	global_load_dwordx4 v[2:5], v[52:53], off
	global_load_dwordx4 v[6:9], v[54:55], off
	;; [unrolled: 1-line block ×10, first 2 shown]
	v_lshl_add_u64 v[76:77], v[76:77], 4, s[0:1]
	global_load_dwordx4 v[106:109], v[74:75], off
	global_load_dwordx4 v[110:113], v[76:77], off
	s_waitcnt vmcnt(30)
	scratch_store_dwordx4 off, v[116:119], off offset:272
	s_waitcnt vmcnt(30)
	scratch_store_dwordx4 off, v[120:123], off offset:288
	;; [unrolled: 2-line block ×14, first 2 shown]
	s_cbranch_scc1 .LBB94_7
; %bb.2:
	scratch_load_dwordx4 v[2:5], v62, off
                                        ; implicit-def: $vgpr10_vgpr11
	s_waitcnt vmcnt(0)
	v_xor_b32_e32 v7, 0x80000000, v3
	v_cmp_gt_f64_e32 vcc, 0, v[2:3]
	v_xor_b32_e32 v8, 0x80000000, v5
	v_mov_b32_e32 v6, v2
	v_cndmask_b32_e32 v7, v3, v7, vcc
	v_cmp_gt_f64_e32 vcc, 0, v[4:5]
	s_nop 1
	v_cndmask_b32_e32 v9, v5, v8, vcc
	v_mov_b32_e32 v8, v4
	v_cmp_ngt_f64_e32 vcc, v[6:7], v[8:9]
                                        ; implicit-def: $vgpr6_vgpr7
	s_and_saveexec_b64 s[0:1], vcc
	s_xor_b64 s[0:1], exec, s[0:1]
	s_cbranch_execz .LBB94_4
; %bb.3:
	v_div_scale_f64 v[6:7], s[2:3], v[4:5], v[4:5], v[2:3]
	v_rcp_f64_e32 v[8:9], v[6:7]
	v_div_scale_f64 v[10:11], vcc, v[2:3], v[4:5], v[2:3]
	v_fma_f64 v[12:13], -v[6:7], v[8:9], 1.0
	v_fmac_f64_e32 v[8:9], v[8:9], v[12:13]
	v_fma_f64 v[12:13], -v[6:7], v[8:9], 1.0
	v_fmac_f64_e32 v[8:9], v[8:9], v[12:13]
	v_mul_f64 v[12:13], v[10:11], v[8:9]
	v_fma_f64 v[6:7], -v[6:7], v[12:13], v[10:11]
	v_div_fmas_f64 v[6:7], v[6:7], v[8:9], v[12:13]
	v_div_fixup_f64 v[6:7], v[6:7], v[4:5], v[2:3]
	v_fmac_f64_e32 v[4:5], v[2:3], v[6:7]
	v_div_scale_f64 v[2:3], s[2:3], v[4:5], v[4:5], 1.0
	v_rcp_f64_e32 v[8:9], v[2:3]
	s_nop 0
	v_fma_f64 v[10:11], -v[2:3], v[8:9], 1.0
	v_fmac_f64_e32 v[8:9], v[8:9], v[10:11]
	v_fma_f64 v[10:11], -v[2:3], v[8:9], 1.0
	v_fmac_f64_e32 v[8:9], v[8:9], v[10:11]
	v_div_scale_f64 v[10:11], vcc, 1.0, v[4:5], 1.0
	v_mul_f64 v[12:13], v[10:11], v[8:9]
	v_fma_f64 v[2:3], -v[2:3], v[12:13], v[10:11]
	s_nop 1
	v_div_fmas_f64 v[2:3], v[2:3], v[8:9], v[12:13]
	v_div_fixup_f64 v[8:9], v[2:3], v[4:5], 1.0
	v_mul_f64 v[6:7], v[6:7], v[8:9]
	v_xor_b32_e32 v9, 0x80000000, v9
	v_xor_b32_e32 v11, 0x80000000, v7
	v_mov_b32_e32 v10, v6
                                        ; implicit-def: $vgpr2_vgpr3
.LBB94_4:
	s_or_saveexec_b64 s[0:1], s[0:1]
	v_add_u32_e32 v12, 0, v62
	s_xor_b64 exec, exec, s[0:1]
	s_cbranch_execz .LBB94_6
; %bb.5:
	v_div_scale_f64 v[6:7], s[2:3], v[2:3], v[2:3], v[4:5]
	v_rcp_f64_e32 v[8:9], v[6:7]
	v_div_scale_f64 v[10:11], vcc, v[4:5], v[2:3], v[4:5]
	v_fma_f64 v[78:79], -v[6:7], v[8:9], 1.0
	v_fmac_f64_e32 v[8:9], v[8:9], v[78:79]
	v_fma_f64 v[78:79], -v[6:7], v[8:9], 1.0
	v_fmac_f64_e32 v[8:9], v[8:9], v[78:79]
	v_mul_f64 v[78:79], v[10:11], v[8:9]
	v_fma_f64 v[6:7], -v[6:7], v[78:79], v[10:11]
	v_div_fmas_f64 v[6:7], v[6:7], v[8:9], v[78:79]
	v_div_fixup_f64 v[8:9], v[6:7], v[2:3], v[4:5]
	v_fmac_f64_e32 v[2:3], v[4:5], v[8:9]
	v_div_scale_f64 v[4:5], s[2:3], v[2:3], v[2:3], 1.0
	v_rcp_f64_e32 v[6:7], v[4:5]
	s_nop 0
	v_fma_f64 v[10:11], -v[4:5], v[6:7], 1.0
	v_fmac_f64_e32 v[6:7], v[6:7], v[10:11]
	v_fma_f64 v[10:11], -v[4:5], v[6:7], 1.0
	v_fmac_f64_e32 v[6:7], v[6:7], v[10:11]
	v_div_scale_f64 v[10:11], vcc, 1.0, v[2:3], 1.0
	v_mul_f64 v[78:79], v[10:11], v[6:7]
	v_fma_f64 v[4:5], -v[4:5], v[78:79], v[10:11]
	s_nop 1
	v_div_fmas_f64 v[4:5], v[4:5], v[6:7], v[78:79]
	v_div_fixup_f64 v[6:7], v[4:5], v[2:3], 1.0
	v_xor_b32_e32 v11, 0x80000000, v7
	v_mov_b32_e32 v10, v6
	v_mul_f64 v[8:9], v[8:9], -v[6:7]
.LBB94_6:
	s_or_b64 exec, exec, s[0:1]
	scratch_store_dwordx4 v12, v[6:9], off
	s_nop 1
	v_xor_b32_e32 v9, 0x80000000, v9
	s_branch .LBB94_8
.LBB94_7:
	v_mov_b64_e32 v[8:9], 0
	v_mov_b64_e32 v[10:11], -1.0
.LBB94_8:
	v_add_u32_e32 v97, 16, v1
	v_add_u32_e32 v100, 32, v1
	;; [unrolled: 1-line block ×30, first 2 shown]
	v_mov_b32_e32 v12, v8
	v_mov_b32_e32 v13, v9
	s_cmpk_eq_i32 s4, 0x79
	v_add_u32_e32 v9, 0x1f0, v62
	v_add_u32_e32 v8, 0, v62
	ds_write_b128 v62, v[10:13]
	s_cbranch_scc1 .LBB94_244
; %bb.9:
	scratch_load_dwordx4 v[2:5], v63, off
	v_cmp_eq_u32_e64 s[0:1], 30, v0
	s_waitcnt vmcnt(0)
	ds_write_b128 v9, v[2:5]
	s_waitcnt lgkmcnt(0)
	; wave barrier
	s_waitcnt lgkmcnt(0)
	s_and_saveexec_b64 s[2:3], s[0:1]
	s_cbranch_execz .LBB94_13
; %bb.10:
	ds_read_b128 v[2:5], v9
	s_andn2_b64 vcc, exec, s[6:7]
	s_cbranch_vccnz .LBB94_12
; %bb.11:
	scratch_load_dwordx4 v[10:13], v8, off
	s_waitcnt vmcnt(0) lgkmcnt(0)
	v_mul_f64 v[6:7], v[4:5], v[12:13]
	v_mul_f64 v[12:13], v[2:3], v[12:13]
	v_fmac_f64_e32 v[12:13], v[4:5], v[10:11]
	v_fma_f64 v[2:3], v[2:3], v[10:11], -v[6:7]
	v_mov_b64_e32 v[4:5], v[12:13]
.LBB94_12:
	v_mov_b32_e32 v6, 0
	ds_read_b128 v[10:13], v6 offset:464
	s_waitcnt lgkmcnt(0)
	v_mul_f64 v[6:7], v[4:5], v[12:13]
	v_mul_f64 v[108:109], v[2:3], v[12:13]
	v_fma_f64 v[106:107], v[2:3], v[10:11], -v[6:7]
	v_fmac_f64_e32 v[108:109], v[4:5], v[10:11]
	scratch_store_dwordx4 off, v[106:109], off offset:464
.LBB94_13:
	s_or_b64 exec, exec, s[2:3]
	scratch_load_dwordx4 v[2:5], v79, off
	v_cmp_lt_u32_e64 s[2:3], 28, v0
	s_waitcnt vmcnt(0)
	ds_write_b128 v9, v[2:5]
	s_waitcnt lgkmcnt(0)
	; wave barrier
	s_waitcnt lgkmcnt(0)
	s_and_saveexec_b64 s[4:5], s[2:3]
	s_cbranch_execz .LBB94_19
; %bb.14:
	ds_read_b128 v[2:5], v9
	s_andn2_b64 vcc, exec, s[6:7]
	s_cbranch_vccnz .LBB94_16
; %bb.15:
	scratch_load_dwordx4 v[10:13], v8, off
	s_waitcnt vmcnt(0) lgkmcnt(0)
	v_mul_f64 v[6:7], v[4:5], v[12:13]
	v_mul_f64 v[12:13], v[2:3], v[12:13]
	v_fmac_f64_e32 v[12:13], v[4:5], v[10:11]
	v_fma_f64 v[2:3], v[2:3], v[10:11], -v[6:7]
	v_mov_b64_e32 v[4:5], v[12:13]
.LBB94_16:
	s_and_saveexec_b64 s[8:9], s[0:1]
	s_cbranch_execz .LBB94_18
; %bb.17:
	scratch_load_dwordx4 v[10:13], off, off offset:464
	v_mov_b32_e32 v6, 0
	ds_read_b128 v[106:109], v6 offset:960
	s_waitcnt vmcnt(0) lgkmcnt(0)
	v_mul_f64 v[6:7], v[106:107], v[12:13]
	v_mul_f64 v[12:13], v[108:109], v[12:13]
	v_fmac_f64_e32 v[6:7], v[108:109], v[10:11]
	v_fma_f64 v[10:11], v[106:107], v[10:11], -v[12:13]
	v_add_f64 v[4:5], v[4:5], v[6:7]
	v_add_f64 v[2:3], v[2:3], v[10:11]
.LBB94_18:
	s_or_b64 exec, exec, s[8:9]
	v_mov_b32_e32 v6, 0
	ds_read_b128 v[10:13], v6 offset:448
	s_waitcnt lgkmcnt(0)
	v_mul_f64 v[6:7], v[4:5], v[12:13]
	v_mul_f64 v[108:109], v[2:3], v[12:13]
	v_fma_f64 v[106:107], v[2:3], v[10:11], -v[6:7]
	v_fmac_f64_e32 v[108:109], v[4:5], v[10:11]
	scratch_store_dwordx4 off, v[106:109], off offset:448
.LBB94_19:
	s_or_b64 exec, exec, s[4:5]
	scratch_load_dwordx4 v[2:5], v78, off
	v_cmp_lt_u32_e64 s[0:1], 27, v0
	s_waitcnt vmcnt(0)
	ds_write_b128 v9, v[2:5]
	s_waitcnt lgkmcnt(0)
	; wave barrier
	s_waitcnt lgkmcnt(0)
	s_and_saveexec_b64 s[4:5], s[0:1]
	s_cbranch_execz .LBB94_27
; %bb.20:
	ds_read_b128 v[2:5], v9
	s_andn2_b64 vcc, exec, s[6:7]
	s_cbranch_vccnz .LBB94_22
; %bb.21:
	scratch_load_dwordx4 v[10:13], v8, off
	s_waitcnt vmcnt(0) lgkmcnt(0)
	v_mul_f64 v[6:7], v[4:5], v[12:13]
	v_mul_f64 v[12:13], v[2:3], v[12:13]
	v_fmac_f64_e32 v[12:13], v[4:5], v[10:11]
	v_fma_f64 v[2:3], v[2:3], v[10:11], -v[6:7]
	v_mov_b64_e32 v[4:5], v[12:13]
.LBB94_22:
	s_and_saveexec_b64 s[8:9], s[2:3]
	s_cbranch_execz .LBB94_26
; %bb.23:
	v_mov_b32_e32 v7, 0
	v_subrev_u32_e32 v6, 28, v0
	v_add_u32_e32 v7, 0x1c8, v7
	s_movk_i32 s10, 0x3b0
	s_mov_b64 s[2:3], 0
.LBB94_24:                              ; =>This Inner Loop Header: Depth=1
	v_add_u32_e32 v10, -8, v7
	scratch_load_dwordx4 v[10:13], v10, off
	v_mov_b32_e32 v106, s10
	ds_read_b128 v[106:109], v106
	v_add_u32_e32 v6, -1, v6
	s_add_i32 s10, s10, 16
	v_cmp_eq_u32_e32 vcc, 0, v6
	v_add_u32_e32 v7, 16, v7
	s_or_b64 s[2:3], vcc, s[2:3]
	s_waitcnt vmcnt(0) lgkmcnt(0)
	v_mul_f64 v[110:111], v[108:109], v[12:13]
	v_mul_f64 v[12:13], v[106:107], v[12:13]
	v_fma_f64 v[106:107], v[106:107], v[10:11], -v[110:111]
	v_fmac_f64_e32 v[12:13], v[108:109], v[10:11]
	v_add_f64 v[2:3], v[2:3], v[106:107]
	v_add_f64 v[4:5], v[4:5], v[12:13]
	s_andn2_b64 exec, exec, s[2:3]
	s_cbranch_execnz .LBB94_24
; %bb.25:
	s_or_b64 exec, exec, s[2:3]
.LBB94_26:
	s_or_b64 exec, exec, s[8:9]
	v_mov_b32_e32 v6, 0
	ds_read_b128 v[10:13], v6 offset:432
	s_waitcnt lgkmcnt(0)
	v_mul_f64 v[6:7], v[4:5], v[12:13]
	v_mul_f64 v[108:109], v[2:3], v[12:13]
	v_fma_f64 v[106:107], v[2:3], v[10:11], -v[6:7]
	v_fmac_f64_e32 v[108:109], v[4:5], v[10:11]
	scratch_store_dwordx4 off, v[106:109], off offset:432
.LBB94_27:
	s_or_b64 exec, exec, s[4:5]
	scratch_load_dwordx4 v[2:5], v81, off
	v_cmp_lt_u32_e64 s[2:3], 26, v0
	s_waitcnt vmcnt(0)
	ds_write_b128 v9, v[2:5]
	s_waitcnt lgkmcnt(0)
	; wave barrier
	s_waitcnt lgkmcnt(0)
	s_and_saveexec_b64 s[4:5], s[2:3]
	s_cbranch_execz .LBB94_35
; %bb.28:
	ds_read_b128 v[2:5], v9
	s_andn2_b64 vcc, exec, s[6:7]
	s_cbranch_vccnz .LBB94_30
; %bb.29:
	scratch_load_dwordx4 v[10:13], v8, off
	s_waitcnt vmcnt(0) lgkmcnt(0)
	v_mul_f64 v[6:7], v[4:5], v[12:13]
	v_mul_f64 v[12:13], v[2:3], v[12:13]
	v_fmac_f64_e32 v[12:13], v[4:5], v[10:11]
	v_fma_f64 v[2:3], v[2:3], v[10:11], -v[6:7]
	v_mov_b64_e32 v[4:5], v[12:13]
.LBB94_30:
	s_and_saveexec_b64 s[8:9], s[0:1]
	s_cbranch_execz .LBB94_34
; %bb.31:
	v_mov_b32_e32 v7, 0
	v_subrev_u32_e32 v6, 27, v0
	v_add_u32_e32 v7, 0x1b8, v7
	s_movk_i32 s10, 0x3a0
	s_mov_b64 s[0:1], 0
.LBB94_32:                              ; =>This Inner Loop Header: Depth=1
	v_add_u32_e32 v10, -8, v7
	scratch_load_dwordx4 v[10:13], v10, off
	v_mov_b32_e32 v106, s10
	ds_read_b128 v[106:109], v106
	v_add_u32_e32 v6, -1, v6
	s_add_i32 s10, s10, 16
	v_cmp_eq_u32_e32 vcc, 0, v6
	v_add_u32_e32 v7, 16, v7
	s_or_b64 s[0:1], vcc, s[0:1]
	s_waitcnt vmcnt(0) lgkmcnt(0)
	v_mul_f64 v[110:111], v[108:109], v[12:13]
	v_mul_f64 v[12:13], v[106:107], v[12:13]
	v_fma_f64 v[106:107], v[106:107], v[10:11], -v[110:111]
	v_fmac_f64_e32 v[12:13], v[108:109], v[10:11]
	v_add_f64 v[2:3], v[2:3], v[106:107]
	v_add_f64 v[4:5], v[4:5], v[12:13]
	s_andn2_b64 exec, exec, s[0:1]
	s_cbranch_execnz .LBB94_32
; %bb.33:
	s_or_b64 exec, exec, s[0:1]
.LBB94_34:
	s_or_b64 exec, exec, s[8:9]
	v_mov_b32_e32 v6, 0
	ds_read_b128 v[10:13], v6 offset:416
	s_waitcnt lgkmcnt(0)
	v_mul_f64 v[6:7], v[4:5], v[12:13]
	v_mul_f64 v[108:109], v[2:3], v[12:13]
	v_fma_f64 v[106:107], v[2:3], v[10:11], -v[6:7]
	v_fmac_f64_e32 v[108:109], v[4:5], v[10:11]
	scratch_store_dwordx4 off, v[106:109], off offset:416
.LBB94_35:
	s_or_b64 exec, exec, s[4:5]
	scratch_load_dwordx4 v[2:5], v80, off
	v_cmp_lt_u32_e64 s[0:1], 25, v0
	s_waitcnt vmcnt(0)
	ds_write_b128 v9, v[2:5]
	s_waitcnt lgkmcnt(0)
	; wave barrier
	s_waitcnt lgkmcnt(0)
	s_and_saveexec_b64 s[4:5], s[0:1]
	s_cbranch_execz .LBB94_43
; %bb.36:
	ds_read_b128 v[2:5], v9
	s_andn2_b64 vcc, exec, s[6:7]
	s_cbranch_vccnz .LBB94_38
; %bb.37:
	scratch_load_dwordx4 v[10:13], v8, off
	s_waitcnt vmcnt(0) lgkmcnt(0)
	v_mul_f64 v[6:7], v[4:5], v[12:13]
	v_mul_f64 v[12:13], v[2:3], v[12:13]
	v_fmac_f64_e32 v[12:13], v[4:5], v[10:11]
	v_fma_f64 v[2:3], v[2:3], v[10:11], -v[6:7]
	v_mov_b64_e32 v[4:5], v[12:13]
.LBB94_38:
	s_and_saveexec_b64 s[8:9], s[2:3]
	s_cbranch_execz .LBB94_42
; %bb.39:
	v_mov_b32_e32 v7, 0
	v_subrev_u32_e32 v6, 26, v0
	v_add_u32_e32 v7, 0x1a8, v7
	s_movk_i32 s10, 0x390
	s_mov_b64 s[2:3], 0
.LBB94_40:                              ; =>This Inner Loop Header: Depth=1
	v_add_u32_e32 v10, -8, v7
	scratch_load_dwordx4 v[10:13], v10, off
	v_mov_b32_e32 v106, s10
	ds_read_b128 v[106:109], v106
	v_add_u32_e32 v6, -1, v6
	s_add_i32 s10, s10, 16
	v_cmp_eq_u32_e32 vcc, 0, v6
	v_add_u32_e32 v7, 16, v7
	s_or_b64 s[2:3], vcc, s[2:3]
	s_waitcnt vmcnt(0) lgkmcnt(0)
	v_mul_f64 v[110:111], v[108:109], v[12:13]
	v_mul_f64 v[12:13], v[106:107], v[12:13]
	v_fma_f64 v[106:107], v[106:107], v[10:11], -v[110:111]
	v_fmac_f64_e32 v[12:13], v[108:109], v[10:11]
	v_add_f64 v[2:3], v[2:3], v[106:107]
	v_add_f64 v[4:5], v[4:5], v[12:13]
	s_andn2_b64 exec, exec, s[2:3]
	s_cbranch_execnz .LBB94_40
; %bb.41:
	s_or_b64 exec, exec, s[2:3]
.LBB94_42:
	s_or_b64 exec, exec, s[8:9]
	v_mov_b32_e32 v6, 0
	ds_read_b128 v[10:13], v6 offset:400
	s_waitcnt lgkmcnt(0)
	v_mul_f64 v[6:7], v[4:5], v[12:13]
	v_mul_f64 v[108:109], v[2:3], v[12:13]
	v_fma_f64 v[106:107], v[2:3], v[10:11], -v[6:7]
	v_fmac_f64_e32 v[108:109], v[4:5], v[10:11]
	scratch_store_dwordx4 off, v[106:109], off offset:400
.LBB94_43:
	s_or_b64 exec, exec, s[4:5]
	scratch_load_dwordx4 v[2:5], v83, off
	v_cmp_lt_u32_e64 s[2:3], 24, v0
	s_waitcnt vmcnt(0)
	ds_write_b128 v9, v[2:5]
	s_waitcnt lgkmcnt(0)
	; wave barrier
	s_waitcnt lgkmcnt(0)
	s_and_saveexec_b64 s[4:5], s[2:3]
	s_cbranch_execz .LBB94_51
; %bb.44:
	ds_read_b128 v[2:5], v9
	s_andn2_b64 vcc, exec, s[6:7]
	s_cbranch_vccnz .LBB94_46
; %bb.45:
	scratch_load_dwordx4 v[10:13], v8, off
	s_waitcnt vmcnt(0) lgkmcnt(0)
	v_mul_f64 v[6:7], v[4:5], v[12:13]
	v_mul_f64 v[12:13], v[2:3], v[12:13]
	v_fmac_f64_e32 v[12:13], v[4:5], v[10:11]
	v_fma_f64 v[2:3], v[2:3], v[10:11], -v[6:7]
	v_mov_b64_e32 v[4:5], v[12:13]
.LBB94_46:
	s_and_saveexec_b64 s[8:9], s[0:1]
	s_cbranch_execz .LBB94_50
; %bb.47:
	v_mov_b32_e32 v7, 0
	v_subrev_u32_e32 v6, 25, v0
	v_add_u32_e32 v7, 0x198, v7
	s_movk_i32 s10, 0x380
	s_mov_b64 s[0:1], 0
.LBB94_48:                              ; =>This Inner Loop Header: Depth=1
	v_add_u32_e32 v10, -8, v7
	scratch_load_dwordx4 v[10:13], v10, off
	v_mov_b32_e32 v106, s10
	ds_read_b128 v[106:109], v106
	v_add_u32_e32 v6, -1, v6
	s_add_i32 s10, s10, 16
	v_cmp_eq_u32_e32 vcc, 0, v6
	v_add_u32_e32 v7, 16, v7
	s_or_b64 s[0:1], vcc, s[0:1]
	s_waitcnt vmcnt(0) lgkmcnt(0)
	v_mul_f64 v[110:111], v[108:109], v[12:13]
	v_mul_f64 v[12:13], v[106:107], v[12:13]
	v_fma_f64 v[106:107], v[106:107], v[10:11], -v[110:111]
	v_fmac_f64_e32 v[12:13], v[108:109], v[10:11]
	v_add_f64 v[2:3], v[2:3], v[106:107]
	v_add_f64 v[4:5], v[4:5], v[12:13]
	s_andn2_b64 exec, exec, s[0:1]
	s_cbranch_execnz .LBB94_48
; %bb.49:
	s_or_b64 exec, exec, s[0:1]
.LBB94_50:
	s_or_b64 exec, exec, s[8:9]
	v_mov_b32_e32 v6, 0
	ds_read_b128 v[10:13], v6 offset:384
	s_waitcnt lgkmcnt(0)
	v_mul_f64 v[6:7], v[4:5], v[12:13]
	v_mul_f64 v[108:109], v[2:3], v[12:13]
	v_fma_f64 v[106:107], v[2:3], v[10:11], -v[6:7]
	v_fmac_f64_e32 v[108:109], v[4:5], v[10:11]
	scratch_store_dwordx4 off, v[106:109], off offset:384
.LBB94_51:
	s_or_b64 exec, exec, s[4:5]
	scratch_load_dwordx4 v[2:5], v82, off
	v_cmp_lt_u32_e64 s[0:1], 23, v0
	s_waitcnt vmcnt(0)
	ds_write_b128 v9, v[2:5]
	s_waitcnt lgkmcnt(0)
	; wave barrier
	s_waitcnt lgkmcnt(0)
	s_and_saveexec_b64 s[4:5], s[0:1]
	s_cbranch_execz .LBB94_59
; %bb.52:
	ds_read_b128 v[2:5], v9
	s_andn2_b64 vcc, exec, s[6:7]
	s_cbranch_vccnz .LBB94_54
; %bb.53:
	scratch_load_dwordx4 v[10:13], v8, off
	s_waitcnt vmcnt(0) lgkmcnt(0)
	v_mul_f64 v[6:7], v[4:5], v[12:13]
	v_mul_f64 v[12:13], v[2:3], v[12:13]
	v_fmac_f64_e32 v[12:13], v[4:5], v[10:11]
	v_fma_f64 v[2:3], v[2:3], v[10:11], -v[6:7]
	v_mov_b64_e32 v[4:5], v[12:13]
.LBB94_54:
	s_and_saveexec_b64 s[8:9], s[2:3]
	s_cbranch_execz .LBB94_58
; %bb.55:
	v_mov_b32_e32 v7, 0
	v_subrev_u32_e32 v6, 24, v0
	v_add_u32_e32 v7, 0x188, v7
	s_movk_i32 s10, 0x370
	s_mov_b64 s[2:3], 0
.LBB94_56:                              ; =>This Inner Loop Header: Depth=1
	v_add_u32_e32 v10, -8, v7
	scratch_load_dwordx4 v[10:13], v10, off
	v_mov_b32_e32 v106, s10
	ds_read_b128 v[106:109], v106
	v_add_u32_e32 v6, -1, v6
	s_add_i32 s10, s10, 16
	v_cmp_eq_u32_e32 vcc, 0, v6
	v_add_u32_e32 v7, 16, v7
	s_or_b64 s[2:3], vcc, s[2:3]
	s_waitcnt vmcnt(0) lgkmcnt(0)
	v_mul_f64 v[110:111], v[108:109], v[12:13]
	v_mul_f64 v[12:13], v[106:107], v[12:13]
	v_fma_f64 v[106:107], v[106:107], v[10:11], -v[110:111]
	v_fmac_f64_e32 v[12:13], v[108:109], v[10:11]
	v_add_f64 v[2:3], v[2:3], v[106:107]
	v_add_f64 v[4:5], v[4:5], v[12:13]
	s_andn2_b64 exec, exec, s[2:3]
	s_cbranch_execnz .LBB94_56
; %bb.57:
	s_or_b64 exec, exec, s[2:3]
.LBB94_58:
	s_or_b64 exec, exec, s[8:9]
	v_mov_b32_e32 v6, 0
	ds_read_b128 v[10:13], v6 offset:368
	s_waitcnt lgkmcnt(0)
	v_mul_f64 v[6:7], v[4:5], v[12:13]
	v_mul_f64 v[108:109], v[2:3], v[12:13]
	v_fma_f64 v[106:107], v[2:3], v[10:11], -v[6:7]
	v_fmac_f64_e32 v[108:109], v[4:5], v[10:11]
	scratch_store_dwordx4 off, v[106:109], off offset:368
.LBB94_59:
	s_or_b64 exec, exec, s[4:5]
	scratch_load_dwordx4 v[2:5], v84, off
	v_cmp_lt_u32_e64 s[2:3], 22, v0
	s_waitcnt vmcnt(0)
	ds_write_b128 v9, v[2:5]
	s_waitcnt lgkmcnt(0)
	; wave barrier
	s_waitcnt lgkmcnt(0)
	s_and_saveexec_b64 s[4:5], s[2:3]
	s_cbranch_execz .LBB94_67
; %bb.60:
	ds_read_b128 v[2:5], v9
	s_andn2_b64 vcc, exec, s[6:7]
	s_cbranch_vccnz .LBB94_62
; %bb.61:
	scratch_load_dwordx4 v[10:13], v8, off
	s_waitcnt vmcnt(0) lgkmcnt(0)
	v_mul_f64 v[6:7], v[4:5], v[12:13]
	v_mul_f64 v[12:13], v[2:3], v[12:13]
	v_fmac_f64_e32 v[12:13], v[4:5], v[10:11]
	v_fma_f64 v[2:3], v[2:3], v[10:11], -v[6:7]
	v_mov_b64_e32 v[4:5], v[12:13]
.LBB94_62:
	s_and_saveexec_b64 s[8:9], s[0:1]
	s_cbranch_execz .LBB94_66
; %bb.63:
	v_mov_b32_e32 v7, 0
	v_subrev_u32_e32 v6, 23, v0
	v_add_u32_e32 v7, 0x178, v7
	s_movk_i32 s10, 0x360
	s_mov_b64 s[0:1], 0
.LBB94_64:                              ; =>This Inner Loop Header: Depth=1
	v_add_u32_e32 v10, -8, v7
	scratch_load_dwordx4 v[10:13], v10, off
	v_mov_b32_e32 v106, s10
	ds_read_b128 v[106:109], v106
	v_add_u32_e32 v6, -1, v6
	s_add_i32 s10, s10, 16
	v_cmp_eq_u32_e32 vcc, 0, v6
	v_add_u32_e32 v7, 16, v7
	s_or_b64 s[0:1], vcc, s[0:1]
	s_waitcnt vmcnt(0) lgkmcnt(0)
	v_mul_f64 v[110:111], v[108:109], v[12:13]
	v_mul_f64 v[12:13], v[106:107], v[12:13]
	v_fma_f64 v[106:107], v[106:107], v[10:11], -v[110:111]
	v_fmac_f64_e32 v[12:13], v[108:109], v[10:11]
	v_add_f64 v[2:3], v[2:3], v[106:107]
	v_add_f64 v[4:5], v[4:5], v[12:13]
	s_andn2_b64 exec, exec, s[0:1]
	s_cbranch_execnz .LBB94_64
; %bb.65:
	s_or_b64 exec, exec, s[0:1]
.LBB94_66:
	s_or_b64 exec, exec, s[8:9]
	v_mov_b32_e32 v6, 0
	ds_read_b128 v[10:13], v6 offset:352
	s_waitcnt lgkmcnt(0)
	v_mul_f64 v[6:7], v[4:5], v[12:13]
	v_mul_f64 v[108:109], v[2:3], v[12:13]
	v_fma_f64 v[106:107], v[2:3], v[10:11], -v[6:7]
	v_fmac_f64_e32 v[108:109], v[4:5], v[10:11]
	scratch_store_dwordx4 off, v[106:109], off offset:352
.LBB94_67:
	s_or_b64 exec, exec, s[4:5]
	scratch_load_dwordx4 v[2:5], v85, off
	v_cmp_lt_u32_e64 s[0:1], 21, v0
	s_waitcnt vmcnt(0)
	ds_write_b128 v9, v[2:5]
	s_waitcnt lgkmcnt(0)
	; wave barrier
	s_waitcnt lgkmcnt(0)
	s_and_saveexec_b64 s[4:5], s[0:1]
	s_cbranch_execz .LBB94_75
; %bb.68:
	ds_read_b128 v[2:5], v9
	s_andn2_b64 vcc, exec, s[6:7]
	s_cbranch_vccnz .LBB94_70
; %bb.69:
	scratch_load_dwordx4 v[10:13], v8, off
	s_waitcnt vmcnt(0) lgkmcnt(0)
	v_mul_f64 v[6:7], v[4:5], v[12:13]
	v_mul_f64 v[12:13], v[2:3], v[12:13]
	v_fmac_f64_e32 v[12:13], v[4:5], v[10:11]
	v_fma_f64 v[2:3], v[2:3], v[10:11], -v[6:7]
	v_mov_b64_e32 v[4:5], v[12:13]
.LBB94_70:
	s_and_saveexec_b64 s[8:9], s[2:3]
	s_cbranch_execz .LBB94_74
; %bb.71:
	v_mov_b32_e32 v7, 0
	v_subrev_u32_e32 v6, 22, v0
	v_add_u32_e32 v7, 0x168, v7
	s_movk_i32 s10, 0x350
	s_mov_b64 s[2:3], 0
.LBB94_72:                              ; =>This Inner Loop Header: Depth=1
	v_add_u32_e32 v10, -8, v7
	scratch_load_dwordx4 v[10:13], v10, off
	v_mov_b32_e32 v106, s10
	ds_read_b128 v[106:109], v106
	v_add_u32_e32 v6, -1, v6
	s_add_i32 s10, s10, 16
	v_cmp_eq_u32_e32 vcc, 0, v6
	v_add_u32_e32 v7, 16, v7
	s_or_b64 s[2:3], vcc, s[2:3]
	s_waitcnt vmcnt(0) lgkmcnt(0)
	v_mul_f64 v[110:111], v[108:109], v[12:13]
	v_mul_f64 v[12:13], v[106:107], v[12:13]
	v_fma_f64 v[106:107], v[106:107], v[10:11], -v[110:111]
	v_fmac_f64_e32 v[12:13], v[108:109], v[10:11]
	v_add_f64 v[2:3], v[2:3], v[106:107]
	v_add_f64 v[4:5], v[4:5], v[12:13]
	s_andn2_b64 exec, exec, s[2:3]
	s_cbranch_execnz .LBB94_72
; %bb.73:
	s_or_b64 exec, exec, s[2:3]
.LBB94_74:
	s_or_b64 exec, exec, s[8:9]
	v_mov_b32_e32 v6, 0
	ds_read_b128 v[10:13], v6 offset:336
	s_waitcnt lgkmcnt(0)
	v_mul_f64 v[6:7], v[4:5], v[12:13]
	v_mul_f64 v[108:109], v[2:3], v[12:13]
	v_fma_f64 v[106:107], v[2:3], v[10:11], -v[6:7]
	v_fmac_f64_e32 v[108:109], v[4:5], v[10:11]
	scratch_store_dwordx4 off, v[106:109], off offset:336
.LBB94_75:
	s_or_b64 exec, exec, s[4:5]
	scratch_load_dwordx4 v[2:5], v86, off
	v_cmp_lt_u32_e64 s[2:3], 20, v0
	s_waitcnt vmcnt(0)
	ds_write_b128 v9, v[2:5]
	s_waitcnt lgkmcnt(0)
	; wave barrier
	s_waitcnt lgkmcnt(0)
	s_and_saveexec_b64 s[4:5], s[2:3]
	s_cbranch_execz .LBB94_83
; %bb.76:
	ds_read_b128 v[2:5], v9
	s_andn2_b64 vcc, exec, s[6:7]
	s_cbranch_vccnz .LBB94_78
; %bb.77:
	scratch_load_dwordx4 v[10:13], v8, off
	s_waitcnt vmcnt(0) lgkmcnt(0)
	v_mul_f64 v[6:7], v[4:5], v[12:13]
	v_mul_f64 v[12:13], v[2:3], v[12:13]
	v_fmac_f64_e32 v[12:13], v[4:5], v[10:11]
	v_fma_f64 v[2:3], v[2:3], v[10:11], -v[6:7]
	v_mov_b64_e32 v[4:5], v[12:13]
.LBB94_78:
	s_and_saveexec_b64 s[8:9], s[0:1]
	s_cbranch_execz .LBB94_82
; %bb.79:
	v_mov_b32_e32 v7, 0
	v_subrev_u32_e32 v6, 21, v0
	v_add_u32_e32 v7, 0x158, v7
	s_movk_i32 s10, 0x340
	s_mov_b64 s[0:1], 0
.LBB94_80:                              ; =>This Inner Loop Header: Depth=1
	v_add_u32_e32 v10, -8, v7
	scratch_load_dwordx4 v[10:13], v10, off
	v_mov_b32_e32 v106, s10
	ds_read_b128 v[106:109], v106
	v_add_u32_e32 v6, -1, v6
	s_add_i32 s10, s10, 16
	v_cmp_eq_u32_e32 vcc, 0, v6
	v_add_u32_e32 v7, 16, v7
	s_or_b64 s[0:1], vcc, s[0:1]
	s_waitcnt vmcnt(0) lgkmcnt(0)
	v_mul_f64 v[110:111], v[108:109], v[12:13]
	v_mul_f64 v[12:13], v[106:107], v[12:13]
	v_fma_f64 v[106:107], v[106:107], v[10:11], -v[110:111]
	v_fmac_f64_e32 v[12:13], v[108:109], v[10:11]
	v_add_f64 v[2:3], v[2:3], v[106:107]
	v_add_f64 v[4:5], v[4:5], v[12:13]
	s_andn2_b64 exec, exec, s[0:1]
	s_cbranch_execnz .LBB94_80
; %bb.81:
	s_or_b64 exec, exec, s[0:1]
.LBB94_82:
	s_or_b64 exec, exec, s[8:9]
	v_mov_b32_e32 v6, 0
	ds_read_b128 v[10:13], v6 offset:320
	s_waitcnt lgkmcnt(0)
	v_mul_f64 v[6:7], v[4:5], v[12:13]
	v_mul_f64 v[108:109], v[2:3], v[12:13]
	v_fma_f64 v[106:107], v[2:3], v[10:11], -v[6:7]
	v_fmac_f64_e32 v[108:109], v[4:5], v[10:11]
	scratch_store_dwordx4 off, v[106:109], off offset:320
.LBB94_83:
	s_or_b64 exec, exec, s[4:5]
	scratch_load_dwordx4 v[2:5], v87, off
	v_cmp_lt_u32_e64 s[0:1], 19, v0
	s_waitcnt vmcnt(0)
	ds_write_b128 v9, v[2:5]
	s_waitcnt lgkmcnt(0)
	; wave barrier
	s_waitcnt lgkmcnt(0)
	s_and_saveexec_b64 s[4:5], s[0:1]
	s_cbranch_execz .LBB94_91
; %bb.84:
	ds_read_b128 v[2:5], v9
	s_andn2_b64 vcc, exec, s[6:7]
	s_cbranch_vccnz .LBB94_86
; %bb.85:
	scratch_load_dwordx4 v[10:13], v8, off
	s_waitcnt vmcnt(0) lgkmcnt(0)
	v_mul_f64 v[6:7], v[4:5], v[12:13]
	v_mul_f64 v[12:13], v[2:3], v[12:13]
	v_fmac_f64_e32 v[12:13], v[4:5], v[10:11]
	v_fma_f64 v[2:3], v[2:3], v[10:11], -v[6:7]
	v_mov_b64_e32 v[4:5], v[12:13]
.LBB94_86:
	s_and_saveexec_b64 s[8:9], s[2:3]
	s_cbranch_execz .LBB94_90
; %bb.87:
	v_mov_b32_e32 v7, 0
	v_subrev_u32_e32 v6, 20, v0
	v_add_u32_e32 v7, 0x148, v7
	s_movk_i32 s10, 0x330
	s_mov_b64 s[2:3], 0
.LBB94_88:                              ; =>This Inner Loop Header: Depth=1
	v_add_u32_e32 v10, -8, v7
	scratch_load_dwordx4 v[10:13], v10, off
	v_mov_b32_e32 v106, s10
	ds_read_b128 v[106:109], v106
	v_add_u32_e32 v6, -1, v6
	s_add_i32 s10, s10, 16
	v_cmp_eq_u32_e32 vcc, 0, v6
	v_add_u32_e32 v7, 16, v7
	s_or_b64 s[2:3], vcc, s[2:3]
	s_waitcnt vmcnt(0) lgkmcnt(0)
	v_mul_f64 v[110:111], v[108:109], v[12:13]
	v_mul_f64 v[12:13], v[106:107], v[12:13]
	v_fma_f64 v[106:107], v[106:107], v[10:11], -v[110:111]
	v_fmac_f64_e32 v[12:13], v[108:109], v[10:11]
	v_add_f64 v[2:3], v[2:3], v[106:107]
	v_add_f64 v[4:5], v[4:5], v[12:13]
	s_andn2_b64 exec, exec, s[2:3]
	s_cbranch_execnz .LBB94_88
; %bb.89:
	s_or_b64 exec, exec, s[2:3]
.LBB94_90:
	s_or_b64 exec, exec, s[8:9]
	v_mov_b32_e32 v6, 0
	ds_read_b128 v[10:13], v6 offset:304
	s_waitcnt lgkmcnt(0)
	v_mul_f64 v[6:7], v[4:5], v[12:13]
	v_mul_f64 v[108:109], v[2:3], v[12:13]
	v_fma_f64 v[106:107], v[2:3], v[10:11], -v[6:7]
	v_fmac_f64_e32 v[108:109], v[4:5], v[10:11]
	scratch_store_dwordx4 off, v[106:109], off offset:304
.LBB94_91:
	s_or_b64 exec, exec, s[4:5]
	scratch_load_dwordx4 v[2:5], v88, off
	v_cmp_lt_u32_e64 s[2:3], 18, v0
	s_waitcnt vmcnt(0)
	ds_write_b128 v9, v[2:5]
	s_waitcnt lgkmcnt(0)
	; wave barrier
	s_waitcnt lgkmcnt(0)
	s_and_saveexec_b64 s[4:5], s[2:3]
	s_cbranch_execz .LBB94_99
; %bb.92:
	ds_read_b128 v[2:5], v9
	s_andn2_b64 vcc, exec, s[6:7]
	s_cbranch_vccnz .LBB94_94
; %bb.93:
	scratch_load_dwordx4 v[10:13], v8, off
	s_waitcnt vmcnt(0) lgkmcnt(0)
	v_mul_f64 v[6:7], v[4:5], v[12:13]
	v_mul_f64 v[12:13], v[2:3], v[12:13]
	v_fmac_f64_e32 v[12:13], v[4:5], v[10:11]
	v_fma_f64 v[2:3], v[2:3], v[10:11], -v[6:7]
	v_mov_b64_e32 v[4:5], v[12:13]
.LBB94_94:
	s_and_saveexec_b64 s[8:9], s[0:1]
	s_cbranch_execz .LBB94_98
; %bb.95:
	v_mov_b32_e32 v7, 0
	v_subrev_u32_e32 v6, 19, v0
	v_add_u32_e32 v7, 0x138, v7
	s_movk_i32 s10, 0x320
	s_mov_b64 s[0:1], 0
.LBB94_96:                              ; =>This Inner Loop Header: Depth=1
	v_add_u32_e32 v10, -8, v7
	scratch_load_dwordx4 v[10:13], v10, off
	v_mov_b32_e32 v106, s10
	ds_read_b128 v[106:109], v106
	v_add_u32_e32 v6, -1, v6
	s_add_i32 s10, s10, 16
	v_cmp_eq_u32_e32 vcc, 0, v6
	v_add_u32_e32 v7, 16, v7
	s_or_b64 s[0:1], vcc, s[0:1]
	s_waitcnt vmcnt(0) lgkmcnt(0)
	v_mul_f64 v[110:111], v[108:109], v[12:13]
	v_mul_f64 v[12:13], v[106:107], v[12:13]
	v_fma_f64 v[106:107], v[106:107], v[10:11], -v[110:111]
	v_fmac_f64_e32 v[12:13], v[108:109], v[10:11]
	v_add_f64 v[2:3], v[2:3], v[106:107]
	v_add_f64 v[4:5], v[4:5], v[12:13]
	s_andn2_b64 exec, exec, s[0:1]
	s_cbranch_execnz .LBB94_96
; %bb.97:
	s_or_b64 exec, exec, s[0:1]
.LBB94_98:
	s_or_b64 exec, exec, s[8:9]
	v_mov_b32_e32 v6, 0
	ds_read_b128 v[10:13], v6 offset:288
	s_waitcnt lgkmcnt(0)
	v_mul_f64 v[6:7], v[4:5], v[12:13]
	v_mul_f64 v[108:109], v[2:3], v[12:13]
	v_fma_f64 v[106:107], v[2:3], v[10:11], -v[6:7]
	v_fmac_f64_e32 v[108:109], v[4:5], v[10:11]
	scratch_store_dwordx4 off, v[106:109], off offset:288
.LBB94_99:
	s_or_b64 exec, exec, s[4:5]
	scratch_load_dwordx4 v[2:5], v89, off
	v_cmp_lt_u32_e64 s[0:1], 17, v0
	s_waitcnt vmcnt(0)
	ds_write_b128 v9, v[2:5]
	s_waitcnt lgkmcnt(0)
	; wave barrier
	s_waitcnt lgkmcnt(0)
	s_and_saveexec_b64 s[4:5], s[0:1]
	s_cbranch_execz .LBB94_107
; %bb.100:
	ds_read_b128 v[2:5], v9
	s_andn2_b64 vcc, exec, s[6:7]
	s_cbranch_vccnz .LBB94_102
; %bb.101:
	scratch_load_dwordx4 v[10:13], v8, off
	s_waitcnt vmcnt(0) lgkmcnt(0)
	v_mul_f64 v[6:7], v[4:5], v[12:13]
	v_mul_f64 v[12:13], v[2:3], v[12:13]
	v_fmac_f64_e32 v[12:13], v[4:5], v[10:11]
	v_fma_f64 v[2:3], v[2:3], v[10:11], -v[6:7]
	v_mov_b64_e32 v[4:5], v[12:13]
.LBB94_102:
	s_and_saveexec_b64 s[8:9], s[2:3]
	s_cbranch_execz .LBB94_106
; %bb.103:
	v_mov_b32_e32 v7, 0
	v_subrev_u32_e32 v6, 18, v0
	v_add_u32_e32 v7, 0x128, v7
	s_movk_i32 s10, 0x310
	s_mov_b64 s[2:3], 0
.LBB94_104:                             ; =>This Inner Loop Header: Depth=1
	v_add_u32_e32 v10, -8, v7
	scratch_load_dwordx4 v[10:13], v10, off
	v_mov_b32_e32 v106, s10
	ds_read_b128 v[106:109], v106
	v_add_u32_e32 v6, -1, v6
	s_add_i32 s10, s10, 16
	v_cmp_eq_u32_e32 vcc, 0, v6
	v_add_u32_e32 v7, 16, v7
	s_or_b64 s[2:3], vcc, s[2:3]
	s_waitcnt vmcnt(0) lgkmcnt(0)
	v_mul_f64 v[110:111], v[108:109], v[12:13]
	v_mul_f64 v[12:13], v[106:107], v[12:13]
	v_fma_f64 v[106:107], v[106:107], v[10:11], -v[110:111]
	v_fmac_f64_e32 v[12:13], v[108:109], v[10:11]
	v_add_f64 v[2:3], v[2:3], v[106:107]
	v_add_f64 v[4:5], v[4:5], v[12:13]
	s_andn2_b64 exec, exec, s[2:3]
	s_cbranch_execnz .LBB94_104
; %bb.105:
	s_or_b64 exec, exec, s[2:3]
.LBB94_106:
	s_or_b64 exec, exec, s[8:9]
	v_mov_b32_e32 v6, 0
	ds_read_b128 v[10:13], v6 offset:272
	s_waitcnt lgkmcnt(0)
	v_mul_f64 v[6:7], v[4:5], v[12:13]
	v_mul_f64 v[108:109], v[2:3], v[12:13]
	v_fma_f64 v[106:107], v[2:3], v[10:11], -v[6:7]
	v_fmac_f64_e32 v[108:109], v[4:5], v[10:11]
	scratch_store_dwordx4 off, v[106:109], off offset:272
.LBB94_107:
	s_or_b64 exec, exec, s[4:5]
	scratch_load_dwordx4 v[2:5], v91, off
	v_cmp_lt_u32_e64 s[2:3], 16, v0
	s_waitcnt vmcnt(0)
	ds_write_b128 v9, v[2:5]
	s_waitcnt lgkmcnt(0)
	; wave barrier
	s_waitcnt lgkmcnt(0)
	s_and_saveexec_b64 s[4:5], s[2:3]
	s_cbranch_execz .LBB94_115
; %bb.108:
	ds_read_b128 v[2:5], v9
	s_andn2_b64 vcc, exec, s[6:7]
	s_cbranch_vccnz .LBB94_110
; %bb.109:
	scratch_load_dwordx4 v[10:13], v8, off
	s_waitcnt vmcnt(0) lgkmcnt(0)
	v_mul_f64 v[6:7], v[4:5], v[12:13]
	v_mul_f64 v[12:13], v[2:3], v[12:13]
	v_fmac_f64_e32 v[12:13], v[4:5], v[10:11]
	v_fma_f64 v[2:3], v[2:3], v[10:11], -v[6:7]
	v_mov_b64_e32 v[4:5], v[12:13]
.LBB94_110:
	s_and_saveexec_b64 s[8:9], s[0:1]
	s_cbranch_execz .LBB94_114
; %bb.111:
	v_mov_b32_e32 v7, 0
	v_subrev_u32_e32 v6, 17, v0
	v_add_u32_e32 v7, 0x118, v7
	s_movk_i32 s10, 0x300
	s_mov_b64 s[0:1], 0
.LBB94_112:                             ; =>This Inner Loop Header: Depth=1
	v_add_u32_e32 v10, -8, v7
	scratch_load_dwordx4 v[10:13], v10, off
	v_mov_b32_e32 v106, s10
	ds_read_b128 v[106:109], v106
	v_add_u32_e32 v6, -1, v6
	s_add_i32 s10, s10, 16
	v_cmp_eq_u32_e32 vcc, 0, v6
	v_add_u32_e32 v7, 16, v7
	s_or_b64 s[0:1], vcc, s[0:1]
	s_waitcnt vmcnt(0) lgkmcnt(0)
	v_mul_f64 v[110:111], v[108:109], v[12:13]
	v_mul_f64 v[12:13], v[106:107], v[12:13]
	v_fma_f64 v[106:107], v[106:107], v[10:11], -v[110:111]
	v_fmac_f64_e32 v[12:13], v[108:109], v[10:11]
	v_add_f64 v[2:3], v[2:3], v[106:107]
	v_add_f64 v[4:5], v[4:5], v[12:13]
	s_andn2_b64 exec, exec, s[0:1]
	s_cbranch_execnz .LBB94_112
; %bb.113:
	s_or_b64 exec, exec, s[0:1]
.LBB94_114:
	s_or_b64 exec, exec, s[8:9]
	v_mov_b32_e32 v6, 0
	ds_read_b128 v[10:13], v6 offset:256
	s_waitcnt lgkmcnt(0)
	v_mul_f64 v[6:7], v[4:5], v[12:13]
	v_mul_f64 v[108:109], v[2:3], v[12:13]
	v_fma_f64 v[106:107], v[2:3], v[10:11], -v[6:7]
	v_fmac_f64_e32 v[108:109], v[4:5], v[10:11]
	scratch_store_dwordx4 off, v[106:109], off offset:256
.LBB94_115:
	s_or_b64 exec, exec, s[4:5]
	scratch_load_dwordx4 v[2:5], v90, off
	v_cmp_lt_u32_e64 s[0:1], 15, v0
	s_waitcnt vmcnt(0)
	ds_write_b128 v9, v[2:5]
	s_waitcnt lgkmcnt(0)
	; wave barrier
	s_waitcnt lgkmcnt(0)
	s_and_saveexec_b64 s[4:5], s[0:1]
	s_cbranch_execz .LBB94_123
; %bb.116:
	ds_read_b128 v[2:5], v9
	s_andn2_b64 vcc, exec, s[6:7]
	s_cbranch_vccnz .LBB94_118
; %bb.117:
	scratch_load_dwordx4 v[10:13], v8, off
	s_waitcnt vmcnt(0) lgkmcnt(0)
	v_mul_f64 v[6:7], v[4:5], v[12:13]
	v_mul_f64 v[12:13], v[2:3], v[12:13]
	v_fmac_f64_e32 v[12:13], v[4:5], v[10:11]
	v_fma_f64 v[2:3], v[2:3], v[10:11], -v[6:7]
	v_mov_b64_e32 v[4:5], v[12:13]
.LBB94_118:
	s_and_saveexec_b64 s[8:9], s[2:3]
	s_cbranch_execz .LBB94_122
; %bb.119:
	v_mov_b32_e32 v7, 0
	v_add_u32_e32 v6, -16, v0
	v_add_u32_e32 v7, 0x108, v7
	s_movk_i32 s10, 0x2f0
	s_mov_b64 s[2:3], 0
.LBB94_120:                             ; =>This Inner Loop Header: Depth=1
	v_add_u32_e32 v10, -8, v7
	scratch_load_dwordx4 v[10:13], v10, off
	v_mov_b32_e32 v106, s10
	ds_read_b128 v[106:109], v106
	v_add_u32_e32 v6, -1, v6
	s_add_i32 s10, s10, 16
	v_cmp_eq_u32_e32 vcc, 0, v6
	v_add_u32_e32 v7, 16, v7
	s_or_b64 s[2:3], vcc, s[2:3]
	s_waitcnt vmcnt(0) lgkmcnt(0)
	v_mul_f64 v[110:111], v[108:109], v[12:13]
	v_mul_f64 v[12:13], v[106:107], v[12:13]
	v_fma_f64 v[106:107], v[106:107], v[10:11], -v[110:111]
	v_fmac_f64_e32 v[12:13], v[108:109], v[10:11]
	v_add_f64 v[2:3], v[2:3], v[106:107]
	v_add_f64 v[4:5], v[4:5], v[12:13]
	s_andn2_b64 exec, exec, s[2:3]
	s_cbranch_execnz .LBB94_120
; %bb.121:
	s_or_b64 exec, exec, s[2:3]
.LBB94_122:
	s_or_b64 exec, exec, s[8:9]
	v_mov_b32_e32 v6, 0
	ds_read_b128 v[10:13], v6 offset:240
	s_waitcnt lgkmcnt(0)
	v_mul_f64 v[6:7], v[4:5], v[12:13]
	v_mul_f64 v[108:109], v[2:3], v[12:13]
	v_fma_f64 v[106:107], v[2:3], v[10:11], -v[6:7]
	v_fmac_f64_e32 v[108:109], v[4:5], v[10:11]
	scratch_store_dwordx4 off, v[106:109], off offset:240
.LBB94_123:
	s_or_b64 exec, exec, s[4:5]
	scratch_load_dwordx4 v[2:5], v93, off
	v_cmp_lt_u32_e64 s[2:3], 14, v0
	s_waitcnt vmcnt(0)
	ds_write_b128 v9, v[2:5]
	s_waitcnt lgkmcnt(0)
	; wave barrier
	s_waitcnt lgkmcnt(0)
	s_and_saveexec_b64 s[4:5], s[2:3]
	s_cbranch_execz .LBB94_131
; %bb.124:
	ds_read_b128 v[2:5], v9
	s_andn2_b64 vcc, exec, s[6:7]
	s_cbranch_vccnz .LBB94_126
; %bb.125:
	scratch_load_dwordx4 v[10:13], v8, off
	s_waitcnt vmcnt(0) lgkmcnt(0)
	v_mul_f64 v[6:7], v[4:5], v[12:13]
	v_mul_f64 v[12:13], v[2:3], v[12:13]
	v_fmac_f64_e32 v[12:13], v[4:5], v[10:11]
	v_fma_f64 v[2:3], v[2:3], v[10:11], -v[6:7]
	v_mov_b64_e32 v[4:5], v[12:13]
.LBB94_126:
	s_and_saveexec_b64 s[8:9], s[0:1]
	s_cbranch_execz .LBB94_130
; %bb.127:
	v_mov_b32_e32 v7, 0
	v_add_u32_e32 v6, -15, v0
	v_add_u32_e32 v7, 0xf8, v7
	s_movk_i32 s10, 0x2e0
	s_mov_b64 s[0:1], 0
.LBB94_128:                             ; =>This Inner Loop Header: Depth=1
	v_add_u32_e32 v10, -8, v7
	scratch_load_dwordx4 v[10:13], v10, off
	v_mov_b32_e32 v106, s10
	ds_read_b128 v[106:109], v106
	v_add_u32_e32 v6, -1, v6
	s_add_i32 s10, s10, 16
	v_cmp_eq_u32_e32 vcc, 0, v6
	v_add_u32_e32 v7, 16, v7
	s_or_b64 s[0:1], vcc, s[0:1]
	s_waitcnt vmcnt(0) lgkmcnt(0)
	v_mul_f64 v[110:111], v[108:109], v[12:13]
	v_mul_f64 v[12:13], v[106:107], v[12:13]
	v_fma_f64 v[106:107], v[106:107], v[10:11], -v[110:111]
	v_fmac_f64_e32 v[12:13], v[108:109], v[10:11]
	v_add_f64 v[2:3], v[2:3], v[106:107]
	v_add_f64 v[4:5], v[4:5], v[12:13]
	s_andn2_b64 exec, exec, s[0:1]
	s_cbranch_execnz .LBB94_128
; %bb.129:
	s_or_b64 exec, exec, s[0:1]
.LBB94_130:
	s_or_b64 exec, exec, s[8:9]
	v_mov_b32_e32 v6, 0
	ds_read_b128 v[10:13], v6 offset:224
	s_waitcnt lgkmcnt(0)
	v_mul_f64 v[6:7], v[4:5], v[12:13]
	v_mul_f64 v[108:109], v[2:3], v[12:13]
	v_fma_f64 v[106:107], v[2:3], v[10:11], -v[6:7]
	v_fmac_f64_e32 v[108:109], v[4:5], v[10:11]
	scratch_store_dwordx4 off, v[106:109], off offset:224
.LBB94_131:
	;; [unrolled: 63-line block ×15, first 2 shown]
	s_or_b64 exec, exec, s[4:5]
	scratch_load_dwordx4 v[2:5], off, off
	v_cmp_ne_u32_e32 vcc, 0, v0
	s_mov_b64 s[2:3], 0
	s_mov_b64 s[4:5], 0
                                        ; implicit-def: $vgpr6_vgpr7
                                        ; implicit-def: $vgpr10
	s_waitcnt vmcnt(0)
	ds_write_b128 v9, v[2:5]
	s_waitcnt lgkmcnt(0)
	; wave barrier
	s_waitcnt lgkmcnt(0)
	s_and_saveexec_b64 s[8:9], vcc
	s_cbranch_execz .LBB94_243
; %bb.236:
	ds_read_b128 v[2:5], v9
	s_andn2_b64 vcc, exec, s[6:7]
	s_cbranch_vccnz .LBB94_238
; %bb.237:
	scratch_load_dwordx4 v[10:13], v8, off
	s_waitcnt vmcnt(0) lgkmcnt(0)
	v_mul_f64 v[6:7], v[4:5], v[12:13]
	v_mul_f64 v[12:13], v[2:3], v[12:13]
	v_fmac_f64_e32 v[12:13], v[4:5], v[10:11]
	v_fma_f64 v[2:3], v[2:3], v[10:11], -v[6:7]
	v_mov_b64_e32 v[4:5], v[12:13]
.LBB94_238:
	s_and_saveexec_b64 s[4:5], s[0:1]
	s_cbranch_execz .LBB94_242
; %bb.239:
	v_mov_b32_e32 v7, 0
	v_add_u32_e32 v6, -1, v0
	v_add_u32_e32 v7, 24, v7
	s_movk_i32 s10, 0x200
	s_mov_b64 s[0:1], 0
.LBB94_240:                             ; =>This Inner Loop Header: Depth=1
	v_add_u32_e32 v10, -8, v7
	scratch_load_dwordx4 v[10:13], v10, off
	v_mov_b32_e32 v106, s10
	ds_read_b128 v[106:109], v106
	v_add_u32_e32 v6, -1, v6
	s_add_i32 s10, s10, 16
	v_cmp_eq_u32_e32 vcc, 0, v6
	v_add_u32_e32 v7, 16, v7
	s_or_b64 s[0:1], vcc, s[0:1]
	s_waitcnt vmcnt(0) lgkmcnt(0)
	v_mul_f64 v[110:111], v[108:109], v[12:13]
	v_mul_f64 v[12:13], v[106:107], v[12:13]
	v_fma_f64 v[106:107], v[106:107], v[10:11], -v[110:111]
	v_fmac_f64_e32 v[12:13], v[108:109], v[10:11]
	v_add_f64 v[2:3], v[2:3], v[106:107]
	v_add_f64 v[4:5], v[4:5], v[12:13]
	s_andn2_b64 exec, exec, s[0:1]
	s_cbranch_execnz .LBB94_240
; %bb.241:
	s_or_b64 exec, exec, s[0:1]
.LBB94_242:
	s_or_b64 exec, exec, s[4:5]
	v_mov_b32_e32 v6, 0
	ds_read_b128 v[106:109], v6
	v_mov_b32_e32 v6, 0
	v_or_b32_e32 v10, 8, v6
	s_mov_b64 s[4:5], exec
	s_waitcnt lgkmcnt(0)
	v_mul_f64 v[12:13], v[4:5], v[108:109]
	v_mul_f64 v[6:7], v[2:3], v[108:109]
	v_fma_f64 v[2:3], v[2:3], v[106:107], -v[12:13]
	v_fmac_f64_e32 v[6:7], v[4:5], v[106:107]
	scratch_store_dwordx2 off, v[2:3], off
.LBB94_243:
	s_or_b64 exec, exec, s[8:9]
	s_and_b64 vcc, exec, s[2:3]
	s_cbranch_vccnz .LBB94_245
	s_branch .LBB94_480
.LBB94_244:
	s_mov_b64 s[4:5], 0
                                        ; implicit-def: $vgpr6_vgpr7
                                        ; implicit-def: $vgpr10
	s_cbranch_execz .LBB94_480
.LBB94_245:
	scratch_load_dwordx4 v[2:5], v97, off
	v_cndmask_b32_e64 v6, 0, 1, s[6:7]
	v_cmp_eq_u32_e64 s[2:3], 0, v0
	v_cmp_ne_u32_e64 s[0:1], 1, v6
	s_waitcnt vmcnt(0)
	ds_write_b128 v9, v[2:5]
	s_waitcnt lgkmcnt(0)
	; wave barrier
	s_waitcnt lgkmcnt(0)
	s_and_saveexec_b64 s[6:7], s[2:3]
	s_cbranch_execz .LBB94_249
; %bb.246:
	ds_read_b128 v[2:5], v9
	s_and_b64 vcc, exec, s[0:1]
	s_cbranch_vccnz .LBB94_248
; %bb.247:
	scratch_load_dwordx4 v[10:13], v8, off
	s_waitcnt vmcnt(0) lgkmcnt(0)
	v_mul_f64 v[6:7], v[4:5], v[12:13]
	v_mul_f64 v[12:13], v[2:3], v[12:13]
	v_fmac_f64_e32 v[12:13], v[4:5], v[10:11]
	v_fma_f64 v[2:3], v[2:3], v[10:11], -v[6:7]
	v_mov_b64_e32 v[4:5], v[12:13]
.LBB94_248:
	v_mov_b32_e32 v6, 0
	ds_read_b128 v[10:13], v6 offset:16
	s_waitcnt lgkmcnt(0)
	v_mul_f64 v[6:7], v[4:5], v[12:13]
	v_mul_f64 v[108:109], v[2:3], v[12:13]
	v_fma_f64 v[106:107], v[2:3], v[10:11], -v[6:7]
	v_fmac_f64_e32 v[108:109], v[4:5], v[10:11]
	scratch_store_dwordx4 off, v[106:109], off offset:16
.LBB94_249:
	s_or_b64 exec, exec, s[6:7]
	scratch_load_dwordx4 v[2:5], v100, off
	v_cmp_gt_u32_e32 vcc, 2, v0
	s_waitcnt vmcnt(0)
	ds_write_b128 v9, v[2:5]
	s_waitcnt lgkmcnt(0)
	; wave barrier
	s_waitcnt lgkmcnt(0)
	s_and_saveexec_b64 s[6:7], vcc
	s_cbranch_execz .LBB94_255
; %bb.250:
	ds_read_b128 v[2:5], v9
	s_and_b64 vcc, exec, s[0:1]
	s_cbranch_vccnz .LBB94_252
; %bb.251:
	scratch_load_dwordx4 v[10:13], v8, off
	s_waitcnt vmcnt(0) lgkmcnt(0)
	v_mul_f64 v[6:7], v[4:5], v[12:13]
	v_mul_f64 v[12:13], v[2:3], v[12:13]
	v_fmac_f64_e32 v[12:13], v[4:5], v[10:11]
	v_fma_f64 v[2:3], v[2:3], v[10:11], -v[6:7]
	v_mov_b64_e32 v[4:5], v[12:13]
.LBB94_252:
	s_and_saveexec_b64 s[8:9], s[2:3]
	s_cbranch_execz .LBB94_254
; %bb.253:
	scratch_load_dwordx4 v[10:13], v8, off offset:16
	ds_read_b128 v[106:109], v9 offset:16
	s_waitcnt vmcnt(0) lgkmcnt(0)
	v_mul_f64 v[6:7], v[108:109], v[12:13]
	v_mul_f64 v[12:13], v[106:107], v[12:13]
	v_fma_f64 v[6:7], v[106:107], v[10:11], -v[6:7]
	v_fmac_f64_e32 v[12:13], v[108:109], v[10:11]
	v_add_f64 v[2:3], v[2:3], v[6:7]
	v_add_f64 v[4:5], v[4:5], v[12:13]
.LBB94_254:
	s_or_b64 exec, exec, s[8:9]
	v_mov_b32_e32 v6, 0
	ds_read_b128 v[10:13], v6 offset:32
	s_waitcnt lgkmcnt(0)
	v_mul_f64 v[6:7], v[4:5], v[12:13]
	v_mul_f64 v[108:109], v[2:3], v[12:13]
	v_fma_f64 v[106:107], v[2:3], v[10:11], -v[6:7]
	v_fmac_f64_e32 v[108:109], v[4:5], v[10:11]
	scratch_store_dwordx4 off, v[106:109], off offset:32
.LBB94_255:
	s_or_b64 exec, exec, s[6:7]
	scratch_load_dwordx4 v[2:5], v96, off
	v_cmp_gt_u32_e32 vcc, 3, v0
	s_waitcnt vmcnt(0)
	ds_write_b128 v9, v[2:5]
	s_waitcnt lgkmcnt(0)
	; wave barrier
	s_waitcnt lgkmcnt(0)
	s_and_saveexec_b64 s[6:7], vcc
	s_cbranch_execz .LBB94_263
; %bb.256:
	ds_read_b128 v[2:5], v9
	s_and_b64 vcc, exec, s[0:1]
	s_cbranch_vccnz .LBB94_258
; %bb.257:
	scratch_load_dwordx4 v[10:13], v8, off
	s_waitcnt vmcnt(0) lgkmcnt(0)
	v_mul_f64 v[6:7], v[4:5], v[12:13]
	v_mul_f64 v[12:13], v[2:3], v[12:13]
	v_fmac_f64_e32 v[12:13], v[4:5], v[10:11]
	v_fma_f64 v[2:3], v[2:3], v[10:11], -v[6:7]
	v_mov_b64_e32 v[4:5], v[12:13]
.LBB94_258:
	v_cmp_ne_u32_e32 vcc, 2, v0
	s_and_saveexec_b64 s[8:9], vcc
	s_cbranch_execz .LBB94_262
; %bb.259:
	scratch_load_dwordx4 v[10:13], v8, off offset:16
	ds_read_b128 v[106:109], v9 offset:16
	s_waitcnt vmcnt(0) lgkmcnt(0)
	v_mul_f64 v[6:7], v[108:109], v[12:13]
	v_mul_f64 v[12:13], v[106:107], v[12:13]
	v_fma_f64 v[6:7], v[106:107], v[10:11], -v[6:7]
	v_fmac_f64_e32 v[12:13], v[108:109], v[10:11]
	v_add_f64 v[2:3], v[2:3], v[6:7]
	v_add_f64 v[4:5], v[4:5], v[12:13]
	s_and_saveexec_b64 s[10:11], s[2:3]
	s_cbranch_execz .LBB94_261
; %bb.260:
	scratch_load_dwordx4 v[10:13], off, off offset:32
	v_mov_b32_e32 v6, 0
	ds_read_b128 v[106:109], v6 offset:528
	s_waitcnt vmcnt(0) lgkmcnt(0)
	v_mul_f64 v[6:7], v[106:107], v[12:13]
	v_mul_f64 v[12:13], v[108:109], v[12:13]
	v_fmac_f64_e32 v[6:7], v[108:109], v[10:11]
	v_fma_f64 v[10:11], v[106:107], v[10:11], -v[12:13]
	v_add_f64 v[4:5], v[4:5], v[6:7]
	v_add_f64 v[2:3], v[2:3], v[10:11]
.LBB94_261:
	s_or_b64 exec, exec, s[10:11]
.LBB94_262:
	s_or_b64 exec, exec, s[8:9]
	v_mov_b32_e32 v6, 0
	ds_read_b128 v[10:13], v6 offset:48
	s_waitcnt lgkmcnt(0)
	v_mul_f64 v[6:7], v[4:5], v[12:13]
	v_mul_f64 v[108:109], v[2:3], v[12:13]
	v_fma_f64 v[106:107], v[2:3], v[10:11], -v[6:7]
	v_fmac_f64_e32 v[108:109], v[4:5], v[10:11]
	scratch_store_dwordx4 off, v[106:109], off offset:48
.LBB94_263:
	s_or_b64 exec, exec, s[6:7]
	scratch_load_dwordx4 v[2:5], v101, off
	v_cmp_gt_u32_e32 vcc, 4, v0
	s_waitcnt vmcnt(0)
	ds_write_b128 v9, v[2:5]
	s_waitcnt lgkmcnt(0)
	; wave barrier
	s_waitcnt lgkmcnt(0)
	s_and_saveexec_b64 s[2:3], vcc
	s_cbranch_execz .LBB94_271
; %bb.264:
	ds_read_b128 v[2:5], v9
	s_and_b64 vcc, exec, s[0:1]
	s_cbranch_vccnz .LBB94_266
; %bb.265:
	scratch_load_dwordx4 v[10:13], v8, off
	s_waitcnt vmcnt(0) lgkmcnt(0)
	v_mul_f64 v[6:7], v[4:5], v[12:13]
	v_mul_f64 v[12:13], v[2:3], v[12:13]
	v_fmac_f64_e32 v[12:13], v[4:5], v[10:11]
	v_fma_f64 v[2:3], v[2:3], v[10:11], -v[6:7]
	v_mov_b64_e32 v[4:5], v[12:13]
.LBB94_266:
	v_cmp_ne_u32_e32 vcc, 3, v0
	s_and_saveexec_b64 s[6:7], vcc
	s_cbranch_execz .LBB94_270
; %bb.267:
	v_mov_b32_e32 v7, 0
	v_add_u32_e32 v6, 0x200, v62
	v_add3_u32 v7, v62, v7, 24
	s_mov_b64 s[8:9], 0
	v_mov_b32_e32 v10, v0
.LBB94_268:                             ; =>This Inner Loop Header: Depth=1
	v_add_u32_e32 v11, -8, v7
	scratch_load_dwordx4 v[106:109], v11, off
	ds_read_b128 v[110:113], v6
	v_add_u32_e32 v10, 1, v10
	v_cmp_lt_u32_e32 vcc, 2, v10
	v_add_u32_e32 v6, 16, v6
	v_add_u32_e32 v7, 16, v7
	s_or_b64 s[8:9], vcc, s[8:9]
	s_waitcnt vmcnt(0) lgkmcnt(0)
	v_mul_f64 v[12:13], v[112:113], v[108:109]
	v_mul_f64 v[108:109], v[110:111], v[108:109]
	v_fma_f64 v[12:13], v[110:111], v[106:107], -v[12:13]
	v_fmac_f64_e32 v[108:109], v[112:113], v[106:107]
	v_add_f64 v[2:3], v[2:3], v[12:13]
	v_add_f64 v[4:5], v[4:5], v[108:109]
	s_andn2_b64 exec, exec, s[8:9]
	s_cbranch_execnz .LBB94_268
; %bb.269:
	s_or_b64 exec, exec, s[8:9]
.LBB94_270:
	s_or_b64 exec, exec, s[6:7]
	v_mov_b32_e32 v6, 0
	ds_read_b128 v[10:13], v6 offset:64
	s_waitcnt lgkmcnt(0)
	v_mul_f64 v[6:7], v[4:5], v[12:13]
	v_mul_f64 v[108:109], v[2:3], v[12:13]
	v_fma_f64 v[106:107], v[2:3], v[10:11], -v[6:7]
	v_fmac_f64_e32 v[108:109], v[4:5], v[10:11]
	scratch_store_dwordx4 off, v[106:109], off offset:64
.LBB94_271:
	s_or_b64 exec, exec, s[2:3]
	scratch_load_dwordx4 v[2:5], v104, off
	v_cmp_gt_u32_e32 vcc, 5, v0
	s_waitcnt vmcnt(0)
	ds_write_b128 v9, v[2:5]
	s_waitcnt lgkmcnt(0)
	; wave barrier
	s_waitcnt lgkmcnt(0)
	s_and_saveexec_b64 s[2:3], vcc
	s_cbranch_execz .LBB94_279
; %bb.272:
	ds_read_b128 v[2:5], v9
	s_and_b64 vcc, exec, s[0:1]
	s_cbranch_vccnz .LBB94_274
; %bb.273:
	scratch_load_dwordx4 v[10:13], v8, off
	s_waitcnt vmcnt(0) lgkmcnt(0)
	v_mul_f64 v[6:7], v[4:5], v[12:13]
	v_mul_f64 v[12:13], v[2:3], v[12:13]
	v_fmac_f64_e32 v[12:13], v[4:5], v[10:11]
	v_fma_f64 v[2:3], v[2:3], v[10:11], -v[6:7]
	v_mov_b64_e32 v[4:5], v[12:13]
.LBB94_274:
	v_cmp_ne_u32_e32 vcc, 4, v0
	s_and_saveexec_b64 s[6:7], vcc
	s_cbranch_execz .LBB94_278
; %bb.275:
	v_mov_b32_e32 v7, 0
	v_add_u32_e32 v6, 0x200, v62
	v_add3_u32 v7, v62, v7, 24
	s_mov_b64 s[8:9], 0
	v_mov_b32_e32 v10, v0
.LBB94_276:                             ; =>This Inner Loop Header: Depth=1
	v_add_u32_e32 v11, -8, v7
	scratch_load_dwordx4 v[106:109], v11, off
	ds_read_b128 v[110:113], v6
	v_add_u32_e32 v10, 1, v10
	v_cmp_lt_u32_e32 vcc, 3, v10
	v_add_u32_e32 v6, 16, v6
	v_add_u32_e32 v7, 16, v7
	s_or_b64 s[8:9], vcc, s[8:9]
	s_waitcnt vmcnt(0) lgkmcnt(0)
	v_mul_f64 v[12:13], v[112:113], v[108:109]
	v_mul_f64 v[108:109], v[110:111], v[108:109]
	v_fma_f64 v[12:13], v[110:111], v[106:107], -v[12:13]
	v_fmac_f64_e32 v[108:109], v[112:113], v[106:107]
	v_add_f64 v[2:3], v[2:3], v[12:13]
	v_add_f64 v[4:5], v[4:5], v[108:109]
	s_andn2_b64 exec, exec, s[8:9]
	s_cbranch_execnz .LBB94_276
; %bb.277:
	s_or_b64 exec, exec, s[8:9]
.LBB94_278:
	s_or_b64 exec, exec, s[6:7]
	v_mov_b32_e32 v6, 0
	ds_read_b128 v[10:13], v6 offset:80
	s_waitcnt lgkmcnt(0)
	v_mul_f64 v[6:7], v[4:5], v[12:13]
	v_mul_f64 v[108:109], v[2:3], v[12:13]
	v_fma_f64 v[106:107], v[2:3], v[10:11], -v[6:7]
	v_fmac_f64_e32 v[108:109], v[4:5], v[10:11]
	scratch_store_dwordx4 off, v[106:109], off offset:80
.LBB94_279:
	;; [unrolled: 63-line block ×25, first 2 shown]
	s_or_b64 exec, exec, s[2:3]
	scratch_load_dwordx4 v[2:5], v63, off
	v_cmp_gt_u32_e64 s[2:3], 29, v0
	s_waitcnt vmcnt(0)
	ds_write_b128 v9, v[2:5]
	s_waitcnt lgkmcnt(0)
	; wave barrier
	s_waitcnt lgkmcnt(0)
	s_and_saveexec_b64 s[6:7], s[2:3]
	s_cbranch_execz .LBB94_471
; %bb.464:
	ds_read_b128 v[2:5], v9
	s_and_b64 vcc, exec, s[0:1]
	s_cbranch_vccnz .LBB94_466
; %bb.465:
	scratch_load_dwordx4 v[10:13], v8, off
	s_waitcnt vmcnt(0) lgkmcnt(0)
	v_mul_f64 v[6:7], v[4:5], v[12:13]
	v_mul_f64 v[12:13], v[2:3], v[12:13]
	v_fmac_f64_e32 v[12:13], v[4:5], v[10:11]
	v_fma_f64 v[2:3], v[2:3], v[10:11], -v[6:7]
	v_mov_b64_e32 v[4:5], v[12:13]
.LBB94_466:
	v_cmp_ne_u32_e32 vcc, 28, v0
	s_and_saveexec_b64 s[8:9], vcc
	s_cbranch_execz .LBB94_470
; %bb.467:
	v_mov_b32_e32 v7, 0
	v_add_u32_e32 v6, 0x200, v62
	v_add3_u32 v7, v62, v7, 24
	s_mov_b64 s[10:11], 0
	v_mov_b32_e32 v10, v0
.LBB94_468:                             ; =>This Inner Loop Header: Depth=1
	v_add_u32_e32 v11, -8, v7
	scratch_load_dwordx4 v[106:109], v11, off
	ds_read_b128 v[110:113], v6
	v_add_u32_e32 v10, 1, v10
	v_cmp_lt_u32_e32 vcc, 27, v10
	v_add_u32_e32 v6, 16, v6
	v_add_u32_e32 v7, 16, v7
	s_or_b64 s[10:11], vcc, s[10:11]
	s_waitcnt vmcnt(0) lgkmcnt(0)
	v_mul_f64 v[12:13], v[112:113], v[108:109]
	v_mul_f64 v[108:109], v[110:111], v[108:109]
	v_fma_f64 v[12:13], v[110:111], v[106:107], -v[12:13]
	v_fmac_f64_e32 v[108:109], v[112:113], v[106:107]
	v_add_f64 v[2:3], v[2:3], v[12:13]
	v_add_f64 v[4:5], v[4:5], v[108:109]
	s_andn2_b64 exec, exec, s[10:11]
	s_cbranch_execnz .LBB94_468
; %bb.469:
	s_or_b64 exec, exec, s[10:11]
.LBB94_470:
	s_or_b64 exec, exec, s[8:9]
	v_mov_b32_e32 v6, 0
	ds_read_b128 v[10:13], v6 offset:464
	s_waitcnt lgkmcnt(0)
	v_mul_f64 v[6:7], v[4:5], v[12:13]
	v_mul_f64 v[108:109], v[2:3], v[12:13]
	v_fma_f64 v[106:107], v[2:3], v[10:11], -v[6:7]
	v_fmac_f64_e32 v[108:109], v[4:5], v[10:11]
	scratch_store_dwordx4 off, v[106:109], off offset:464
.LBB94_471:
	s_or_b64 exec, exec, s[6:7]
	scratch_load_dwordx4 v[2:5], v1, off
	v_cmp_ne_u32_e32 vcc, 30, v0
                                        ; implicit-def: $vgpr6_vgpr7
                                        ; implicit-def: $vgpr10
	s_waitcnt vmcnt(0)
	ds_write_b128 v9, v[2:5]
	s_waitcnt lgkmcnt(0)
	; wave barrier
	s_waitcnt lgkmcnt(0)
	s_and_saveexec_b64 s[6:7], vcc
	s_cbranch_execz .LBB94_479
; %bb.472:
	ds_read_b128 v[2:5], v9
	s_and_b64 vcc, exec, s[0:1]
	s_cbranch_vccnz .LBB94_474
; %bb.473:
	scratch_load_dwordx4 v[6:9], v8, off
	s_waitcnt vmcnt(0) lgkmcnt(0)
	v_mul_f64 v[10:11], v[4:5], v[8:9]
	v_mul_f64 v[8:9], v[2:3], v[8:9]
	v_fmac_f64_e32 v[8:9], v[4:5], v[6:7]
	v_fma_f64 v[2:3], v[2:3], v[6:7], -v[10:11]
	v_mov_b64_e32 v[4:5], v[8:9]
.LBB94_474:
	s_and_saveexec_b64 s[0:1], s[2:3]
	s_cbranch_execz .LBB94_478
; %bb.475:
	v_mov_b32_e32 v7, 0
	v_add_u32_e32 v6, 0x200, v62
	v_add3_u32 v7, v62, v7, 24
	s_mov_b64 s[2:3], 0
.LBB94_476:                             ; =>This Inner Loop Header: Depth=1
	v_add_u32_e32 v8, -8, v7
	scratch_load_dwordx4 v[8:11], v8, off
	ds_read_b128 v[106:109], v6
	v_add_u32_e32 v0, 1, v0
	v_cmp_lt_u32_e32 vcc, 28, v0
	v_add_u32_e32 v6, 16, v6
	v_add_u32_e32 v7, 16, v7
	s_or_b64 s[2:3], vcc, s[2:3]
	s_waitcnt vmcnt(0) lgkmcnt(0)
	v_mul_f64 v[12:13], v[108:109], v[10:11]
	v_mul_f64 v[10:11], v[106:107], v[10:11]
	v_fma_f64 v[12:13], v[106:107], v[8:9], -v[12:13]
	v_fmac_f64_e32 v[10:11], v[108:109], v[8:9]
	v_add_f64 v[2:3], v[2:3], v[12:13]
	v_add_f64 v[4:5], v[4:5], v[10:11]
	s_andn2_b64 exec, exec, s[2:3]
	s_cbranch_execnz .LBB94_476
; %bb.477:
	s_or_b64 exec, exec, s[2:3]
.LBB94_478:
	s_or_b64 exec, exec, s[0:1]
	v_mov_b32_e32 v0, 0
	ds_read_b128 v[106:109], v0 offset:480
	v_mov_b32_e32 v0, 0
	v_add_u32_e32 v10, 0x1e8, v0
	s_or_b64 s[4:5], s[4:5], exec
	s_waitcnt lgkmcnt(0)
	v_mul_f64 v[8:9], v[4:5], v[108:109]
	v_mul_f64 v[6:7], v[2:3], v[108:109]
	v_fma_f64 v[2:3], v[2:3], v[106:107], -v[8:9]
	v_fmac_f64_e32 v[6:7], v[4:5], v[106:107]
	scratch_store_dwordx2 off, v[2:3], off offset:480
.LBB94_479:
	s_or_b64 exec, exec, s[6:7]
.LBB94_480:
	s_and_saveexec_b64 s[0:1], s[4:5]
	s_cbranch_execz .LBB94_482
; %bb.481:
	scratch_store_dwordx2 v10, v[6:7], off
.LBB94_482:
	s_or_b64 exec, exec, s[0:1]
	scratch_load_dwordx4 v[2:5], off, off
	scratch_load_dwordx4 v[6:9], v97, off
	scratch_load_dwordx4 v[10:13], v100, off
	;; [unrolled: 1-line block ×8, first 2 shown]
                                        ; kill: killed $vgpr104
                                        ; kill: killed $vgpr105
                                        ; kill: killed $vgpr100
                                        ; kill: killed $vgpr101
                                        ; kill: killed $vgpr103
                                        ; kill: killed $vgpr97
                                        ; kill: killed $vgpr102
                                        ; kill: killed $vgpr96
	s_nop 0
	scratch_load_dwordx4 v[100:103], v99, off
	s_waitcnt vmcnt(9)
	global_store_dwordx4 v[14:15], v[2:5], off
	scratch_load_dwordx4 v[2:5], v98, off
	s_waitcnt vmcnt(10)
	global_store_dwordx4 v[16:17], v[6:9], off
	scratch_load_dwordx4 v[6:9], v94, off
	s_nop 0
	scratch_load_dwordx4 v[14:17], v95, off
	s_waitcnt vmcnt(12)
	global_store_dwordx4 v[18:19], v[10:13], off
	scratch_load_dwordx4 v[10:13], v92, off
	s_nop 0
	;; [unrolled: 5-line block ×10, first 2 shown]
	scratch_load_dwordx4 v[78:81], v1, off
	s_waitcnt vmcnt(28)
	global_store_dwordx4 v[36:37], v[6:9], off
	s_waitcnt vmcnt(28)
	global_store_dwordx4 v[38:39], v[14:17], off
	s_waitcnt vmcnt(27)
	global_store_dwordx4 v[40:41], v[10:13], off
	s_waitcnt vmcnt(27)
	global_store_dwordx4 v[42:43], v[94:97], off
	s_waitcnt vmcnt(26)
	global_store_dwordx4 v[44:45], v[18:21], off
	s_waitcnt vmcnt(26)
	global_store_dwordx4 v[46:47], v[104:107], off
	s_waitcnt vmcnt(25)
	global_store_dwordx4 v[48:49], v[90:93], off
	s_waitcnt vmcnt(25)
	global_store_dwordx4 v[50:51], v[108:111], off
	s_waitcnt vmcnt(24)
	global_store_dwordx4 v[52:53], v[22:25], off
	s_waitcnt vmcnt(24)
	global_store_dwordx4 v[54:55], v[112:115], off
	s_waitcnt vmcnt(23)
	global_store_dwordx4 v[56:57], v[86:89], off
	s_waitcnt vmcnt(23)
	global_store_dwordx4 v[58:59], v[116:119], off
	s_waitcnt vmcnt(22)
	global_store_dwordx4 v[60:61], v[26:29], off
	s_waitcnt vmcnt(22)
	global_store_dwordx4 v[64:65], v[120:123], off
	s_waitcnt vmcnt(21)
	global_store_dwordx4 v[66:67], v[82:85], off
	s_waitcnt vmcnt(21)
	global_store_dwordx4 v[68:69], v[124:127], off
	s_waitcnt vmcnt(20)
	global_store_dwordx4 v[70:71], v[30:33], off
	s_waitcnt vmcnt(20)
	global_store_dwordx4 v[72:73], v[98:101], off
	s_waitcnt vmcnt(19)
	global_store_dwordx4 v[74:75], v[2:5], off
	s_waitcnt vmcnt(19)
	global_store_dwordx4 v[76:77], v[78:81], off
.LBB94_483:
	s_endpgm
	.section	.rodata,"a",@progbits
	.p2align	6, 0x0
	.amdhsa_kernel _ZN9rocsolver6v33100L18trti2_kernel_smallILi31E19rocblas_complex_numIdEPKPS3_EEv13rocblas_fill_17rocblas_diagonal_T1_iil
		.amdhsa_group_segment_fixed_size 992
		.amdhsa_private_segment_fixed_size 512
		.amdhsa_kernarg_size 32
		.amdhsa_user_sgpr_count 2
		.amdhsa_user_sgpr_dispatch_ptr 0
		.amdhsa_user_sgpr_queue_ptr 0
		.amdhsa_user_sgpr_kernarg_segment_ptr 1
		.amdhsa_user_sgpr_dispatch_id 0
		.amdhsa_user_sgpr_kernarg_preload_length 0
		.amdhsa_user_sgpr_kernarg_preload_offset 0
		.amdhsa_user_sgpr_private_segment_size 0
		.amdhsa_uses_dynamic_stack 0
		.amdhsa_enable_private_segment 1
		.amdhsa_system_sgpr_workgroup_id_x 1
		.amdhsa_system_sgpr_workgroup_id_y 0
		.amdhsa_system_sgpr_workgroup_id_z 0
		.amdhsa_system_sgpr_workgroup_info 0
		.amdhsa_system_vgpr_workitem_id 0
		.amdhsa_next_free_vgpr 130
		.amdhsa_next_free_sgpr 12
		.amdhsa_accum_offset 132
		.amdhsa_reserve_vcc 1
		.amdhsa_float_round_mode_32 0
		.amdhsa_float_round_mode_16_64 0
		.amdhsa_float_denorm_mode_32 3
		.amdhsa_float_denorm_mode_16_64 3
		.amdhsa_dx10_clamp 1
		.amdhsa_ieee_mode 1
		.amdhsa_fp16_overflow 0
		.amdhsa_tg_split 0
		.amdhsa_exception_fp_ieee_invalid_op 0
		.amdhsa_exception_fp_denorm_src 0
		.amdhsa_exception_fp_ieee_div_zero 0
		.amdhsa_exception_fp_ieee_overflow 0
		.amdhsa_exception_fp_ieee_underflow 0
		.amdhsa_exception_fp_ieee_inexact 0
		.amdhsa_exception_int_div_zero 0
	.end_amdhsa_kernel
	.section	.text._ZN9rocsolver6v33100L18trti2_kernel_smallILi31E19rocblas_complex_numIdEPKPS3_EEv13rocblas_fill_17rocblas_diagonal_T1_iil,"axG",@progbits,_ZN9rocsolver6v33100L18trti2_kernel_smallILi31E19rocblas_complex_numIdEPKPS3_EEv13rocblas_fill_17rocblas_diagonal_T1_iil,comdat
.Lfunc_end94:
	.size	_ZN9rocsolver6v33100L18trti2_kernel_smallILi31E19rocblas_complex_numIdEPKPS3_EEv13rocblas_fill_17rocblas_diagonal_T1_iil, .Lfunc_end94-_ZN9rocsolver6v33100L18trti2_kernel_smallILi31E19rocblas_complex_numIdEPKPS3_EEv13rocblas_fill_17rocblas_diagonal_T1_iil
                                        ; -- End function
	.section	.AMDGPU.csdata,"",@progbits
; Kernel info:
; codeLenInByte = 20328
; NumSgprs: 18
; NumVgprs: 130
; NumAgprs: 0
; TotalNumVgprs: 130
; ScratchSize: 512
; MemoryBound: 0
; FloatMode: 240
; IeeeMode: 1
; LDSByteSize: 992 bytes/workgroup (compile time only)
; SGPRBlocks: 2
; VGPRBlocks: 16
; NumSGPRsForWavesPerEU: 18
; NumVGPRsForWavesPerEU: 130
; AccumOffset: 132
; Occupancy: 3
; WaveLimiterHint : 1
; COMPUTE_PGM_RSRC2:SCRATCH_EN: 1
; COMPUTE_PGM_RSRC2:USER_SGPR: 2
; COMPUTE_PGM_RSRC2:TRAP_HANDLER: 0
; COMPUTE_PGM_RSRC2:TGID_X_EN: 1
; COMPUTE_PGM_RSRC2:TGID_Y_EN: 0
; COMPUTE_PGM_RSRC2:TGID_Z_EN: 0
; COMPUTE_PGM_RSRC2:TIDIG_COMP_CNT: 0
; COMPUTE_PGM_RSRC3_GFX90A:ACCUM_OFFSET: 32
; COMPUTE_PGM_RSRC3_GFX90A:TG_SPLIT: 0
	.section	.text._ZN9rocsolver6v33100L18trti2_kernel_smallILi32E19rocblas_complex_numIdEPKPS3_EEv13rocblas_fill_17rocblas_diagonal_T1_iil,"axG",@progbits,_ZN9rocsolver6v33100L18trti2_kernel_smallILi32E19rocblas_complex_numIdEPKPS3_EEv13rocblas_fill_17rocblas_diagonal_T1_iil,comdat
	.globl	_ZN9rocsolver6v33100L18trti2_kernel_smallILi32E19rocblas_complex_numIdEPKPS3_EEv13rocblas_fill_17rocblas_diagonal_T1_iil ; -- Begin function _ZN9rocsolver6v33100L18trti2_kernel_smallILi32E19rocblas_complex_numIdEPKPS3_EEv13rocblas_fill_17rocblas_diagonal_T1_iil
	.p2align	8
	.type	_ZN9rocsolver6v33100L18trti2_kernel_smallILi32E19rocblas_complex_numIdEPKPS3_EEv13rocblas_fill_17rocblas_diagonal_T1_iil,@function
_ZN9rocsolver6v33100L18trti2_kernel_smallILi32E19rocblas_complex_numIdEPKPS3_EEv13rocblas_fill_17rocblas_diagonal_T1_iil: ; @_ZN9rocsolver6v33100L18trti2_kernel_smallILi32E19rocblas_complex_numIdEPKPS3_EEv13rocblas_fill_17rocblas_diagonal_T1_iil
; %bb.0:
	v_cmp_gt_u32_e32 vcc, 32, v0
	s_and_saveexec_b64 s[4:5], vcc
	s_cbranch_execz .LBB95_499
; %bb.1:
	s_load_dwordx2 s[8:9], s[0:1], 0x10
	s_load_dwordx4 s[4:7], s[0:1], 0x0
	s_ashr_i32 s3, s2, 31
	s_lshl_b64 s[2:3], s[2:3], 3
	v_lshlrev_b32_e32 v78, 4, v0
	s_waitcnt lgkmcnt(0)
	s_ashr_i32 s1, s8, 31
	s_add_u32 s2, s6, s2
	s_addc_u32 s3, s7, s3
	s_load_dwordx2 s[2:3], s[2:3], 0x0
	s_mov_b32 s0, s8
	s_lshl_b64 s[0:1], s[0:1], 4
	v_mov_b32_e32 v79, 0
	s_waitcnt lgkmcnt(0)
	s_add_u32 s0, s2, s0
	s_addc_u32 s1, s3, s1
	s_add_i32 s2, s9, s9
	v_add_u32_e32 v10, s2, v0
	v_add_u32_e32 v14, s9, v10
	s_mov_b32 s2, s9
	s_ashr_i32 s3, s9, 31
	v_lshl_add_u64 v[44:45], s[0:1], 0, v[78:79]
	v_ashrrev_i32_e32 v11, 31, v10
	global_load_dwordx4 v[2:5], v78, s[0:1]
	v_lshl_add_u64 v[38:39], s[2:3], 4, v[44:45]
	v_lshl_add_u64 v[40:41], v[10:11], 4, s[0:1]
	v_ashrrev_i32_e32 v15, 31, v14
	global_load_dwordx4 v[6:9], v[38:39], off
	global_load_dwordx4 v[10:13], v[40:41], off
	v_lshl_add_u64 v[32:33], v[14:15], 4, s[0:1]
	global_load_dwordx4 v[48:51], v[32:33], off
	v_add_u32_e32 v14, s9, v14
	v_ashrrev_i32_e32 v15, 31, v14
	v_lshl_add_u64 v[30:31], v[14:15], 4, s[0:1]
	v_add_u32_e32 v14, s9, v14
	v_add_u32_e32 v16, s9, v14
	v_ashrrev_i32_e32 v15, 31, v14
	v_add_u32_e32 v18, s9, v16
	v_lshl_add_u64 v[34:35], v[14:15], 4, s[0:1]
	v_ashrrev_i32_e32 v17, 31, v16
	v_add_u32_e32 v14, s9, v18
	v_lshl_add_u64 v[22:23], v[16:17], 4, s[0:1]
	v_add_u32_e32 v16, s9, v14
	v_ashrrev_i32_e32 v19, 31, v18
	v_ashrrev_i32_e32 v15, 31, v14
	v_add_u32_e32 v20, s9, v16
	v_lshl_add_u64 v[26:27], v[18:19], 4, s[0:1]
	v_lshl_add_u64 v[18:19], v[14:15], 4, s[0:1]
	v_add_u32_e32 v14, s9, v20
	v_add_u32_e32 v28, s9, v14
	;; [unrolled: 1-line block ×19, first 2 shown]
	v_ashrrev_i32_e32 v17, 31, v16
	v_ashrrev_i32_e32 v21, 31, v20
	;; [unrolled: 1-line block ×6, first 2 shown]
	v_add_u32_e32 v128, s9, v126
	v_lshl_add_u64 v[24:25], v[16:17], 4, s[0:1]
	v_lshl_add_u64 v[16:17], v[20:21], 4, s[0:1]
	;; [unrolled: 1-line block ×6, first 2 shown]
	v_add_u32_e32 v42, s9, v128
	v_ashrrev_i32_e32 v43, 31, v42
	v_lshl_add_u64 v[42:43], v[42:43], 4, s[0:1]
	global_load_dwordx4 v[52:55], v[30:31], off
	global_load_dwordx4 v[56:59], v[34:35], off
	;; [unrolled: 1-line block ×9, first 2 shown]
	v_ashrrev_i32_e32 v47, 31, v46
	global_load_dwordx4 v[92:95], v[42:43], off
	v_ashrrev_i32_e32 v101, 31, v100
	v_lshl_add_u64 v[46:47], v[46:47], 4, s[0:1]
	v_ashrrev_i32_e32 v77, 31, v76
	v_ashrrev_i32_e32 v105, 31, v104
	;; [unrolled: 1-line block ×5, first 2 shown]
	s_waitcnt vmcnt(13)
	scratch_store_dwordx4 off, v[2:5], off
	s_waitcnt vmcnt(13)
	scratch_store_dwordx4 off, v[6:9], off offset:16
	global_load_dwordx4 v[2:5], v[28:29], off
	s_nop 0
	global_load_dwordx4 v[6:9], v[36:37], off
	s_waitcnt vmcnt(15)
	scratch_store_dwordx4 off, v[10:13], off offset:32
	s_waitcnt vmcnt(15)
	scratch_store_dwordx4 off, v[48:51], off offset:48
	v_ashrrev_i32_e32 v119, 31, v118
	s_nop 0
	v_lshl_add_u64 v[50:51], v[100:101], 4, s[0:1]
	v_lshl_add_u64 v[48:49], v[76:77], 4, s[0:1]
	global_load_dwordx4 v[10:13], v[46:47], off
	global_load_dwordx4 v[96:99], v[48:49], off
	;; [unrolled: 1-line block ×3, first 2 shown]
	v_ashrrev_i32_e32 v123, 31, v122
	v_ashrrev_i32_e32 v127, 31, v126
	;; [unrolled: 1-line block ×8, first 2 shown]
	v_lshl_add_u64 v[76:77], v[128:129], 4, s[0:1]
	s_cmpk_lg_i32 s5, 0x84
	s_cselect_b64 s[6:7], -1, 0
	s_cmpk_eq_i32 s5, 0x84
	s_waitcnt vmcnt(18)
	scratch_store_dwordx4 off, v[52:55], off offset:64
	s_nop 1
	v_lshl_add_u64 v[52:53], v[104:105], 4, s[0:1]
	v_lshl_add_u64 v[54:55], v[106:107], 4, s[0:1]
	s_waitcnt vmcnt(18)
	scratch_store_dwordx4 off, v[56:59], off offset:80
	s_waitcnt vmcnt(18)
	scratch_store_dwordx4 off, v[60:63], off offset:96
	s_waitcnt vmcnt(18)
	scratch_store_dwordx4 off, v[64:67], off offset:112
	s_waitcnt vmcnt(18)
	scratch_store_dwordx4 off, v[68:71], off offset:128
	s_waitcnt vmcnt(18)
	scratch_store_dwordx4 off, v[72:75], off offset:144
	s_waitcnt vmcnt(18)
	scratch_store_dwordx4 off, v[80:83], off offset:160
	s_waitcnt vmcnt(18)
	scratch_store_dwordx4 off, v[84:87], off offset:176
	s_waitcnt vmcnt(18)
	scratch_store_dwordx4 off, v[88:91], off offset:192
	s_waitcnt vmcnt(15)
	scratch_store_dwordx4 off, v[2:5], off offset:208
	s_waitcnt vmcnt(15)
	scratch_store_dwordx4 off, v[6:9], off offset:224
	s_waitcnt vmcnt(13)
	scratch_store_dwordx4 off, v[10:13], off offset:240
	s_waitcnt vmcnt(13)
	scratch_store_dwordx4 off, v[96:99], off offset:256
	s_waitcnt vmcnt(13)
	scratch_store_dwordx4 off, v[100:103], off offset:272
	v_lshl_add_u64 v[58:59], v[110:111], 4, s[0:1]
	v_lshl_add_u64 v[62:63], v[114:115], 4, s[0:1]
	;; [unrolled: 1-line block ×5, first 2 shown]
	global_load_dwordx4 v[2:5], v[52:53], off
	v_lshl_add_u64 v[56:57], v[108:109], 4, s[0:1]
	global_load_dwordx4 v[6:9], v[54:55], off
	global_load_dwordx4 v[10:13], v[56:57], off
	v_lshl_add_u64 v[60:61], v[112:113], 4, s[0:1]
	global_load_dwordx4 v[80:83], v[58:59], off
	;; [unrolled: 3-line block ×5, first 2 shown]
	global_load_dwordx4 v[112:115], v[72:73], off
	global_load_dwordx4 v[116:119], v[74:75], off
	;; [unrolled: 1-line block ×3, first 2 shown]
	s_waitcnt vmcnt(12)
	scratch_store_dwordx4 off, v[2:5], off offset:288
	s_waitcnt vmcnt(12)
	scratch_store_dwordx4 off, v[6:9], off offset:304
	;; [unrolled: 2-line block ×13, first 2 shown]
	scratch_store_dwordx4 off, v[92:95], off offset:496
	v_mov_b32_e32 v12, 0
	s_cbranch_scc1 .LBB95_7
; %bb.2:
	scratch_load_dwordx4 v[2:5], v78, off
                                        ; implicit-def: $vgpr10_vgpr11
	s_waitcnt vmcnt(0)
	v_xor_b32_e32 v1, 0x80000000, v3
	v_cmp_gt_f64_e32 vcc, 0, v[2:3]
	v_xor_b32_e32 v8, 0x80000000, v5
	v_mov_b32_e32 v6, v2
	v_cndmask_b32_e32 v7, v3, v1, vcc
	v_cmp_gt_f64_e32 vcc, 0, v[4:5]
	s_nop 1
	v_cndmask_b32_e32 v9, v5, v8, vcc
	v_mov_b32_e32 v8, v4
	v_cmp_ngt_f64_e32 vcc, v[6:7], v[8:9]
                                        ; implicit-def: $vgpr6_vgpr7
	s_and_saveexec_b64 s[0:1], vcc
	s_xor_b64 s[0:1], exec, s[0:1]
	s_cbranch_execz .LBB95_4
; %bb.3:
	v_div_scale_f64 v[6:7], s[2:3], v[4:5], v[4:5], v[2:3]
	v_rcp_f64_e32 v[8:9], v[6:7]
	v_div_scale_f64 v[10:11], vcc, v[2:3], v[4:5], v[2:3]
	v_fma_f64 v[80:81], -v[6:7], v[8:9], 1.0
	v_fmac_f64_e32 v[8:9], v[8:9], v[80:81]
	v_fma_f64 v[80:81], -v[6:7], v[8:9], 1.0
	v_fmac_f64_e32 v[8:9], v[8:9], v[80:81]
	v_mul_f64 v[80:81], v[10:11], v[8:9]
	v_fma_f64 v[6:7], -v[6:7], v[80:81], v[10:11]
	v_div_fmas_f64 v[6:7], v[6:7], v[8:9], v[80:81]
	v_div_fixup_f64 v[6:7], v[6:7], v[4:5], v[2:3]
	v_fmac_f64_e32 v[4:5], v[2:3], v[6:7]
	v_div_scale_f64 v[2:3], s[2:3], v[4:5], v[4:5], 1.0
	v_rcp_f64_e32 v[8:9], v[2:3]
	s_nop 0
	v_fma_f64 v[10:11], -v[2:3], v[8:9], 1.0
	v_fmac_f64_e32 v[8:9], v[8:9], v[10:11]
	v_fma_f64 v[10:11], -v[2:3], v[8:9], 1.0
	v_fmac_f64_e32 v[8:9], v[8:9], v[10:11]
	v_div_scale_f64 v[10:11], vcc, 1.0, v[4:5], 1.0
	v_mul_f64 v[80:81], v[10:11], v[8:9]
	v_fma_f64 v[2:3], -v[2:3], v[80:81], v[10:11]
	s_nop 1
	v_div_fmas_f64 v[2:3], v[2:3], v[8:9], v[80:81]
	v_div_fixup_f64 v[8:9], v[2:3], v[4:5], 1.0
	v_mul_f64 v[6:7], v[6:7], v[8:9]
	v_xor_b32_e32 v9, 0x80000000, v9
	v_xor_b32_e32 v11, 0x80000000, v7
	v_mov_b32_e32 v10, v6
                                        ; implicit-def: $vgpr2_vgpr3
.LBB95_4:
	s_or_saveexec_b64 s[0:1], s[0:1]
	v_add_u32_e32 v1, 0, v78
	s_xor_b64 exec, exec, s[0:1]
	s_cbranch_execz .LBB95_6
; %bb.5:
	v_div_scale_f64 v[6:7], s[2:3], v[2:3], v[2:3], v[4:5]
	v_rcp_f64_e32 v[8:9], v[6:7]
	v_div_scale_f64 v[10:11], vcc, v[4:5], v[2:3], v[4:5]
	v_fma_f64 v[80:81], -v[6:7], v[8:9], 1.0
	v_fmac_f64_e32 v[8:9], v[8:9], v[80:81]
	v_fma_f64 v[80:81], -v[6:7], v[8:9], 1.0
	v_fmac_f64_e32 v[8:9], v[8:9], v[80:81]
	v_mul_f64 v[80:81], v[10:11], v[8:9]
	v_fma_f64 v[6:7], -v[6:7], v[80:81], v[10:11]
	v_div_fmas_f64 v[6:7], v[6:7], v[8:9], v[80:81]
	v_div_fixup_f64 v[8:9], v[6:7], v[2:3], v[4:5]
	v_fmac_f64_e32 v[2:3], v[4:5], v[8:9]
	v_div_scale_f64 v[4:5], s[2:3], v[2:3], v[2:3], 1.0
	v_rcp_f64_e32 v[6:7], v[4:5]
	s_nop 0
	v_fma_f64 v[10:11], -v[4:5], v[6:7], 1.0
	v_fmac_f64_e32 v[6:7], v[6:7], v[10:11]
	v_fma_f64 v[10:11], -v[4:5], v[6:7], 1.0
	v_fmac_f64_e32 v[6:7], v[6:7], v[10:11]
	v_div_scale_f64 v[10:11], vcc, 1.0, v[2:3], 1.0
	v_mul_f64 v[80:81], v[10:11], v[6:7]
	v_fma_f64 v[4:5], -v[4:5], v[80:81], v[10:11]
	s_nop 1
	v_div_fmas_f64 v[4:5], v[4:5], v[6:7], v[80:81]
	v_div_fixup_f64 v[6:7], v[4:5], v[2:3], 1.0
	v_xor_b32_e32 v11, 0x80000000, v7
	v_mov_b32_e32 v10, v6
	v_mul_f64 v[8:9], v[8:9], -v[6:7]
.LBB95_6:
	s_or_b64 exec, exec, s[0:1]
	scratch_store_dwordx4 v1, v[6:9], off
	s_nop 1
	v_xor_b32_e32 v9, 0x80000000, v9
	s_branch .LBB95_8
.LBB95_7:
	v_mov_b64_e32 v[8:9], 0
	v_mov_b64_e32 v[10:11], -1.0
.LBB95_8:
	v_add_u32_e32 v104, 16, v12
	v_add_u32_e32 v101, 32, v12
	;; [unrolled: 1-line block ×31, first 2 shown]
	v_mov_b32_e32 v12, v8
	v_mov_b32_e32 v13, v9
	s_cmpk_eq_i32 s4, 0x79
	v_add_u32_e32 v9, 0x200, v78
	v_add_u32_e32 v8, 0, v78
	ds_write_b128 v78, v[10:13]
	s_cbranch_scc1 .LBB95_252
; %bb.9:
	scratch_load_dwordx4 v[2:5], v1, off
	v_cmp_eq_u32_e64 s[0:1], 31, v0
	s_waitcnt vmcnt(0)
	ds_write_b128 v9, v[2:5]
	s_waitcnt lgkmcnt(0)
	; wave barrier
	s_waitcnt lgkmcnt(0)
	s_and_saveexec_b64 s[2:3], s[0:1]
	s_cbranch_execz .LBB95_13
; %bb.10:
	ds_read_b128 v[2:5], v9
	s_andn2_b64 vcc, exec, s[6:7]
	s_cbranch_vccnz .LBB95_12
; %bb.11:
	scratch_load_dwordx4 v[10:13], v8, off
	s_waitcnt vmcnt(0) lgkmcnt(0)
	v_mul_f64 v[6:7], v[4:5], v[12:13]
	v_mul_f64 v[12:13], v[2:3], v[12:13]
	v_fmac_f64_e32 v[12:13], v[4:5], v[10:11]
	v_fma_f64 v[2:3], v[2:3], v[10:11], -v[6:7]
	v_mov_b64_e32 v[4:5], v[12:13]
.LBB95_12:
	v_mov_b32_e32 v6, 0
	ds_read_b128 v[10:13], v6 offset:480
	s_waitcnt lgkmcnt(0)
	v_mul_f64 v[6:7], v[4:5], v[12:13]
	v_mul_f64 v[112:113], v[2:3], v[12:13]
	v_fma_f64 v[110:111], v[2:3], v[10:11], -v[6:7]
	v_fmac_f64_e32 v[112:113], v[4:5], v[10:11]
	scratch_store_dwordx4 off, v[110:113], off offset:480
.LBB95_13:
	s_or_b64 exec, exec, s[2:3]
	scratch_load_dwordx4 v[2:5], v81, off
	v_cmp_lt_u32_e64 s[2:3], 29, v0
	s_waitcnt vmcnt(0)
	ds_write_b128 v9, v[2:5]
	s_waitcnt lgkmcnt(0)
	; wave barrier
	s_waitcnt lgkmcnt(0)
	s_and_saveexec_b64 s[4:5], s[2:3]
	s_cbranch_execz .LBB95_19
; %bb.14:
	ds_read_b128 v[2:5], v9
	s_andn2_b64 vcc, exec, s[6:7]
	s_cbranch_vccnz .LBB95_16
; %bb.15:
	scratch_load_dwordx4 v[10:13], v8, off
	s_waitcnt vmcnt(0) lgkmcnt(0)
	v_mul_f64 v[6:7], v[4:5], v[12:13]
	v_mul_f64 v[12:13], v[2:3], v[12:13]
	v_fmac_f64_e32 v[12:13], v[4:5], v[10:11]
	v_fma_f64 v[2:3], v[2:3], v[10:11], -v[6:7]
	v_mov_b64_e32 v[4:5], v[12:13]
.LBB95_16:
	s_and_saveexec_b64 s[8:9], s[0:1]
	s_cbranch_execz .LBB95_18
; %bb.17:
	scratch_load_dwordx4 v[10:13], off, off offset:480
	v_mov_b32_e32 v6, 0
	ds_read_b128 v[110:113], v6 offset:992
	s_waitcnt vmcnt(0) lgkmcnt(0)
	v_mul_f64 v[6:7], v[110:111], v[12:13]
	v_mul_f64 v[12:13], v[112:113], v[12:13]
	v_fmac_f64_e32 v[6:7], v[112:113], v[10:11]
	v_fma_f64 v[10:11], v[110:111], v[10:11], -v[12:13]
	v_add_f64 v[4:5], v[4:5], v[6:7]
	v_add_f64 v[2:3], v[2:3], v[10:11]
.LBB95_18:
	s_or_b64 exec, exec, s[8:9]
	v_mov_b32_e32 v6, 0
	ds_read_b128 v[10:13], v6 offset:464
	s_waitcnt lgkmcnt(0)
	v_mul_f64 v[6:7], v[4:5], v[12:13]
	v_mul_f64 v[112:113], v[2:3], v[12:13]
	v_fma_f64 v[110:111], v[2:3], v[10:11], -v[6:7]
	v_fmac_f64_e32 v[112:113], v[4:5], v[10:11]
	scratch_store_dwordx4 off, v[110:113], off offset:464
.LBB95_19:
	s_or_b64 exec, exec, s[4:5]
	scratch_load_dwordx4 v[2:5], v80, off
	v_cmp_lt_u32_e64 s[0:1], 28, v0
	s_waitcnt vmcnt(0)
	ds_write_b128 v9, v[2:5]
	s_waitcnt lgkmcnt(0)
	; wave barrier
	s_waitcnt lgkmcnt(0)
	s_and_saveexec_b64 s[4:5], s[0:1]
	s_cbranch_execz .LBB95_27
; %bb.20:
	ds_read_b128 v[2:5], v9
	s_andn2_b64 vcc, exec, s[6:7]
	s_cbranch_vccnz .LBB95_22
; %bb.21:
	scratch_load_dwordx4 v[10:13], v8, off
	s_waitcnt vmcnt(0) lgkmcnt(0)
	v_mul_f64 v[6:7], v[4:5], v[12:13]
	v_mul_f64 v[12:13], v[2:3], v[12:13]
	v_fmac_f64_e32 v[12:13], v[4:5], v[10:11]
	v_fma_f64 v[2:3], v[2:3], v[10:11], -v[6:7]
	v_mov_b64_e32 v[4:5], v[12:13]
.LBB95_22:
	s_and_saveexec_b64 s[8:9], s[2:3]
	s_cbranch_execz .LBB95_26
; %bb.23:
	v_mov_b32_e32 v7, 0
	v_subrev_u32_e32 v6, 29, v0
	v_add_u32_e32 v7, 0x1d8, v7
	s_movk_i32 s10, 0x3d0
	s_mov_b64 s[2:3], 0
.LBB95_24:                              ; =>This Inner Loop Header: Depth=1
	v_add_u32_e32 v10, -8, v7
	scratch_load_dwordx4 v[10:13], v10, off
	v_mov_b32_e32 v109, s10
	ds_read_b128 v[110:113], v109
	v_add_u32_e32 v6, -1, v6
	s_add_i32 s10, s10, 16
	v_cmp_eq_u32_e32 vcc, 0, v6
	v_add_u32_e32 v7, 16, v7
	s_or_b64 s[2:3], vcc, s[2:3]
	s_waitcnt vmcnt(0) lgkmcnt(0)
	v_mul_f64 v[114:115], v[112:113], v[12:13]
	v_mul_f64 v[12:13], v[110:111], v[12:13]
	v_fma_f64 v[110:111], v[110:111], v[10:11], -v[114:115]
	v_fmac_f64_e32 v[12:13], v[112:113], v[10:11]
	v_add_f64 v[2:3], v[2:3], v[110:111]
	v_add_f64 v[4:5], v[4:5], v[12:13]
	s_andn2_b64 exec, exec, s[2:3]
	s_cbranch_execnz .LBB95_24
; %bb.25:
	s_or_b64 exec, exec, s[2:3]
.LBB95_26:
	s_or_b64 exec, exec, s[8:9]
	v_mov_b32_e32 v6, 0
	ds_read_b128 v[10:13], v6 offset:448
	s_waitcnt lgkmcnt(0)
	v_mul_f64 v[6:7], v[4:5], v[12:13]
	v_mul_f64 v[112:113], v[2:3], v[12:13]
	v_fma_f64 v[110:111], v[2:3], v[10:11], -v[6:7]
	v_fmac_f64_e32 v[112:113], v[4:5], v[10:11]
	scratch_store_dwordx4 off, v[110:113], off offset:448
.LBB95_27:
	s_or_b64 exec, exec, s[4:5]
	scratch_load_dwordx4 v[2:5], v83, off
	v_cmp_lt_u32_e64 s[2:3], 27, v0
	s_waitcnt vmcnt(0)
	ds_write_b128 v9, v[2:5]
	s_waitcnt lgkmcnt(0)
	; wave barrier
	s_waitcnt lgkmcnt(0)
	s_and_saveexec_b64 s[4:5], s[2:3]
	s_cbranch_execz .LBB95_35
; %bb.28:
	ds_read_b128 v[2:5], v9
	s_andn2_b64 vcc, exec, s[6:7]
	s_cbranch_vccnz .LBB95_30
; %bb.29:
	scratch_load_dwordx4 v[10:13], v8, off
	s_waitcnt vmcnt(0) lgkmcnt(0)
	v_mul_f64 v[6:7], v[4:5], v[12:13]
	v_mul_f64 v[12:13], v[2:3], v[12:13]
	v_fmac_f64_e32 v[12:13], v[4:5], v[10:11]
	v_fma_f64 v[2:3], v[2:3], v[10:11], -v[6:7]
	v_mov_b64_e32 v[4:5], v[12:13]
.LBB95_30:
	s_and_saveexec_b64 s[8:9], s[0:1]
	s_cbranch_execz .LBB95_34
; %bb.31:
	v_mov_b32_e32 v7, 0
	v_subrev_u32_e32 v6, 28, v0
	v_add_u32_e32 v7, 0x1c8, v7
	s_movk_i32 s10, 0x3c0
	s_mov_b64 s[0:1], 0
.LBB95_32:                              ; =>This Inner Loop Header: Depth=1
	v_add_u32_e32 v10, -8, v7
	scratch_load_dwordx4 v[10:13], v10, off
	v_mov_b32_e32 v109, s10
	ds_read_b128 v[110:113], v109
	v_add_u32_e32 v6, -1, v6
	s_add_i32 s10, s10, 16
	v_cmp_eq_u32_e32 vcc, 0, v6
	v_add_u32_e32 v7, 16, v7
	s_or_b64 s[0:1], vcc, s[0:1]
	s_waitcnt vmcnt(0) lgkmcnt(0)
	v_mul_f64 v[114:115], v[112:113], v[12:13]
	v_mul_f64 v[12:13], v[110:111], v[12:13]
	v_fma_f64 v[110:111], v[110:111], v[10:11], -v[114:115]
	v_fmac_f64_e32 v[12:13], v[112:113], v[10:11]
	v_add_f64 v[2:3], v[2:3], v[110:111]
	v_add_f64 v[4:5], v[4:5], v[12:13]
	s_andn2_b64 exec, exec, s[0:1]
	s_cbranch_execnz .LBB95_32
; %bb.33:
	s_or_b64 exec, exec, s[0:1]
.LBB95_34:
	s_or_b64 exec, exec, s[8:9]
	v_mov_b32_e32 v6, 0
	ds_read_b128 v[10:13], v6 offset:432
	s_waitcnt lgkmcnt(0)
	v_mul_f64 v[6:7], v[4:5], v[12:13]
	v_mul_f64 v[112:113], v[2:3], v[12:13]
	v_fma_f64 v[110:111], v[2:3], v[10:11], -v[6:7]
	v_fmac_f64_e32 v[112:113], v[4:5], v[10:11]
	scratch_store_dwordx4 off, v[110:113], off offset:432
.LBB95_35:
	;; [unrolled: 63-line block ×10, first 2 shown]
	s_or_b64 exec, exec, s[4:5]
	scratch_load_dwordx4 v[2:5], v91, off
	v_cmp_lt_u32_e64 s[0:1], 18, v0
	s_waitcnt vmcnt(0)
	ds_write_b128 v9, v[2:5]
	s_waitcnt lgkmcnt(0)
	; wave barrier
	s_waitcnt lgkmcnt(0)
	s_and_saveexec_b64 s[4:5], s[0:1]
	s_cbranch_execz .LBB95_107
; %bb.100:
	ds_read_b128 v[2:5], v9
	s_andn2_b64 vcc, exec, s[6:7]
	s_cbranch_vccnz .LBB95_102
; %bb.101:
	scratch_load_dwordx4 v[10:13], v8, off
	s_waitcnt vmcnt(0) lgkmcnt(0)
	v_mul_f64 v[6:7], v[4:5], v[12:13]
	v_mul_f64 v[12:13], v[2:3], v[12:13]
	v_fmac_f64_e32 v[12:13], v[4:5], v[10:11]
	v_fma_f64 v[2:3], v[2:3], v[10:11], -v[6:7]
	v_mov_b64_e32 v[4:5], v[12:13]
.LBB95_102:
	s_and_saveexec_b64 s[8:9], s[2:3]
	s_cbranch_execz .LBB95_106
; %bb.103:
	v_mov_b32_e32 v7, 0
	v_subrev_u32_e32 v6, 19, v0
	v_add_u32_e32 v7, 0x138, v7
	s_movk_i32 s10, 0x330
	s_mov_b64 s[2:3], 0
.LBB95_104:                             ; =>This Inner Loop Header: Depth=1
	v_add_u32_e32 v10, -8, v7
	scratch_load_dwordx4 v[10:13], v10, off
	v_mov_b32_e32 v109, s10
	ds_read_b128 v[110:113], v109
	v_add_u32_e32 v6, -1, v6
	s_add_i32 s10, s10, 16
	v_cmp_eq_u32_e32 vcc, 0, v6
	v_add_u32_e32 v7, 16, v7
	s_or_b64 s[2:3], vcc, s[2:3]
	s_waitcnt vmcnt(0) lgkmcnt(0)
	v_mul_f64 v[114:115], v[112:113], v[12:13]
	v_mul_f64 v[12:13], v[110:111], v[12:13]
	v_fma_f64 v[110:111], v[110:111], v[10:11], -v[114:115]
	v_fmac_f64_e32 v[12:13], v[112:113], v[10:11]
	v_add_f64 v[2:3], v[2:3], v[110:111]
	v_add_f64 v[4:5], v[4:5], v[12:13]
	s_andn2_b64 exec, exec, s[2:3]
	s_cbranch_execnz .LBB95_104
; %bb.105:
	s_or_b64 exec, exec, s[2:3]
.LBB95_106:
	s_or_b64 exec, exec, s[8:9]
	v_mov_b32_e32 v6, 0
	ds_read_b128 v[10:13], v6 offset:288
	s_waitcnt lgkmcnt(0)
	v_mul_f64 v[6:7], v[4:5], v[12:13]
	v_mul_f64 v[112:113], v[2:3], v[12:13]
	v_fma_f64 v[110:111], v[2:3], v[10:11], -v[6:7]
	v_fmac_f64_e32 v[112:113], v[4:5], v[10:11]
	scratch_store_dwordx4 off, v[110:113], off offset:288
.LBB95_107:
	s_or_b64 exec, exec, s[4:5]
	scratch_load_dwordx4 v[2:5], v93, off
	v_cmp_lt_u32_e64 s[2:3], 17, v0
	s_waitcnt vmcnt(0)
	ds_write_b128 v9, v[2:5]
	s_waitcnt lgkmcnt(0)
	; wave barrier
	s_waitcnt lgkmcnt(0)
	s_and_saveexec_b64 s[4:5], s[2:3]
	s_cbranch_execz .LBB95_115
; %bb.108:
	ds_read_b128 v[2:5], v9
	s_andn2_b64 vcc, exec, s[6:7]
	s_cbranch_vccnz .LBB95_110
; %bb.109:
	scratch_load_dwordx4 v[10:13], v8, off
	s_waitcnt vmcnt(0) lgkmcnt(0)
	v_mul_f64 v[6:7], v[4:5], v[12:13]
	v_mul_f64 v[12:13], v[2:3], v[12:13]
	v_fmac_f64_e32 v[12:13], v[4:5], v[10:11]
	v_fma_f64 v[2:3], v[2:3], v[10:11], -v[6:7]
	v_mov_b64_e32 v[4:5], v[12:13]
.LBB95_110:
	s_and_saveexec_b64 s[8:9], s[0:1]
	s_cbranch_execz .LBB95_114
; %bb.111:
	v_mov_b32_e32 v7, 0
	v_subrev_u32_e32 v6, 18, v0
	v_add_u32_e32 v7, 0x128, v7
	s_movk_i32 s10, 0x320
	s_mov_b64 s[0:1], 0
.LBB95_112:                             ; =>This Inner Loop Header: Depth=1
	v_add_u32_e32 v10, -8, v7
	scratch_load_dwordx4 v[10:13], v10, off
	v_mov_b32_e32 v109, s10
	ds_read_b128 v[110:113], v109
	v_add_u32_e32 v6, -1, v6
	s_add_i32 s10, s10, 16
	v_cmp_eq_u32_e32 vcc, 0, v6
	v_add_u32_e32 v7, 16, v7
	s_or_b64 s[0:1], vcc, s[0:1]
	s_waitcnt vmcnt(0) lgkmcnt(0)
	v_mul_f64 v[114:115], v[112:113], v[12:13]
	v_mul_f64 v[12:13], v[110:111], v[12:13]
	v_fma_f64 v[110:111], v[110:111], v[10:11], -v[114:115]
	v_fmac_f64_e32 v[12:13], v[112:113], v[10:11]
	v_add_f64 v[2:3], v[2:3], v[110:111]
	v_add_f64 v[4:5], v[4:5], v[12:13]
	s_andn2_b64 exec, exec, s[0:1]
	s_cbranch_execnz .LBB95_112
; %bb.113:
	s_or_b64 exec, exec, s[0:1]
.LBB95_114:
	s_or_b64 exec, exec, s[8:9]
	v_mov_b32_e32 v6, 0
	ds_read_b128 v[10:13], v6 offset:272
	s_waitcnt lgkmcnt(0)
	v_mul_f64 v[6:7], v[4:5], v[12:13]
	v_mul_f64 v[112:113], v[2:3], v[12:13]
	v_fma_f64 v[110:111], v[2:3], v[10:11], -v[6:7]
	v_fmac_f64_e32 v[112:113], v[4:5], v[10:11]
	scratch_store_dwordx4 off, v[110:113], off offset:272
.LBB95_115:
	;; [unrolled: 63-line block ×3, first 2 shown]
	s_or_b64 exec, exec, s[4:5]
	scratch_load_dwordx4 v[2:5], v95, off
	v_cmp_lt_u32_e64 s[2:3], 15, v0
	s_waitcnt vmcnt(0)
	ds_write_b128 v9, v[2:5]
	s_waitcnt lgkmcnt(0)
	; wave barrier
	s_waitcnt lgkmcnt(0)
	s_and_saveexec_b64 s[4:5], s[2:3]
	s_cbranch_execz .LBB95_131
; %bb.124:
	ds_read_b128 v[2:5], v9
	s_andn2_b64 vcc, exec, s[6:7]
	s_cbranch_vccnz .LBB95_126
; %bb.125:
	scratch_load_dwordx4 v[10:13], v8, off
	s_waitcnt vmcnt(0) lgkmcnt(0)
	v_mul_f64 v[6:7], v[4:5], v[12:13]
	v_mul_f64 v[12:13], v[2:3], v[12:13]
	v_fmac_f64_e32 v[12:13], v[4:5], v[10:11]
	v_fma_f64 v[2:3], v[2:3], v[10:11], -v[6:7]
	v_mov_b64_e32 v[4:5], v[12:13]
.LBB95_126:
	s_and_saveexec_b64 s[8:9], s[0:1]
	s_cbranch_execz .LBB95_130
; %bb.127:
	v_mov_b32_e32 v7, 0
	v_add_u32_e32 v6, -16, v0
	v_add_u32_e32 v7, 0x108, v7
	s_movk_i32 s10, 0x300
	s_mov_b64 s[0:1], 0
.LBB95_128:                             ; =>This Inner Loop Header: Depth=1
	v_add_u32_e32 v10, -8, v7
	scratch_load_dwordx4 v[10:13], v10, off
	v_mov_b32_e32 v109, s10
	ds_read_b128 v[110:113], v109
	v_add_u32_e32 v6, -1, v6
	s_add_i32 s10, s10, 16
	v_cmp_eq_u32_e32 vcc, 0, v6
	v_add_u32_e32 v7, 16, v7
	s_or_b64 s[0:1], vcc, s[0:1]
	s_waitcnt vmcnt(0) lgkmcnt(0)
	v_mul_f64 v[114:115], v[112:113], v[12:13]
	v_mul_f64 v[12:13], v[110:111], v[12:13]
	v_fma_f64 v[110:111], v[110:111], v[10:11], -v[114:115]
	v_fmac_f64_e32 v[12:13], v[112:113], v[10:11]
	v_add_f64 v[2:3], v[2:3], v[110:111]
	v_add_f64 v[4:5], v[4:5], v[12:13]
	s_andn2_b64 exec, exec, s[0:1]
	s_cbranch_execnz .LBB95_128
; %bb.129:
	s_or_b64 exec, exec, s[0:1]
.LBB95_130:
	s_or_b64 exec, exec, s[8:9]
	v_mov_b32_e32 v6, 0
	ds_read_b128 v[10:13], v6 offset:240
	s_waitcnt lgkmcnt(0)
	v_mul_f64 v[6:7], v[4:5], v[12:13]
	v_mul_f64 v[112:113], v[2:3], v[12:13]
	v_fma_f64 v[110:111], v[2:3], v[10:11], -v[6:7]
	v_fmac_f64_e32 v[112:113], v[4:5], v[10:11]
	scratch_store_dwordx4 off, v[110:113], off offset:240
.LBB95_131:
	s_or_b64 exec, exec, s[4:5]
	scratch_load_dwordx4 v[2:5], v94, off
	v_cmp_lt_u32_e64 s[0:1], 14, v0
	s_waitcnt vmcnt(0)
	ds_write_b128 v9, v[2:5]
	s_waitcnt lgkmcnt(0)
	; wave barrier
	s_waitcnt lgkmcnt(0)
	s_and_saveexec_b64 s[4:5], s[0:1]
	s_cbranch_execz .LBB95_139
; %bb.132:
	ds_read_b128 v[2:5], v9
	s_andn2_b64 vcc, exec, s[6:7]
	s_cbranch_vccnz .LBB95_134
; %bb.133:
	scratch_load_dwordx4 v[10:13], v8, off
	s_waitcnt vmcnt(0) lgkmcnt(0)
	v_mul_f64 v[6:7], v[4:5], v[12:13]
	v_mul_f64 v[12:13], v[2:3], v[12:13]
	v_fmac_f64_e32 v[12:13], v[4:5], v[10:11]
	v_fma_f64 v[2:3], v[2:3], v[10:11], -v[6:7]
	v_mov_b64_e32 v[4:5], v[12:13]
.LBB95_134:
	s_and_saveexec_b64 s[8:9], s[2:3]
	s_cbranch_execz .LBB95_138
; %bb.135:
	v_mov_b32_e32 v7, 0
	v_add_u32_e32 v6, -15, v0
	v_add_u32_e32 v7, 0xf8, v7
	s_movk_i32 s10, 0x2f0
	s_mov_b64 s[2:3], 0
.LBB95_136:                             ; =>This Inner Loop Header: Depth=1
	v_add_u32_e32 v10, -8, v7
	scratch_load_dwordx4 v[10:13], v10, off
	v_mov_b32_e32 v109, s10
	ds_read_b128 v[110:113], v109
	v_add_u32_e32 v6, -1, v6
	s_add_i32 s10, s10, 16
	v_cmp_eq_u32_e32 vcc, 0, v6
	v_add_u32_e32 v7, 16, v7
	s_or_b64 s[2:3], vcc, s[2:3]
	s_waitcnt vmcnt(0) lgkmcnt(0)
	v_mul_f64 v[114:115], v[112:113], v[12:13]
	v_mul_f64 v[12:13], v[110:111], v[12:13]
	v_fma_f64 v[110:111], v[110:111], v[10:11], -v[114:115]
	v_fmac_f64_e32 v[12:13], v[112:113], v[10:11]
	v_add_f64 v[2:3], v[2:3], v[110:111]
	v_add_f64 v[4:5], v[4:5], v[12:13]
	s_andn2_b64 exec, exec, s[2:3]
	s_cbranch_execnz .LBB95_136
; %bb.137:
	s_or_b64 exec, exec, s[2:3]
.LBB95_138:
	s_or_b64 exec, exec, s[8:9]
	v_mov_b32_e32 v6, 0
	ds_read_b128 v[10:13], v6 offset:224
	s_waitcnt lgkmcnt(0)
	v_mul_f64 v[6:7], v[4:5], v[12:13]
	v_mul_f64 v[112:113], v[2:3], v[12:13]
	v_fma_f64 v[110:111], v[2:3], v[10:11], -v[6:7]
	v_fmac_f64_e32 v[112:113], v[4:5], v[10:11]
	scratch_store_dwordx4 off, v[110:113], off offset:224
.LBB95_139:
	;; [unrolled: 63-line block ×15, first 2 shown]
	s_or_b64 exec, exec, s[2:3]
	scratch_load_dwordx4 v[2:5], off, off
	v_cmp_ne_u32_e32 vcc, 0, v0
	s_mov_b64 s[2:3], 0
	s_mov_b64 s[4:5], 0
                                        ; implicit-def: $vgpr6_vgpr7
                                        ; implicit-def: $vgpr10
	s_waitcnt vmcnt(0)
	ds_write_b128 v9, v[2:5]
	s_waitcnt lgkmcnt(0)
	; wave barrier
	s_waitcnt lgkmcnt(0)
	s_and_saveexec_b64 s[8:9], vcc
	s_cbranch_execz .LBB95_251
; %bb.244:
	ds_read_b128 v[2:5], v9
	s_andn2_b64 vcc, exec, s[6:7]
	s_cbranch_vccnz .LBB95_246
; %bb.245:
	scratch_load_dwordx4 v[10:13], v8, off
	s_waitcnt vmcnt(0) lgkmcnt(0)
	v_mul_f64 v[6:7], v[4:5], v[12:13]
	v_mul_f64 v[12:13], v[2:3], v[12:13]
	v_fmac_f64_e32 v[12:13], v[4:5], v[10:11]
	v_fma_f64 v[2:3], v[2:3], v[10:11], -v[6:7]
	v_mov_b64_e32 v[4:5], v[12:13]
.LBB95_246:
	s_and_saveexec_b64 s[4:5], s[0:1]
	s_cbranch_execz .LBB95_250
; %bb.247:
	v_mov_b32_e32 v7, 0
	v_add_u32_e32 v6, -1, v0
	v_add_u32_e32 v7, 24, v7
	s_movk_i32 s10, 0x210
	s_mov_b64 s[0:1], 0
.LBB95_248:                             ; =>This Inner Loop Header: Depth=1
	v_add_u32_e32 v10, -8, v7
	scratch_load_dwordx4 v[10:13], v10, off
	v_mov_b32_e32 v109, s10
	ds_read_b128 v[110:113], v109
	v_add_u32_e32 v6, -1, v6
	s_add_i32 s10, s10, 16
	v_cmp_eq_u32_e32 vcc, 0, v6
	v_add_u32_e32 v7, 16, v7
	s_or_b64 s[0:1], vcc, s[0:1]
	s_waitcnt vmcnt(0) lgkmcnt(0)
	v_mul_f64 v[114:115], v[112:113], v[12:13]
	v_mul_f64 v[12:13], v[110:111], v[12:13]
	v_fma_f64 v[110:111], v[110:111], v[10:11], -v[114:115]
	v_fmac_f64_e32 v[12:13], v[112:113], v[10:11]
	v_add_f64 v[2:3], v[2:3], v[110:111]
	v_add_f64 v[4:5], v[4:5], v[12:13]
	s_andn2_b64 exec, exec, s[0:1]
	s_cbranch_execnz .LBB95_248
; %bb.249:
	s_or_b64 exec, exec, s[0:1]
.LBB95_250:
	s_or_b64 exec, exec, s[4:5]
	v_mov_b32_e32 v6, 0
	ds_read_b128 v[110:113], v6
	v_mov_b32_e32 v6, 0
	v_or_b32_e32 v10, 8, v6
	s_mov_b64 s[4:5], exec
	s_waitcnt lgkmcnt(0)
	v_mul_f64 v[12:13], v[4:5], v[112:113]
	v_mul_f64 v[6:7], v[2:3], v[112:113]
	v_fma_f64 v[2:3], v[2:3], v[110:111], -v[12:13]
	v_fmac_f64_e32 v[6:7], v[4:5], v[110:111]
	scratch_store_dwordx2 off, v[2:3], off
.LBB95_251:
	s_or_b64 exec, exec, s[8:9]
	s_and_b64 vcc, exec, s[2:3]
	s_cbranch_vccnz .LBB95_253
	s_branch .LBB95_496
.LBB95_252:
	s_mov_b64 s[4:5], 0
                                        ; implicit-def: $vgpr6_vgpr7
                                        ; implicit-def: $vgpr10
	s_cbranch_execz .LBB95_496
.LBB95_253:
	scratch_load_dwordx4 v[2:5], v104, off
	v_cndmask_b32_e64 v6, 0, 1, s[6:7]
	v_cmp_eq_u32_e64 s[2:3], 0, v0
	v_cmp_ne_u32_e64 s[0:1], 1, v6
	s_waitcnt vmcnt(0)
	ds_write_b128 v9, v[2:5]
	s_waitcnt lgkmcnt(0)
	; wave barrier
	s_waitcnt lgkmcnt(0)
	s_and_saveexec_b64 s[6:7], s[2:3]
	s_cbranch_execz .LBB95_257
; %bb.254:
	ds_read_b128 v[2:5], v9
	s_and_b64 vcc, exec, s[0:1]
	s_cbranch_vccnz .LBB95_256
; %bb.255:
	scratch_load_dwordx4 v[10:13], v8, off
	s_waitcnt vmcnt(0) lgkmcnt(0)
	v_mul_f64 v[6:7], v[4:5], v[12:13]
	v_mul_f64 v[12:13], v[2:3], v[12:13]
	v_fmac_f64_e32 v[12:13], v[4:5], v[10:11]
	v_fma_f64 v[2:3], v[2:3], v[10:11], -v[6:7]
	v_mov_b64_e32 v[4:5], v[12:13]
.LBB95_256:
	v_mov_b32_e32 v6, 0
	ds_read_b128 v[10:13], v6 offset:16
	s_waitcnt lgkmcnt(0)
	v_mul_f64 v[6:7], v[4:5], v[12:13]
	v_mul_f64 v[112:113], v[2:3], v[12:13]
	v_fma_f64 v[110:111], v[2:3], v[10:11], -v[6:7]
	v_fmac_f64_e32 v[112:113], v[4:5], v[10:11]
	scratch_store_dwordx4 off, v[110:113], off offset:16
.LBB95_257:
	s_or_b64 exec, exec, s[6:7]
	scratch_load_dwordx4 v[2:5], v101, off
	v_cmp_gt_u32_e32 vcc, 2, v0
	s_waitcnt vmcnt(0)
	ds_write_b128 v9, v[2:5]
	s_waitcnt lgkmcnt(0)
	; wave barrier
	s_waitcnt lgkmcnt(0)
	s_and_saveexec_b64 s[6:7], vcc
	s_cbranch_execz .LBB95_263
; %bb.258:
	ds_read_b128 v[2:5], v9
	s_and_b64 vcc, exec, s[0:1]
	s_cbranch_vccnz .LBB95_260
; %bb.259:
	scratch_load_dwordx4 v[10:13], v8, off
	s_waitcnt vmcnt(0) lgkmcnt(0)
	v_mul_f64 v[6:7], v[4:5], v[12:13]
	v_mul_f64 v[12:13], v[2:3], v[12:13]
	v_fmac_f64_e32 v[12:13], v[4:5], v[10:11]
	v_fma_f64 v[2:3], v[2:3], v[10:11], -v[6:7]
	v_mov_b64_e32 v[4:5], v[12:13]
.LBB95_260:
	s_and_saveexec_b64 s[8:9], s[2:3]
	s_cbranch_execz .LBB95_262
; %bb.261:
	scratch_load_dwordx4 v[10:13], v8, off offset:16
	ds_read_b128 v[110:113], v9 offset:16
	s_waitcnt vmcnt(0) lgkmcnt(0)
	v_mul_f64 v[6:7], v[112:113], v[12:13]
	v_mul_f64 v[12:13], v[110:111], v[12:13]
	v_fma_f64 v[6:7], v[110:111], v[10:11], -v[6:7]
	v_fmac_f64_e32 v[12:13], v[112:113], v[10:11]
	v_add_f64 v[2:3], v[2:3], v[6:7]
	v_add_f64 v[4:5], v[4:5], v[12:13]
.LBB95_262:
	s_or_b64 exec, exec, s[8:9]
	v_mov_b32_e32 v6, 0
	ds_read_b128 v[10:13], v6 offset:32
	s_waitcnt lgkmcnt(0)
	v_mul_f64 v[6:7], v[4:5], v[12:13]
	v_mul_f64 v[112:113], v[2:3], v[12:13]
	v_fma_f64 v[110:111], v[2:3], v[10:11], -v[6:7]
	v_fmac_f64_e32 v[112:113], v[4:5], v[10:11]
	scratch_store_dwordx4 off, v[110:113], off offset:32
.LBB95_263:
	s_or_b64 exec, exec, s[6:7]
	scratch_load_dwordx4 v[2:5], v105, off
	v_cmp_gt_u32_e32 vcc, 3, v0
	s_waitcnt vmcnt(0)
	ds_write_b128 v9, v[2:5]
	s_waitcnt lgkmcnt(0)
	; wave barrier
	s_waitcnt lgkmcnt(0)
	s_and_saveexec_b64 s[6:7], vcc
	s_cbranch_execz .LBB95_271
; %bb.264:
	ds_read_b128 v[2:5], v9
	s_and_b64 vcc, exec, s[0:1]
	s_cbranch_vccnz .LBB95_266
; %bb.265:
	scratch_load_dwordx4 v[10:13], v8, off
	s_waitcnt vmcnt(0) lgkmcnt(0)
	v_mul_f64 v[6:7], v[4:5], v[12:13]
	v_mul_f64 v[12:13], v[2:3], v[12:13]
	v_fmac_f64_e32 v[12:13], v[4:5], v[10:11]
	v_fma_f64 v[2:3], v[2:3], v[10:11], -v[6:7]
	v_mov_b64_e32 v[4:5], v[12:13]
.LBB95_266:
	v_cmp_ne_u32_e32 vcc, 2, v0
	s_and_saveexec_b64 s[8:9], vcc
	s_cbranch_execz .LBB95_270
; %bb.267:
	scratch_load_dwordx4 v[10:13], v8, off offset:16
	ds_read_b128 v[110:113], v9 offset:16
	s_waitcnt vmcnt(0) lgkmcnt(0)
	v_mul_f64 v[6:7], v[112:113], v[12:13]
	v_mul_f64 v[12:13], v[110:111], v[12:13]
	v_fma_f64 v[6:7], v[110:111], v[10:11], -v[6:7]
	v_fmac_f64_e32 v[12:13], v[112:113], v[10:11]
	v_add_f64 v[2:3], v[2:3], v[6:7]
	v_add_f64 v[4:5], v[4:5], v[12:13]
	s_and_saveexec_b64 s[10:11], s[2:3]
	s_cbranch_execz .LBB95_269
; %bb.268:
	scratch_load_dwordx4 v[10:13], off, off offset:32
	v_mov_b32_e32 v6, 0
	ds_read_b128 v[110:113], v6 offset:544
	s_waitcnt vmcnt(0) lgkmcnt(0)
	v_mul_f64 v[6:7], v[110:111], v[12:13]
	v_mul_f64 v[12:13], v[112:113], v[12:13]
	v_fmac_f64_e32 v[6:7], v[112:113], v[10:11]
	v_fma_f64 v[10:11], v[110:111], v[10:11], -v[12:13]
	v_add_f64 v[4:5], v[4:5], v[6:7]
	v_add_f64 v[2:3], v[2:3], v[10:11]
.LBB95_269:
	s_or_b64 exec, exec, s[10:11]
.LBB95_270:
	s_or_b64 exec, exec, s[8:9]
	v_mov_b32_e32 v6, 0
	ds_read_b128 v[10:13], v6 offset:48
	s_waitcnt lgkmcnt(0)
	v_mul_f64 v[6:7], v[4:5], v[12:13]
	v_mul_f64 v[112:113], v[2:3], v[12:13]
	v_fma_f64 v[110:111], v[2:3], v[10:11], -v[6:7]
	v_fmac_f64_e32 v[112:113], v[4:5], v[10:11]
	scratch_store_dwordx4 off, v[110:113], off offset:48
.LBB95_271:
	s_or_b64 exec, exec, s[6:7]
	scratch_load_dwordx4 v[2:5], v102, off
	v_cmp_gt_u32_e32 vcc, 4, v0
	s_waitcnt vmcnt(0)
	ds_write_b128 v9, v[2:5]
	s_waitcnt lgkmcnt(0)
	; wave barrier
	s_waitcnt lgkmcnt(0)
	s_and_saveexec_b64 s[2:3], vcc
	s_cbranch_execz .LBB95_279
; %bb.272:
	ds_read_b128 v[2:5], v9
	s_and_b64 vcc, exec, s[0:1]
	s_cbranch_vccnz .LBB95_274
; %bb.273:
	scratch_load_dwordx4 v[10:13], v8, off
	s_waitcnt vmcnt(0) lgkmcnt(0)
	v_mul_f64 v[6:7], v[4:5], v[12:13]
	v_mul_f64 v[12:13], v[2:3], v[12:13]
	v_fmac_f64_e32 v[12:13], v[4:5], v[10:11]
	v_fma_f64 v[2:3], v[2:3], v[10:11], -v[6:7]
	v_mov_b64_e32 v[4:5], v[12:13]
.LBB95_274:
	v_cmp_ne_u32_e32 vcc, 3, v0
	s_and_saveexec_b64 s[6:7], vcc
	s_cbranch_execz .LBB95_278
; %bb.275:
	v_mov_b32_e32 v7, 0
	v_add_u32_e32 v6, 0x210, v78
	v_add3_u32 v7, v78, v7, 24
	s_mov_b64 s[8:9], 0
	v_mov_b32_e32 v10, v0
.LBB95_276:                             ; =>This Inner Loop Header: Depth=1
	v_add_u32_e32 v11, -8, v7
	scratch_load_dwordx4 v[110:113], v11, off
	ds_read_b128 v[114:117], v6
	v_add_u32_e32 v10, 1, v10
	v_cmp_lt_u32_e32 vcc, 2, v10
	v_add_u32_e32 v6, 16, v6
	v_add_u32_e32 v7, 16, v7
	s_or_b64 s[8:9], vcc, s[8:9]
	s_waitcnt vmcnt(0) lgkmcnt(0)
	v_mul_f64 v[12:13], v[116:117], v[112:113]
	v_mul_f64 v[112:113], v[114:115], v[112:113]
	v_fma_f64 v[12:13], v[114:115], v[110:111], -v[12:13]
	v_fmac_f64_e32 v[112:113], v[116:117], v[110:111]
	v_add_f64 v[2:3], v[2:3], v[12:13]
	v_add_f64 v[4:5], v[4:5], v[112:113]
	s_andn2_b64 exec, exec, s[8:9]
	s_cbranch_execnz .LBB95_276
; %bb.277:
	s_or_b64 exec, exec, s[8:9]
.LBB95_278:
	s_or_b64 exec, exec, s[6:7]
	v_mov_b32_e32 v6, 0
	ds_read_b128 v[10:13], v6 offset:64
	s_waitcnt lgkmcnt(0)
	v_mul_f64 v[6:7], v[4:5], v[12:13]
	v_mul_f64 v[112:113], v[2:3], v[12:13]
	v_fma_f64 v[110:111], v[2:3], v[10:11], -v[6:7]
	v_fmac_f64_e32 v[112:113], v[4:5], v[10:11]
	scratch_store_dwordx4 off, v[110:113], off offset:64
.LBB95_279:
	s_or_b64 exec, exec, s[2:3]
	scratch_load_dwordx4 v[2:5], v106, off
	v_cmp_gt_u32_e32 vcc, 5, v0
	s_waitcnt vmcnt(0)
	ds_write_b128 v9, v[2:5]
	s_waitcnt lgkmcnt(0)
	; wave barrier
	s_waitcnt lgkmcnt(0)
	s_and_saveexec_b64 s[2:3], vcc
	s_cbranch_execz .LBB95_287
; %bb.280:
	ds_read_b128 v[2:5], v9
	s_and_b64 vcc, exec, s[0:1]
	s_cbranch_vccnz .LBB95_282
; %bb.281:
	scratch_load_dwordx4 v[10:13], v8, off
	s_waitcnt vmcnt(0) lgkmcnt(0)
	v_mul_f64 v[6:7], v[4:5], v[12:13]
	v_mul_f64 v[12:13], v[2:3], v[12:13]
	v_fmac_f64_e32 v[12:13], v[4:5], v[10:11]
	v_fma_f64 v[2:3], v[2:3], v[10:11], -v[6:7]
	v_mov_b64_e32 v[4:5], v[12:13]
.LBB95_282:
	v_cmp_ne_u32_e32 vcc, 4, v0
	s_and_saveexec_b64 s[6:7], vcc
	s_cbranch_execz .LBB95_286
; %bb.283:
	v_mov_b32_e32 v7, 0
	v_add_u32_e32 v6, 0x210, v78
	v_add3_u32 v7, v78, v7, 24
	s_mov_b64 s[8:9], 0
	v_mov_b32_e32 v10, v0
.LBB95_284:                             ; =>This Inner Loop Header: Depth=1
	v_add_u32_e32 v11, -8, v7
	scratch_load_dwordx4 v[110:113], v11, off
	ds_read_b128 v[114:117], v6
	v_add_u32_e32 v10, 1, v10
	v_cmp_lt_u32_e32 vcc, 3, v10
	v_add_u32_e32 v6, 16, v6
	v_add_u32_e32 v7, 16, v7
	s_or_b64 s[8:9], vcc, s[8:9]
	s_waitcnt vmcnt(0) lgkmcnt(0)
	v_mul_f64 v[12:13], v[116:117], v[112:113]
	v_mul_f64 v[112:113], v[114:115], v[112:113]
	v_fma_f64 v[12:13], v[114:115], v[110:111], -v[12:13]
	v_fmac_f64_e32 v[112:113], v[116:117], v[110:111]
	v_add_f64 v[2:3], v[2:3], v[12:13]
	v_add_f64 v[4:5], v[4:5], v[112:113]
	s_andn2_b64 exec, exec, s[8:9]
	s_cbranch_execnz .LBB95_284
; %bb.285:
	s_or_b64 exec, exec, s[8:9]
.LBB95_286:
	s_or_b64 exec, exec, s[6:7]
	v_mov_b32_e32 v6, 0
	ds_read_b128 v[10:13], v6 offset:80
	s_waitcnt lgkmcnt(0)
	v_mul_f64 v[6:7], v[4:5], v[12:13]
	v_mul_f64 v[112:113], v[2:3], v[12:13]
	v_fma_f64 v[110:111], v[2:3], v[10:11], -v[6:7]
	v_fmac_f64_e32 v[112:113], v[4:5], v[10:11]
	scratch_store_dwordx4 off, v[110:113], off offset:80
.LBB95_287:
	;; [unrolled: 63-line block ×26, first 2 shown]
	s_or_b64 exec, exec, s[2:3]
	scratch_load_dwordx4 v[2:5], v1, off
	v_cmp_gt_u32_e64 s[2:3], 30, v0
	s_waitcnt vmcnt(0)
	ds_write_b128 v9, v[2:5]
	s_waitcnt lgkmcnt(0)
	; wave barrier
	s_waitcnt lgkmcnt(0)
	s_and_saveexec_b64 s[6:7], s[2:3]
	s_cbranch_execz .LBB95_487
; %bb.480:
	ds_read_b128 v[2:5], v9
	s_and_b64 vcc, exec, s[0:1]
	s_cbranch_vccnz .LBB95_482
; %bb.481:
	scratch_load_dwordx4 v[10:13], v8, off
	s_waitcnt vmcnt(0) lgkmcnt(0)
	v_mul_f64 v[6:7], v[4:5], v[12:13]
	v_mul_f64 v[12:13], v[2:3], v[12:13]
	v_fmac_f64_e32 v[12:13], v[4:5], v[10:11]
	v_fma_f64 v[2:3], v[2:3], v[10:11], -v[6:7]
	v_mov_b64_e32 v[4:5], v[12:13]
.LBB95_482:
	v_cmp_ne_u32_e32 vcc, 29, v0
	s_and_saveexec_b64 s[8:9], vcc
	s_cbranch_execz .LBB95_486
; %bb.483:
	v_mov_b32_e32 v7, 0
	v_add_u32_e32 v6, 0x210, v78
	v_add3_u32 v7, v78, v7, 24
	s_mov_b64 s[10:11], 0
	v_mov_b32_e32 v10, v0
.LBB95_484:                             ; =>This Inner Loop Header: Depth=1
	v_add_u32_e32 v11, -8, v7
	scratch_load_dwordx4 v[110:113], v11, off
	ds_read_b128 v[114:117], v6
	v_add_u32_e32 v10, 1, v10
	v_cmp_lt_u32_e32 vcc, 28, v10
	v_add_u32_e32 v6, 16, v6
	v_add_u32_e32 v7, 16, v7
	s_or_b64 s[10:11], vcc, s[10:11]
	s_waitcnt vmcnt(0) lgkmcnt(0)
	v_mul_f64 v[12:13], v[116:117], v[112:113]
	v_mul_f64 v[112:113], v[114:115], v[112:113]
	v_fma_f64 v[12:13], v[114:115], v[110:111], -v[12:13]
	v_fmac_f64_e32 v[112:113], v[116:117], v[110:111]
	v_add_f64 v[2:3], v[2:3], v[12:13]
	v_add_f64 v[4:5], v[4:5], v[112:113]
	s_andn2_b64 exec, exec, s[10:11]
	s_cbranch_execnz .LBB95_484
; %bb.485:
	s_or_b64 exec, exec, s[10:11]
.LBB95_486:
	s_or_b64 exec, exec, s[8:9]
	v_mov_b32_e32 v6, 0
	ds_read_b128 v[10:13], v6 offset:480
	s_waitcnt lgkmcnt(0)
	v_mul_f64 v[6:7], v[4:5], v[12:13]
	v_mul_f64 v[112:113], v[2:3], v[12:13]
	v_fma_f64 v[110:111], v[2:3], v[10:11], -v[6:7]
	v_fmac_f64_e32 v[112:113], v[4:5], v[10:11]
	scratch_store_dwordx4 off, v[110:113], off offset:480
.LBB95_487:
	s_or_b64 exec, exec, s[6:7]
	scratch_load_dwordx4 v[2:5], v79, off
	v_cmp_ne_u32_e32 vcc, 31, v0
                                        ; implicit-def: $vgpr6_vgpr7
                                        ; implicit-def: $vgpr10
	s_waitcnt vmcnt(0)
	ds_write_b128 v9, v[2:5]
	s_waitcnt lgkmcnt(0)
	; wave barrier
	s_waitcnt lgkmcnt(0)
	s_and_saveexec_b64 s[6:7], vcc
	s_cbranch_execz .LBB95_495
; %bb.488:
	ds_read_b128 v[2:5], v9
	s_and_b64 vcc, exec, s[0:1]
	s_cbranch_vccnz .LBB95_490
; %bb.489:
	scratch_load_dwordx4 v[6:9], v8, off
	s_waitcnt vmcnt(0) lgkmcnt(0)
	v_mul_f64 v[10:11], v[4:5], v[8:9]
	v_mul_f64 v[8:9], v[2:3], v[8:9]
	v_fmac_f64_e32 v[8:9], v[4:5], v[6:7]
	v_fma_f64 v[2:3], v[2:3], v[6:7], -v[10:11]
	v_mov_b64_e32 v[4:5], v[8:9]
.LBB95_490:
	s_and_saveexec_b64 s[0:1], s[2:3]
	s_cbranch_execz .LBB95_494
; %bb.491:
	v_mov_b32_e32 v7, 0
	v_add_u32_e32 v6, 0x210, v78
	v_add3_u32 v7, v78, v7, 24
	s_mov_b64 s[2:3], 0
.LBB95_492:                             ; =>This Inner Loop Header: Depth=1
	v_add_u32_e32 v8, -8, v7
	scratch_load_dwordx4 v[8:11], v8, off
	ds_read_b128 v[110:113], v6
	v_add_u32_e32 v0, 1, v0
	v_cmp_lt_u32_e32 vcc, 29, v0
	v_add_u32_e32 v6, 16, v6
	v_add_u32_e32 v7, 16, v7
	s_or_b64 s[2:3], vcc, s[2:3]
	s_waitcnt vmcnt(0) lgkmcnt(0)
	v_mul_f64 v[12:13], v[112:113], v[10:11]
	v_mul_f64 v[10:11], v[110:111], v[10:11]
	v_fma_f64 v[12:13], v[110:111], v[8:9], -v[12:13]
	v_fmac_f64_e32 v[10:11], v[112:113], v[8:9]
	v_add_f64 v[2:3], v[2:3], v[12:13]
	v_add_f64 v[4:5], v[4:5], v[10:11]
	s_andn2_b64 exec, exec, s[2:3]
	s_cbranch_execnz .LBB95_492
; %bb.493:
	s_or_b64 exec, exec, s[2:3]
.LBB95_494:
	s_or_b64 exec, exec, s[0:1]
	v_mov_b32_e32 v0, 0
	ds_read_b128 v[110:113], v0 offset:496
	v_mov_b32_e32 v0, 0
	v_add_u32_e32 v10, 0x1f8, v0
	s_or_b64 s[4:5], s[4:5], exec
	s_waitcnt lgkmcnt(0)
	v_mul_f64 v[8:9], v[4:5], v[112:113]
	v_mul_f64 v[6:7], v[2:3], v[112:113]
	v_fma_f64 v[2:3], v[2:3], v[110:111], -v[8:9]
	v_fmac_f64_e32 v[6:7], v[4:5], v[110:111]
	scratch_store_dwordx2 off, v[2:3], off offset:496
.LBB95_495:
	s_or_b64 exec, exec, s[6:7]
.LBB95_496:
	s_and_saveexec_b64 s[0:1], s[4:5]
	s_cbranch_execz .LBB95_498
; %bb.497:
	scratch_store_dwordx2 v10, v[6:7], off
.LBB95_498:
	s_or_b64 exec, exec, s[0:1]
	scratch_load_dwordx4 v[2:5], off, off
	scratch_load_dwordx4 v[6:9], v104, off
	scratch_load_dwordx4 v[10:13], v101, off
	;; [unrolled: 1-line block ×7, first 2 shown]
                                        ; kill: killed $vgpr108
                                        ; kill: killed $vgpr104
                                        ; kill: killed $vgpr105
                                        ; kill: killed $vgpr106
                                        ; kill: killed $vgpr107
                                        ; kill: killed $vgpr101
                                        ; kill: killed $vgpr102
	s_nop 0
	scratch_load_dwordx4 v[102:105], v103, off
	s_waitcnt vmcnt(8)
	global_store_dwordx4 v[44:45], v[2:5], off
	scratch_load_dwordx4 v[2:5], v99, off
	s_nop 0
	scratch_load_dwordx4 v[106:109], v100, off
	s_waitcnt vmcnt(10)
	global_store_dwordx4 v[38:39], v[6:9], off
	scratch_load_dwordx4 v[6:9], v98, off
	s_waitcnt vmcnt(11)
	global_store_dwordx4 v[40:41], v[10:13], off
	scratch_load_dwordx4 v[10:13], v96, off
	s_nop 0
	scratch_load_dwordx4 v[38:41], v97, off
	s_waitcnt vmcnt(13)
	global_store_dwordx4 v[32:33], v[110:113], off
	scratch_load_dwordx4 v[96:99], v94, off
	s_nop 0
	;; [unrolled: 5-line block ×10, first 2 shown]
	scratch_load_dwordx4 v[104:107], v79, off
	s_waitcnt vmcnt(28)
	global_store_dwordx4 v[14:15], v[10:13], off
	s_waitcnt vmcnt(28)
	global_store_dwordx4 v[28:29], v[38:41], off
	;; [unrolled: 2-line block ×20, first 2 shown]
.LBB95_499:
	s_endpgm
	.section	.rodata,"a",@progbits
	.p2align	6, 0x0
	.amdhsa_kernel _ZN9rocsolver6v33100L18trti2_kernel_smallILi32E19rocblas_complex_numIdEPKPS3_EEv13rocblas_fill_17rocblas_diagonal_T1_iil
		.amdhsa_group_segment_fixed_size 1024
		.amdhsa_private_segment_fixed_size 528
		.amdhsa_kernarg_size 32
		.amdhsa_user_sgpr_count 2
		.amdhsa_user_sgpr_dispatch_ptr 0
		.amdhsa_user_sgpr_queue_ptr 0
		.amdhsa_user_sgpr_kernarg_segment_ptr 1
		.amdhsa_user_sgpr_dispatch_id 0
		.amdhsa_user_sgpr_kernarg_preload_length 0
		.amdhsa_user_sgpr_kernarg_preload_offset 0
		.amdhsa_user_sgpr_private_segment_size 0
		.amdhsa_uses_dynamic_stack 0
		.amdhsa_enable_private_segment 1
		.amdhsa_system_sgpr_workgroup_id_x 1
		.amdhsa_system_sgpr_workgroup_id_y 0
		.amdhsa_system_sgpr_workgroup_id_z 0
		.amdhsa_system_sgpr_workgroup_info 0
		.amdhsa_system_vgpr_workitem_id 0
		.amdhsa_next_free_vgpr 138
		.amdhsa_next_free_sgpr 12
		.amdhsa_accum_offset 140
		.amdhsa_reserve_vcc 1
		.amdhsa_float_round_mode_32 0
		.amdhsa_float_round_mode_16_64 0
		.amdhsa_float_denorm_mode_32 3
		.amdhsa_float_denorm_mode_16_64 3
		.amdhsa_dx10_clamp 1
		.amdhsa_ieee_mode 1
		.amdhsa_fp16_overflow 0
		.amdhsa_tg_split 0
		.amdhsa_exception_fp_ieee_invalid_op 0
		.amdhsa_exception_fp_denorm_src 0
		.amdhsa_exception_fp_ieee_div_zero 0
		.amdhsa_exception_fp_ieee_overflow 0
		.amdhsa_exception_fp_ieee_underflow 0
		.amdhsa_exception_fp_ieee_inexact 0
		.amdhsa_exception_int_div_zero 0
	.end_amdhsa_kernel
	.section	.text._ZN9rocsolver6v33100L18trti2_kernel_smallILi32E19rocblas_complex_numIdEPKPS3_EEv13rocblas_fill_17rocblas_diagonal_T1_iil,"axG",@progbits,_ZN9rocsolver6v33100L18trti2_kernel_smallILi32E19rocblas_complex_numIdEPKPS3_EEv13rocblas_fill_17rocblas_diagonal_T1_iil,comdat
.Lfunc_end95:
	.size	_ZN9rocsolver6v33100L18trti2_kernel_smallILi32E19rocblas_complex_numIdEPKPS3_EEv13rocblas_fill_17rocblas_diagonal_T1_iil, .Lfunc_end95-_ZN9rocsolver6v33100L18trti2_kernel_smallILi32E19rocblas_complex_numIdEPKPS3_EEv13rocblas_fill_17rocblas_diagonal_T1_iil
                                        ; -- End function
	.section	.AMDGPU.csdata,"",@progbits
; Kernel info:
; codeLenInByte = 21004
; NumSgprs: 18
; NumVgprs: 138
; NumAgprs: 0
; TotalNumVgprs: 138
; ScratchSize: 528
; MemoryBound: 0
; FloatMode: 240
; IeeeMode: 1
; LDSByteSize: 1024 bytes/workgroup (compile time only)
; SGPRBlocks: 2
; VGPRBlocks: 17
; NumSGPRsForWavesPerEU: 18
; NumVGPRsForWavesPerEU: 138
; AccumOffset: 140
; Occupancy: 3
; WaveLimiterHint : 1
; COMPUTE_PGM_RSRC2:SCRATCH_EN: 1
; COMPUTE_PGM_RSRC2:USER_SGPR: 2
; COMPUTE_PGM_RSRC2:TRAP_HANDLER: 0
; COMPUTE_PGM_RSRC2:TGID_X_EN: 1
; COMPUTE_PGM_RSRC2:TGID_Y_EN: 0
; COMPUTE_PGM_RSRC2:TGID_Z_EN: 0
; COMPUTE_PGM_RSRC2:TIDIG_COMP_CNT: 0
; COMPUTE_PGM_RSRC3_GFX90A:ACCUM_OFFSET: 34
; COMPUTE_PGM_RSRC3_GFX90A:TG_SPLIT: 0
	.section	.text._ZN9rocsolver6v33100L18trti2_kernel_smallILi33E19rocblas_complex_numIdEPKPS3_EEv13rocblas_fill_17rocblas_diagonal_T1_iil,"axG",@progbits,_ZN9rocsolver6v33100L18trti2_kernel_smallILi33E19rocblas_complex_numIdEPKPS3_EEv13rocblas_fill_17rocblas_diagonal_T1_iil,comdat
	.globl	_ZN9rocsolver6v33100L18trti2_kernel_smallILi33E19rocblas_complex_numIdEPKPS3_EEv13rocblas_fill_17rocblas_diagonal_T1_iil ; -- Begin function _ZN9rocsolver6v33100L18trti2_kernel_smallILi33E19rocblas_complex_numIdEPKPS3_EEv13rocblas_fill_17rocblas_diagonal_T1_iil
	.p2align	8
	.type	_ZN9rocsolver6v33100L18trti2_kernel_smallILi33E19rocblas_complex_numIdEPKPS3_EEv13rocblas_fill_17rocblas_diagonal_T1_iil,@function
_ZN9rocsolver6v33100L18trti2_kernel_smallILi33E19rocblas_complex_numIdEPKPS3_EEv13rocblas_fill_17rocblas_diagonal_T1_iil: ; @_ZN9rocsolver6v33100L18trti2_kernel_smallILi33E19rocblas_complex_numIdEPKPS3_EEv13rocblas_fill_17rocblas_diagonal_T1_iil
; %bb.0:
	v_cmp_gt_u32_e32 vcc, 33, v0
	s_and_saveexec_b64 s[4:5], vcc
	s_cbranch_execz .LBB96_515
; %bb.1:
	s_load_dwordx2 s[8:9], s[0:1], 0x10
	s_load_dwordx4 s[4:7], s[0:1], 0x0
	s_ashr_i32 s3, s2, 31
	s_lshl_b64 s[0:1], s[2:3], 3
	v_lshlrev_b32_e32 v56, 4, v0
	s_waitcnt lgkmcnt(0)
	s_ashr_i32 s3, s8, 31
	s_add_u32 s0, s6, s0
	s_addc_u32 s1, s7, s1
	s_load_dwordx2 s[0:1], s[0:1], 0x0
	s_mov_b32 s2, s8
	s_lshl_b64 s[2:3], s[2:3], 4
	v_mov_b32_e32 v57, 0
	s_waitcnt lgkmcnt(0)
	s_add_u32 s0, s0, s2
	s_addc_u32 s1, s1, s3
	global_load_dwordx4 v[2:5], v56, s[0:1]
	s_add_i32 s6, s9, s9
	v_add_u32_e32 v6, s6, v0
	v_add_u32_e32 v20, s9, v6
	;; [unrolled: 1-line block ×16, first 2 shown]
	s_mov_b32 s2, s9
	s_ashr_i32 s3, s9, 31
	v_lshl_add_u64 v[18:19], s[0:1], 0, v[56:57]
	v_ashrrev_i32_e32 v21, 31, v20
	v_ashrrev_i32_e32 v25, 31, v24
	;; [unrolled: 1-line block ×7, first 2 shown]
	v_add_u32_e32 v50, s9, v48
	v_lshl_add_u64 v[14:15], s[2:3], 4, v[18:19]
	v_ashrrev_i32_e32 v7, 31, v6
	v_lshl_add_u64 v[20:21], v[20:21], 4, s[0:1]
	v_ashrrev_i32_e32 v23, 31, v22
	;; [unrolled: 2-line block ×8, first 2 shown]
	v_ashrrev_i32_e32 v49, 31, v48
	v_add_u32_e32 v54, s9, v50
	v_lshl_add_u64 v[16:17], v[6:7], 4, s[0:1]
	global_load_dwordx4 v[6:9], v[14:15], off
	global_load_dwordx4 v[10:13], v[16:17], off
	v_lshl_add_u64 v[22:23], v[22:23], 4, s[0:1]
	global_load_dwordx4 v[58:61], v[20:21], off
	global_load_dwordx4 v[62:65], v[22:23], off
	;; [unrolled: 3-line block ×8, first 2 shown]
	v_lshl_add_u64 v[48:49], v[48:49], 4, s[0:1]
	v_ashrrev_i32_e32 v51, 31, v50
	v_ashrrev_i32_e32 v55, 31, v54
	v_lshl_add_u64 v[50:51], v[50:51], 4, s[0:1]
	global_load_dwordx4 v[114:117], v[48:49], off
	global_load_dwordx4 v[118:121], v[50:51], off
	v_lshl_add_u64 v[52:53], v[54:55], 4, s[0:1]
	v_add_u32_e32 v122, s9, v54
	v_ashrrev_i32_e32 v123, 31, v122
	v_lshl_add_u64 v[54:55], v[122:123], 4, s[0:1]
	s_cmpk_lg_i32 s5, 0x84
	s_cselect_b64 s[6:7], -1, 0
	s_cmpk_eq_i32 s5, 0x84
	s_waitcnt vmcnt(18)
	scratch_store_dwordx4 off, v[2:5], off
	global_load_dwordx4 v[2:5], v[52:53], off
	s_waitcnt vmcnt(19)
	scratch_store_dwordx4 off, v[6:9], off offset:16
	s_waitcnt vmcnt(19)
	scratch_store_dwordx4 off, v[10:13], off offset:32
	;; [unrolled: 2-line block ×17, first 2 shown]
	global_load_dwordx4 v[6:9], v[54:55], off
	s_waitcnt vmcnt(20)
	scratch_store_dwordx4 off, v[118:121], off offset:288
	s_waitcnt vmcnt(19)
	scratch_store_dwordx4 off, v[2:5], off offset:304
	s_nop 1
	v_add_u32_e32 v2, s9, v122
	v_add_u32_e32 v62, s9, v2
	;; [unrolled: 1-line block ×11, first 2 shown]
	v_ashrrev_i32_e32 v63, 31, v62
	v_ashrrev_i32_e32 v65, 31, v64
	v_ashrrev_i32_e32 v67, 31, v66
	v_ashrrev_i32_e32 v69, 31, v68
	v_ashrrev_i32_e32 v71, 31, v70
	v_ashrrev_i32_e32 v73, 31, v72
	v_ashrrev_i32_e32 v75, 31, v74
	v_ashrrev_i32_e32 v77, 31, v76
	v_ashrrev_i32_e32 v79, 31, v78
	v_ashrrev_i32_e32 v81, 31, v80
	v_ashrrev_i32_e32 v3, 31, v2
	v_lshl_add_u64 v[60:61], v[62:63], 4, s[0:1]
	v_lshl_add_u64 v[62:63], v[64:65], 4, s[0:1]
	;; [unrolled: 1-line block ×10, first 2 shown]
	v_add_u32_e32 v80, s9, v80
	v_lshl_add_u64 v[58:59], v[2:3], 4, s[0:1]
	v_ashrrev_i32_e32 v81, 31, v80
	global_load_dwordx4 v[2:5], v[58:59], off
	global_load_dwordx4 v[10:13], v[60:61], off
	global_load_dwordx4 v[82:85], v[62:63], off
	global_load_dwordx4 v[86:89], v[64:65], off
	global_load_dwordx4 v[90:93], v[66:67], off
	global_load_dwordx4 v[94:97], v[68:69], off
	global_load_dwordx4 v[98:101], v[70:71], off
	global_load_dwordx4 v[102:105], v[72:73], off
	global_load_dwordx4 v[106:109], v[74:75], off
	global_load_dwordx4 v[110:113], v[76:77], off
	v_lshl_add_u64 v[80:81], v[80:81], 4, s[0:1]
	global_load_dwordx4 v[114:117], v[78:79], off
	global_load_dwordx4 v[118:121], v[80:81], off
	s_waitcnt vmcnt(14)
	scratch_store_dwordx4 off, v[6:9], off offset:320
	s_waitcnt vmcnt(12)
	scratch_store_dwordx4 off, v[2:5], off offset:336
	;; [unrolled: 2-line block ×13, first 2 shown]
	v_mov_b32_e32 v12, 0
	s_cbranch_scc1 .LBB96_7
; %bb.2:
	scratch_load_dwordx4 v[6:9], v56, off
                                        ; implicit-def: $vgpr10_vgpr11
	s_waitcnt vmcnt(0)
	v_xor_b32_e32 v1, 0x80000000, v7
	v_cmp_gt_f64_e32 vcc, 0, v[6:7]
	v_xor_b32_e32 v4, 0x80000000, v9
	v_mov_b32_e32 v2, v6
	v_cndmask_b32_e32 v3, v7, v1, vcc
	v_cmp_gt_f64_e32 vcc, 0, v[8:9]
	s_nop 1
	v_cndmask_b32_e32 v5, v9, v4, vcc
	v_mov_b32_e32 v4, v8
	v_cmp_ngt_f64_e32 vcc, v[2:3], v[4:5]
                                        ; implicit-def: $vgpr2_vgpr3
	s_and_saveexec_b64 s[0:1], vcc
	s_xor_b64 s[0:1], exec, s[0:1]
	s_cbranch_execz .LBB96_4
; %bb.3:
	v_div_scale_f64 v[2:3], s[2:3], v[8:9], v[8:9], v[6:7]
	v_rcp_f64_e32 v[4:5], v[2:3]
	v_div_scale_f64 v[10:11], vcc, v[6:7], v[8:9], v[6:7]
	v_fma_f64 v[82:83], -v[2:3], v[4:5], 1.0
	v_fmac_f64_e32 v[4:5], v[4:5], v[82:83]
	v_fma_f64 v[82:83], -v[2:3], v[4:5], 1.0
	v_fmac_f64_e32 v[4:5], v[4:5], v[82:83]
	v_mul_f64 v[82:83], v[10:11], v[4:5]
	v_fma_f64 v[2:3], -v[2:3], v[82:83], v[10:11]
	v_div_fmas_f64 v[2:3], v[2:3], v[4:5], v[82:83]
	v_div_fixup_f64 v[2:3], v[2:3], v[8:9], v[6:7]
	v_fmac_f64_e32 v[8:9], v[6:7], v[2:3]
	v_div_scale_f64 v[4:5], s[2:3], v[8:9], v[8:9], 1.0
	v_rcp_f64_e32 v[6:7], v[4:5]
	s_nop 0
	v_fma_f64 v[10:11], -v[4:5], v[6:7], 1.0
	v_fmac_f64_e32 v[6:7], v[6:7], v[10:11]
	v_fma_f64 v[10:11], -v[4:5], v[6:7], 1.0
	v_fmac_f64_e32 v[6:7], v[6:7], v[10:11]
	v_div_scale_f64 v[10:11], vcc, 1.0, v[8:9], 1.0
	v_mul_f64 v[82:83], v[10:11], v[6:7]
	v_fma_f64 v[4:5], -v[4:5], v[82:83], v[10:11]
	s_nop 1
	v_div_fmas_f64 v[4:5], v[4:5], v[6:7], v[82:83]
	v_div_fixup_f64 v[4:5], v[4:5], v[8:9], 1.0
	v_mul_f64 v[2:3], v[2:3], v[4:5]
	v_xor_b32_e32 v5, 0x80000000, v5
	v_xor_b32_e32 v11, 0x80000000, v3
	v_mov_b32_e32 v10, v2
                                        ; implicit-def: $vgpr6_vgpr7
.LBB96_4:
	s_or_saveexec_b64 s[0:1], s[0:1]
	v_add_u32_e32 v1, 0, v56
	s_xor_b64 exec, exec, s[0:1]
	s_cbranch_execz .LBB96_6
; %bb.5:
	v_div_scale_f64 v[2:3], s[2:3], v[6:7], v[6:7], v[8:9]
	v_rcp_f64_e32 v[4:5], v[2:3]
	v_div_scale_f64 v[10:11], vcc, v[8:9], v[6:7], v[8:9]
	v_fma_f64 v[82:83], -v[2:3], v[4:5], 1.0
	v_fmac_f64_e32 v[4:5], v[4:5], v[82:83]
	v_fma_f64 v[82:83], -v[2:3], v[4:5], 1.0
	v_fmac_f64_e32 v[4:5], v[4:5], v[82:83]
	v_mul_f64 v[82:83], v[10:11], v[4:5]
	v_fma_f64 v[2:3], -v[2:3], v[82:83], v[10:11]
	v_div_fmas_f64 v[2:3], v[2:3], v[4:5], v[82:83]
	v_div_fixup_f64 v[4:5], v[2:3], v[6:7], v[8:9]
	v_fmac_f64_e32 v[6:7], v[8:9], v[4:5]
	v_div_scale_f64 v[2:3], s[2:3], v[6:7], v[6:7], 1.0
	v_rcp_f64_e32 v[8:9], v[2:3]
	s_nop 0
	v_fma_f64 v[10:11], -v[2:3], v[8:9], 1.0
	v_fmac_f64_e32 v[8:9], v[8:9], v[10:11]
	v_fma_f64 v[10:11], -v[2:3], v[8:9], 1.0
	v_fmac_f64_e32 v[8:9], v[8:9], v[10:11]
	v_div_scale_f64 v[10:11], vcc, 1.0, v[6:7], 1.0
	v_mul_f64 v[82:83], v[10:11], v[8:9]
	v_fma_f64 v[2:3], -v[2:3], v[82:83], v[10:11]
	s_nop 1
	v_div_fmas_f64 v[2:3], v[2:3], v[8:9], v[82:83]
	v_div_fixup_f64 v[2:3], v[2:3], v[6:7], 1.0
	v_xor_b32_e32 v11, 0x80000000, v3
	v_mov_b32_e32 v10, v2
	v_mul_f64 v[4:5], v[4:5], -v[2:3]
.LBB96_6:
	s_or_b64 exec, exec, s[0:1]
	scratch_store_dwordx4 v1, v[2:5], off
	s_nop 1
	v_xor_b32_e32 v5, 0x80000000, v5
	s_branch .LBB96_8
.LBB96_7:
	v_mov_b64_e32 v[4:5], 0
	v_mov_b64_e32 v[10:11], -1.0
.LBB96_8:
	v_add_u32_e32 v103, 16, v12
	v_add_u32_e32 v107, 32, v12
	;; [unrolled: 1-line block ×32, first 2 shown]
	v_mov_b32_e32 v12, v4
	v_mov_b32_e32 v13, v5
	ds_write_b128 v56, v[10:13]
	s_cmpk_eq_i32 s4, 0x79
	v_add_u32_e32 v11, 0x210, v56
	v_add_u32_e32 v10, 0, v56
	s_cbranch_scc1 .LBB96_260
; %bb.9:
	scratch_load_dwordx4 v[2:5], v1, off
	v_cmp_eq_u32_e64 s[0:1], 32, v0
	s_waitcnt vmcnt(0)
	ds_write_b128 v11, v[2:5]
	s_waitcnt lgkmcnt(0)
	; wave barrier
	s_waitcnt lgkmcnt(0)
	s_and_saveexec_b64 s[2:3], s[0:1]
	s_cbranch_execz .LBB96_13
; %bb.10:
	ds_read_b128 v[2:5], v11
	s_andn2_b64 vcc, exec, s[6:7]
	s_cbranch_vccnz .LBB96_12
; %bb.11:
	scratch_load_dwordx4 v[110:113], v10, off
	s_waitcnt vmcnt(0) lgkmcnt(0)
	v_mul_f64 v[12:13], v[2:3], v[112:113]
	v_mul_f64 v[6:7], v[4:5], v[112:113]
	v_fmac_f64_e32 v[12:13], v[4:5], v[110:111]
	v_fma_f64 v[2:3], v[2:3], v[110:111], -v[6:7]
	v_mov_b64_e32 v[4:5], v[12:13]
.LBB96_12:
	v_mov_b32_e32 v6, 0
	ds_read_b128 v[110:113], v6 offset:496
	s_waitcnt lgkmcnt(0)
	v_mul_f64 v[6:7], v[4:5], v[112:113]
	v_mul_f64 v[114:115], v[2:3], v[112:113]
	v_fma_f64 v[112:113], v[2:3], v[110:111], -v[6:7]
	v_fmac_f64_e32 v[114:115], v[4:5], v[110:111]
	scratch_store_dwordx4 off, v[112:115], off offset:496
.LBB96_13:
	s_or_b64 exec, exec, s[2:3]
	scratch_load_dwordx4 v[2:5], v57, off
	v_cmp_lt_u32_e64 s[2:3], 30, v0
	s_waitcnt vmcnt(0)
	ds_write_b128 v11, v[2:5]
	s_waitcnt lgkmcnt(0)
	; wave barrier
	s_waitcnt lgkmcnt(0)
	s_and_saveexec_b64 s[4:5], s[2:3]
	s_cbranch_execz .LBB96_19
; %bb.14:
	ds_read_b128 v[2:5], v11
	s_andn2_b64 vcc, exec, s[6:7]
	s_cbranch_vccnz .LBB96_16
; %bb.15:
	scratch_load_dwordx4 v[110:113], v10, off
	s_waitcnt vmcnt(0) lgkmcnt(0)
	v_mul_f64 v[12:13], v[2:3], v[112:113]
	v_mul_f64 v[6:7], v[4:5], v[112:113]
	v_fmac_f64_e32 v[12:13], v[4:5], v[110:111]
	v_fma_f64 v[2:3], v[2:3], v[110:111], -v[6:7]
	v_mov_b64_e32 v[4:5], v[12:13]
.LBB96_16:
	s_and_saveexec_b64 s[8:9], s[0:1]
	s_cbranch_execz .LBB96_18
; %bb.17:
	scratch_load_dwordx4 v[110:113], off, off offset:496
	v_mov_b32_e32 v6, 0
	ds_read_b128 v[114:117], v6 offset:1024
	s_waitcnt vmcnt(0) lgkmcnt(0)
	v_mul_f64 v[6:7], v[114:115], v[112:113]
	v_mul_f64 v[12:13], v[116:117], v[112:113]
	v_fmac_f64_e32 v[6:7], v[116:117], v[110:111]
	v_fma_f64 v[12:13], v[114:115], v[110:111], -v[12:13]
	v_add_f64 v[4:5], v[4:5], v[6:7]
	v_add_f64 v[2:3], v[2:3], v[12:13]
.LBB96_18:
	s_or_b64 exec, exec, s[8:9]
	v_mov_b32_e32 v6, 0
	ds_read_b128 v[110:113], v6 offset:480
	s_waitcnt lgkmcnt(0)
	v_mul_f64 v[6:7], v[4:5], v[112:113]
	v_mul_f64 v[114:115], v[2:3], v[112:113]
	v_fma_f64 v[112:113], v[2:3], v[110:111], -v[6:7]
	v_fmac_f64_e32 v[114:115], v[4:5], v[110:111]
	scratch_store_dwordx4 off, v[112:115], off offset:480
.LBB96_19:
	s_or_b64 exec, exec, s[4:5]
	scratch_load_dwordx4 v[2:5], v9, off
	v_cmp_lt_u32_e64 s[0:1], 29, v0
	s_waitcnt vmcnt(0)
	ds_write_b128 v11, v[2:5]
	s_waitcnt lgkmcnt(0)
	; wave barrier
	s_waitcnt lgkmcnt(0)
	s_and_saveexec_b64 s[4:5], s[0:1]
	s_cbranch_execz .LBB96_27
; %bb.20:
	ds_read_b128 v[2:5], v11
	s_andn2_b64 vcc, exec, s[6:7]
	s_cbranch_vccnz .LBB96_22
; %bb.21:
	scratch_load_dwordx4 v[110:113], v10, off
	s_waitcnt vmcnt(0) lgkmcnt(0)
	v_mul_f64 v[12:13], v[2:3], v[112:113]
	v_mul_f64 v[6:7], v[4:5], v[112:113]
	v_fmac_f64_e32 v[12:13], v[4:5], v[110:111]
	v_fma_f64 v[2:3], v[2:3], v[110:111], -v[6:7]
	v_mov_b64_e32 v[4:5], v[12:13]
.LBB96_22:
	s_and_saveexec_b64 s[8:9], s[2:3]
	s_cbranch_execz .LBB96_26
; %bb.23:
	v_mov_b32_e32 v7, 0
	v_subrev_u32_e32 v6, 30, v0
	v_add_u32_e32 v7, 0x1e8, v7
	s_movk_i32 s10, 0x3f0
	s_mov_b64 s[2:3], 0
.LBB96_24:                              ; =>This Inner Loop Header: Depth=1
	v_add_u32_e32 v12, -8, v7
	scratch_load_dwordx4 v[110:113], v12, off
	v_mov_b32_e32 v12, s10
	ds_read_b128 v[114:117], v12
	v_add_u32_e32 v6, -1, v6
	s_add_i32 s10, s10, 16
	v_cmp_eq_u32_e32 vcc, 0, v6
	v_add_u32_e32 v7, 16, v7
	s_or_b64 s[2:3], vcc, s[2:3]
	s_waitcnt vmcnt(0) lgkmcnt(0)
	v_mul_f64 v[12:13], v[116:117], v[112:113]
	v_mul_f64 v[112:113], v[114:115], v[112:113]
	v_fma_f64 v[12:13], v[114:115], v[110:111], -v[12:13]
	v_fmac_f64_e32 v[112:113], v[116:117], v[110:111]
	v_add_f64 v[2:3], v[2:3], v[12:13]
	v_add_f64 v[4:5], v[4:5], v[112:113]
	s_andn2_b64 exec, exec, s[2:3]
	s_cbranch_execnz .LBB96_24
; %bb.25:
	s_or_b64 exec, exec, s[2:3]
.LBB96_26:
	s_or_b64 exec, exec, s[8:9]
	v_mov_b32_e32 v6, 0
	ds_read_b128 v[110:113], v6 offset:464
	s_waitcnt lgkmcnt(0)
	v_mul_f64 v[6:7], v[4:5], v[112:113]
	v_mul_f64 v[114:115], v[2:3], v[112:113]
	v_fma_f64 v[112:113], v[2:3], v[110:111], -v[6:7]
	v_fmac_f64_e32 v[114:115], v[4:5], v[110:111]
	scratch_store_dwordx4 off, v[112:115], off offset:464
.LBB96_27:
	s_or_b64 exec, exec, s[4:5]
	scratch_load_dwordx4 v[2:5], v83, off
	v_cmp_lt_u32_e64 s[2:3], 28, v0
	s_waitcnt vmcnt(0)
	ds_write_b128 v11, v[2:5]
	s_waitcnt lgkmcnt(0)
	; wave barrier
	s_waitcnt lgkmcnt(0)
	s_and_saveexec_b64 s[4:5], s[2:3]
	s_cbranch_execz .LBB96_35
; %bb.28:
	ds_read_b128 v[2:5], v11
	s_andn2_b64 vcc, exec, s[6:7]
	s_cbranch_vccnz .LBB96_30
; %bb.29:
	scratch_load_dwordx4 v[110:113], v10, off
	s_waitcnt vmcnt(0) lgkmcnt(0)
	v_mul_f64 v[12:13], v[2:3], v[112:113]
	v_mul_f64 v[6:7], v[4:5], v[112:113]
	v_fmac_f64_e32 v[12:13], v[4:5], v[110:111]
	v_fma_f64 v[2:3], v[2:3], v[110:111], -v[6:7]
	v_mov_b64_e32 v[4:5], v[12:13]
.LBB96_30:
	s_and_saveexec_b64 s[8:9], s[0:1]
	s_cbranch_execz .LBB96_34
; %bb.31:
	v_mov_b32_e32 v7, 0
	v_subrev_u32_e32 v6, 29, v0
	v_add_u32_e32 v7, 0x1d8, v7
	s_movk_i32 s10, 0x3e0
	s_mov_b64 s[0:1], 0
.LBB96_32:                              ; =>This Inner Loop Header: Depth=1
	v_add_u32_e32 v12, -8, v7
	scratch_load_dwordx4 v[110:113], v12, off
	v_mov_b32_e32 v12, s10
	ds_read_b128 v[114:117], v12
	v_add_u32_e32 v6, -1, v6
	s_add_i32 s10, s10, 16
	v_cmp_eq_u32_e32 vcc, 0, v6
	v_add_u32_e32 v7, 16, v7
	s_or_b64 s[0:1], vcc, s[0:1]
	s_waitcnt vmcnt(0) lgkmcnt(0)
	v_mul_f64 v[12:13], v[116:117], v[112:113]
	v_mul_f64 v[112:113], v[114:115], v[112:113]
	v_fma_f64 v[12:13], v[114:115], v[110:111], -v[12:13]
	v_fmac_f64_e32 v[112:113], v[116:117], v[110:111]
	v_add_f64 v[2:3], v[2:3], v[12:13]
	v_add_f64 v[4:5], v[4:5], v[112:113]
	s_andn2_b64 exec, exec, s[0:1]
	s_cbranch_execnz .LBB96_32
; %bb.33:
	s_or_b64 exec, exec, s[0:1]
.LBB96_34:
	s_or_b64 exec, exec, s[8:9]
	v_mov_b32_e32 v6, 0
	ds_read_b128 v[110:113], v6 offset:448
	s_waitcnt lgkmcnt(0)
	v_mul_f64 v[6:7], v[4:5], v[112:113]
	v_mul_f64 v[114:115], v[2:3], v[112:113]
	v_fma_f64 v[112:113], v[2:3], v[110:111], -v[6:7]
	v_fmac_f64_e32 v[114:115], v[4:5], v[110:111]
	scratch_store_dwordx4 off, v[112:115], off offset:448
.LBB96_35:
	;; [unrolled: 63-line block ×10, first 2 shown]
	s_or_b64 exec, exec, s[4:5]
	scratch_load_dwordx4 v[2:5], v90, off
	v_cmp_lt_u32_e64 s[0:1], 19, v0
	s_waitcnt vmcnt(0)
	ds_write_b128 v11, v[2:5]
	s_waitcnt lgkmcnt(0)
	; wave barrier
	s_waitcnt lgkmcnt(0)
	s_and_saveexec_b64 s[4:5], s[0:1]
	s_cbranch_execz .LBB96_107
; %bb.100:
	ds_read_b128 v[2:5], v11
	s_andn2_b64 vcc, exec, s[6:7]
	s_cbranch_vccnz .LBB96_102
; %bb.101:
	scratch_load_dwordx4 v[110:113], v10, off
	s_waitcnt vmcnt(0) lgkmcnt(0)
	v_mul_f64 v[12:13], v[2:3], v[112:113]
	v_mul_f64 v[6:7], v[4:5], v[112:113]
	v_fmac_f64_e32 v[12:13], v[4:5], v[110:111]
	v_fma_f64 v[2:3], v[2:3], v[110:111], -v[6:7]
	v_mov_b64_e32 v[4:5], v[12:13]
.LBB96_102:
	s_and_saveexec_b64 s[8:9], s[2:3]
	s_cbranch_execz .LBB96_106
; %bb.103:
	v_mov_b32_e32 v7, 0
	v_subrev_u32_e32 v6, 20, v0
	v_add_u32_e32 v7, 0x148, v7
	s_movk_i32 s10, 0x350
	s_mov_b64 s[2:3], 0
.LBB96_104:                             ; =>This Inner Loop Header: Depth=1
	v_add_u32_e32 v12, -8, v7
	scratch_load_dwordx4 v[110:113], v12, off
	v_mov_b32_e32 v12, s10
	ds_read_b128 v[114:117], v12
	v_add_u32_e32 v6, -1, v6
	s_add_i32 s10, s10, 16
	v_cmp_eq_u32_e32 vcc, 0, v6
	v_add_u32_e32 v7, 16, v7
	s_or_b64 s[2:3], vcc, s[2:3]
	s_waitcnt vmcnt(0) lgkmcnt(0)
	v_mul_f64 v[12:13], v[116:117], v[112:113]
	v_mul_f64 v[112:113], v[114:115], v[112:113]
	v_fma_f64 v[12:13], v[114:115], v[110:111], -v[12:13]
	v_fmac_f64_e32 v[112:113], v[116:117], v[110:111]
	v_add_f64 v[2:3], v[2:3], v[12:13]
	v_add_f64 v[4:5], v[4:5], v[112:113]
	s_andn2_b64 exec, exec, s[2:3]
	s_cbranch_execnz .LBB96_104
; %bb.105:
	s_or_b64 exec, exec, s[2:3]
.LBB96_106:
	s_or_b64 exec, exec, s[8:9]
	v_mov_b32_e32 v6, 0
	ds_read_b128 v[110:113], v6 offset:304
	s_waitcnt lgkmcnt(0)
	v_mul_f64 v[6:7], v[4:5], v[112:113]
	v_mul_f64 v[114:115], v[2:3], v[112:113]
	v_fma_f64 v[112:113], v[2:3], v[110:111], -v[6:7]
	v_fmac_f64_e32 v[114:115], v[4:5], v[110:111]
	scratch_store_dwordx4 off, v[112:115], off offset:304
.LBB96_107:
	s_or_b64 exec, exec, s[4:5]
	scratch_load_dwordx4 v[2:5], v93, off
	v_cmp_lt_u32_e64 s[2:3], 18, v0
	s_waitcnt vmcnt(0)
	ds_write_b128 v11, v[2:5]
	s_waitcnt lgkmcnt(0)
	; wave barrier
	s_waitcnt lgkmcnt(0)
	s_and_saveexec_b64 s[4:5], s[2:3]
	s_cbranch_execz .LBB96_115
; %bb.108:
	ds_read_b128 v[2:5], v11
	s_andn2_b64 vcc, exec, s[6:7]
	s_cbranch_vccnz .LBB96_110
; %bb.109:
	scratch_load_dwordx4 v[110:113], v10, off
	s_waitcnt vmcnt(0) lgkmcnt(0)
	v_mul_f64 v[12:13], v[2:3], v[112:113]
	v_mul_f64 v[6:7], v[4:5], v[112:113]
	v_fmac_f64_e32 v[12:13], v[4:5], v[110:111]
	v_fma_f64 v[2:3], v[2:3], v[110:111], -v[6:7]
	v_mov_b64_e32 v[4:5], v[12:13]
.LBB96_110:
	s_and_saveexec_b64 s[8:9], s[0:1]
	s_cbranch_execz .LBB96_114
; %bb.111:
	v_mov_b32_e32 v7, 0
	v_subrev_u32_e32 v6, 19, v0
	v_add_u32_e32 v7, 0x138, v7
	s_movk_i32 s10, 0x340
	s_mov_b64 s[0:1], 0
.LBB96_112:                             ; =>This Inner Loop Header: Depth=1
	v_add_u32_e32 v12, -8, v7
	scratch_load_dwordx4 v[110:113], v12, off
	v_mov_b32_e32 v12, s10
	ds_read_b128 v[114:117], v12
	v_add_u32_e32 v6, -1, v6
	s_add_i32 s10, s10, 16
	v_cmp_eq_u32_e32 vcc, 0, v6
	v_add_u32_e32 v7, 16, v7
	s_or_b64 s[0:1], vcc, s[0:1]
	s_waitcnt vmcnt(0) lgkmcnt(0)
	v_mul_f64 v[12:13], v[116:117], v[112:113]
	v_mul_f64 v[112:113], v[114:115], v[112:113]
	v_fma_f64 v[12:13], v[114:115], v[110:111], -v[12:13]
	v_fmac_f64_e32 v[112:113], v[116:117], v[110:111]
	v_add_f64 v[2:3], v[2:3], v[12:13]
	v_add_f64 v[4:5], v[4:5], v[112:113]
	s_andn2_b64 exec, exec, s[0:1]
	s_cbranch_execnz .LBB96_112
; %bb.113:
	s_or_b64 exec, exec, s[0:1]
.LBB96_114:
	s_or_b64 exec, exec, s[8:9]
	v_mov_b32_e32 v6, 0
	ds_read_b128 v[110:113], v6 offset:288
	s_waitcnt lgkmcnt(0)
	v_mul_f64 v[6:7], v[4:5], v[112:113]
	v_mul_f64 v[114:115], v[2:3], v[112:113]
	v_fma_f64 v[112:113], v[2:3], v[110:111], -v[6:7]
	v_fmac_f64_e32 v[114:115], v[4:5], v[110:111]
	scratch_store_dwordx4 off, v[112:115], off offset:288
.LBB96_115:
	;; [unrolled: 63-line block ×4, first 2 shown]
	s_or_b64 exec, exec, s[4:5]
	scratch_load_dwordx4 v[2:5], v94, off
	v_cmp_lt_u32_e64 s[0:1], 15, v0
	s_waitcnt vmcnt(0)
	ds_write_b128 v11, v[2:5]
	s_waitcnt lgkmcnt(0)
	; wave barrier
	s_waitcnt lgkmcnt(0)
	s_and_saveexec_b64 s[4:5], s[0:1]
	s_cbranch_execz .LBB96_139
; %bb.132:
	ds_read_b128 v[2:5], v11
	s_andn2_b64 vcc, exec, s[6:7]
	s_cbranch_vccnz .LBB96_134
; %bb.133:
	scratch_load_dwordx4 v[110:113], v10, off
	s_waitcnt vmcnt(0) lgkmcnt(0)
	v_mul_f64 v[12:13], v[2:3], v[112:113]
	v_mul_f64 v[6:7], v[4:5], v[112:113]
	v_fmac_f64_e32 v[12:13], v[4:5], v[110:111]
	v_fma_f64 v[2:3], v[2:3], v[110:111], -v[6:7]
	v_mov_b64_e32 v[4:5], v[12:13]
.LBB96_134:
	s_and_saveexec_b64 s[8:9], s[2:3]
	s_cbranch_execz .LBB96_138
; %bb.135:
	v_mov_b32_e32 v7, 0
	v_add_u32_e32 v6, -16, v0
	v_add_u32_e32 v7, 0x108, v7
	s_movk_i32 s10, 0x310
	s_mov_b64 s[2:3], 0
.LBB96_136:                             ; =>This Inner Loop Header: Depth=1
	v_add_u32_e32 v12, -8, v7
	scratch_load_dwordx4 v[110:113], v12, off
	v_mov_b32_e32 v12, s10
	ds_read_b128 v[114:117], v12
	v_add_u32_e32 v6, -1, v6
	s_add_i32 s10, s10, 16
	v_cmp_eq_u32_e32 vcc, 0, v6
	v_add_u32_e32 v7, 16, v7
	s_or_b64 s[2:3], vcc, s[2:3]
	s_waitcnt vmcnt(0) lgkmcnt(0)
	v_mul_f64 v[12:13], v[116:117], v[112:113]
	v_mul_f64 v[112:113], v[114:115], v[112:113]
	v_fma_f64 v[12:13], v[114:115], v[110:111], -v[12:13]
	v_fmac_f64_e32 v[112:113], v[116:117], v[110:111]
	v_add_f64 v[2:3], v[2:3], v[12:13]
	v_add_f64 v[4:5], v[4:5], v[112:113]
	s_andn2_b64 exec, exec, s[2:3]
	s_cbranch_execnz .LBB96_136
; %bb.137:
	s_or_b64 exec, exec, s[2:3]
.LBB96_138:
	s_or_b64 exec, exec, s[8:9]
	v_mov_b32_e32 v6, 0
	ds_read_b128 v[110:113], v6 offset:240
	s_waitcnt lgkmcnt(0)
	v_mul_f64 v[6:7], v[4:5], v[112:113]
	v_mul_f64 v[114:115], v[2:3], v[112:113]
	v_fma_f64 v[112:113], v[2:3], v[110:111], -v[6:7]
	v_fmac_f64_e32 v[114:115], v[4:5], v[110:111]
	scratch_store_dwordx4 off, v[112:115], off offset:240
.LBB96_139:
	s_or_b64 exec, exec, s[4:5]
	scratch_load_dwordx4 v[2:5], v97, off
	v_cmp_lt_u32_e64 s[2:3], 14, v0
	s_waitcnt vmcnt(0)
	ds_write_b128 v11, v[2:5]
	s_waitcnt lgkmcnt(0)
	; wave barrier
	s_waitcnt lgkmcnt(0)
	s_and_saveexec_b64 s[4:5], s[2:3]
	s_cbranch_execz .LBB96_147
; %bb.140:
	ds_read_b128 v[2:5], v11
	s_andn2_b64 vcc, exec, s[6:7]
	s_cbranch_vccnz .LBB96_142
; %bb.141:
	scratch_load_dwordx4 v[110:113], v10, off
	s_waitcnt vmcnt(0) lgkmcnt(0)
	v_mul_f64 v[12:13], v[2:3], v[112:113]
	v_mul_f64 v[6:7], v[4:5], v[112:113]
	v_fmac_f64_e32 v[12:13], v[4:5], v[110:111]
	v_fma_f64 v[2:3], v[2:3], v[110:111], -v[6:7]
	v_mov_b64_e32 v[4:5], v[12:13]
.LBB96_142:
	s_and_saveexec_b64 s[8:9], s[0:1]
	s_cbranch_execz .LBB96_146
; %bb.143:
	v_mov_b32_e32 v7, 0
	v_add_u32_e32 v6, -15, v0
	v_add_u32_e32 v7, 0xf8, v7
	s_movk_i32 s10, 0x300
	s_mov_b64 s[0:1], 0
.LBB96_144:                             ; =>This Inner Loop Header: Depth=1
	v_add_u32_e32 v12, -8, v7
	scratch_load_dwordx4 v[110:113], v12, off
	v_mov_b32_e32 v12, s10
	ds_read_b128 v[114:117], v12
	v_add_u32_e32 v6, -1, v6
	s_add_i32 s10, s10, 16
	v_cmp_eq_u32_e32 vcc, 0, v6
	v_add_u32_e32 v7, 16, v7
	s_or_b64 s[0:1], vcc, s[0:1]
	s_waitcnt vmcnt(0) lgkmcnt(0)
	v_mul_f64 v[12:13], v[116:117], v[112:113]
	v_mul_f64 v[112:113], v[114:115], v[112:113]
	v_fma_f64 v[12:13], v[114:115], v[110:111], -v[12:13]
	v_fmac_f64_e32 v[112:113], v[116:117], v[110:111]
	v_add_f64 v[2:3], v[2:3], v[12:13]
	v_add_f64 v[4:5], v[4:5], v[112:113]
	s_andn2_b64 exec, exec, s[0:1]
	s_cbranch_execnz .LBB96_144
; %bb.145:
	s_or_b64 exec, exec, s[0:1]
.LBB96_146:
	s_or_b64 exec, exec, s[8:9]
	v_mov_b32_e32 v6, 0
	ds_read_b128 v[110:113], v6 offset:224
	s_waitcnt lgkmcnt(0)
	v_mul_f64 v[6:7], v[4:5], v[112:113]
	v_mul_f64 v[114:115], v[2:3], v[112:113]
	v_fma_f64 v[112:113], v[2:3], v[110:111], -v[6:7]
	v_fmac_f64_e32 v[114:115], v[4:5], v[110:111]
	scratch_store_dwordx4 off, v[112:115], off offset:224
.LBB96_147:
	;; [unrolled: 63-line block ×15, first 2 shown]
	s_or_b64 exec, exec, s[4:5]
	scratch_load_dwordx4 v[2:5], off, off
	v_cmp_ne_u32_e32 vcc, 0, v0
	s_mov_b64 s[2:3], 0
	s_mov_b64 s[4:5], 0
                                        ; implicit-def: $vgpr6_vgpr7
                                        ; implicit-def: $vgpr12
	s_waitcnt vmcnt(0)
	ds_write_b128 v11, v[2:5]
	s_waitcnt lgkmcnt(0)
	; wave barrier
	s_waitcnt lgkmcnt(0)
	s_and_saveexec_b64 s[8:9], vcc
	s_cbranch_execz .LBB96_259
; %bb.252:
	ds_read_b128 v[2:5], v11
	s_andn2_b64 vcc, exec, s[6:7]
	s_cbranch_vccnz .LBB96_254
; %bb.253:
	scratch_load_dwordx4 v[110:113], v10, off
	s_waitcnt vmcnt(0) lgkmcnt(0)
	v_mul_f64 v[12:13], v[2:3], v[112:113]
	v_mul_f64 v[6:7], v[4:5], v[112:113]
	v_fmac_f64_e32 v[12:13], v[4:5], v[110:111]
	v_fma_f64 v[2:3], v[2:3], v[110:111], -v[6:7]
	v_mov_b64_e32 v[4:5], v[12:13]
.LBB96_254:
	s_and_saveexec_b64 s[4:5], s[0:1]
	s_cbranch_execz .LBB96_258
; %bb.255:
	v_mov_b32_e32 v7, 0
	v_add_u32_e32 v6, -1, v0
	v_add_u32_e32 v7, 24, v7
	s_movk_i32 s10, 0x220
	s_mov_b64 s[0:1], 0
.LBB96_256:                             ; =>This Inner Loop Header: Depth=1
	v_add_u32_e32 v12, -8, v7
	scratch_load_dwordx4 v[110:113], v12, off
	v_mov_b32_e32 v12, s10
	ds_read_b128 v[114:117], v12
	v_add_u32_e32 v6, -1, v6
	s_add_i32 s10, s10, 16
	v_cmp_eq_u32_e32 vcc, 0, v6
	v_add_u32_e32 v7, 16, v7
	s_or_b64 s[0:1], vcc, s[0:1]
	s_waitcnt vmcnt(0) lgkmcnt(0)
	v_mul_f64 v[12:13], v[116:117], v[112:113]
	v_mul_f64 v[112:113], v[114:115], v[112:113]
	v_fma_f64 v[12:13], v[114:115], v[110:111], -v[12:13]
	v_fmac_f64_e32 v[112:113], v[116:117], v[110:111]
	v_add_f64 v[2:3], v[2:3], v[12:13]
	v_add_f64 v[4:5], v[4:5], v[112:113]
	s_andn2_b64 exec, exec, s[0:1]
	s_cbranch_execnz .LBB96_256
; %bb.257:
	s_or_b64 exec, exec, s[0:1]
.LBB96_258:
	s_or_b64 exec, exec, s[4:5]
	v_mov_b32_e32 v6, 0
	ds_read_b128 v[110:113], v6
	v_mov_b32_e32 v6, 0
	v_or_b32_e32 v12, 8, v6
	s_mov_b64 s[4:5], exec
	s_waitcnt lgkmcnt(0)
	v_mul_f64 v[114:115], v[4:5], v[112:113]
	v_mul_f64 v[6:7], v[2:3], v[112:113]
	v_fma_f64 v[2:3], v[2:3], v[110:111], -v[114:115]
	v_fmac_f64_e32 v[6:7], v[4:5], v[110:111]
	scratch_store_dwordx2 off, v[2:3], off
.LBB96_259:
	s_or_b64 exec, exec, s[8:9]
	s_and_b64 vcc, exec, s[2:3]
	s_cbranch_vccnz .LBB96_261
	s_branch .LBB96_512
.LBB96_260:
	s_mov_b64 s[4:5], 0
                                        ; implicit-def: $vgpr6_vgpr7
                                        ; implicit-def: $vgpr12
	s_cbranch_execz .LBB96_512
.LBB96_261:
	scratch_load_dwordx4 v[2:5], v103, off
	v_cndmask_b32_e64 v6, 0, 1, s[6:7]
	v_cmp_eq_u32_e64 s[2:3], 0, v0
	v_cmp_ne_u32_e64 s[0:1], 1, v6
	s_waitcnt vmcnt(0)
	ds_write_b128 v11, v[2:5]
	s_waitcnt lgkmcnt(0)
	; wave barrier
	s_waitcnt lgkmcnt(0)
	s_and_saveexec_b64 s[6:7], s[2:3]
	s_cbranch_execz .LBB96_265
; %bb.262:
	ds_read_b128 v[2:5], v11
	s_and_b64 vcc, exec, s[0:1]
	s_cbranch_vccnz .LBB96_264
; %bb.263:
	scratch_load_dwordx4 v[110:113], v10, off
	s_waitcnt vmcnt(0) lgkmcnt(0)
	v_mul_f64 v[12:13], v[2:3], v[112:113]
	v_mul_f64 v[6:7], v[4:5], v[112:113]
	v_fmac_f64_e32 v[12:13], v[4:5], v[110:111]
	v_fma_f64 v[2:3], v[2:3], v[110:111], -v[6:7]
	v_mov_b64_e32 v[4:5], v[12:13]
.LBB96_264:
	v_mov_b32_e32 v6, 0
	ds_read_b128 v[110:113], v6 offset:16
	s_waitcnt lgkmcnt(0)
	v_mul_f64 v[6:7], v[4:5], v[112:113]
	v_mul_f64 v[114:115], v[2:3], v[112:113]
	v_fma_f64 v[112:113], v[2:3], v[110:111], -v[6:7]
	v_fmac_f64_e32 v[114:115], v[4:5], v[110:111]
	scratch_store_dwordx4 off, v[112:115], off offset:16
.LBB96_265:
	s_or_b64 exec, exec, s[6:7]
	scratch_load_dwordx4 v[2:5], v107, off
	v_cmp_gt_u32_e32 vcc, 2, v0
	s_waitcnt vmcnt(0)
	ds_write_b128 v11, v[2:5]
	s_waitcnt lgkmcnt(0)
	; wave barrier
	s_waitcnt lgkmcnt(0)
	s_and_saveexec_b64 s[6:7], vcc
	s_cbranch_execz .LBB96_271
; %bb.266:
	ds_read_b128 v[2:5], v11
	s_and_b64 vcc, exec, s[0:1]
	s_cbranch_vccnz .LBB96_268
; %bb.267:
	scratch_load_dwordx4 v[110:113], v10, off
	s_waitcnt vmcnt(0) lgkmcnt(0)
	v_mul_f64 v[12:13], v[2:3], v[112:113]
	v_mul_f64 v[6:7], v[4:5], v[112:113]
	v_fmac_f64_e32 v[12:13], v[4:5], v[110:111]
	v_fma_f64 v[2:3], v[2:3], v[110:111], -v[6:7]
	v_mov_b64_e32 v[4:5], v[12:13]
.LBB96_268:
	s_and_saveexec_b64 s[8:9], s[2:3]
	s_cbranch_execz .LBB96_270
; %bb.269:
	scratch_load_dwordx4 v[110:113], v10, off offset:16
	ds_read_b128 v[114:117], v11 offset:16
	s_waitcnt vmcnt(0) lgkmcnt(0)
	v_mul_f64 v[6:7], v[116:117], v[112:113]
	v_mul_f64 v[12:13], v[114:115], v[112:113]
	v_fma_f64 v[6:7], v[114:115], v[110:111], -v[6:7]
	v_fmac_f64_e32 v[12:13], v[116:117], v[110:111]
	v_add_f64 v[2:3], v[2:3], v[6:7]
	v_add_f64 v[4:5], v[4:5], v[12:13]
.LBB96_270:
	s_or_b64 exec, exec, s[8:9]
	v_mov_b32_e32 v6, 0
	ds_read_b128 v[110:113], v6 offset:32
	s_waitcnt lgkmcnt(0)
	v_mul_f64 v[6:7], v[4:5], v[112:113]
	v_mul_f64 v[114:115], v[2:3], v[112:113]
	v_fma_f64 v[112:113], v[2:3], v[110:111], -v[6:7]
	v_fmac_f64_e32 v[114:115], v[4:5], v[110:111]
	scratch_store_dwordx4 off, v[112:115], off offset:32
.LBB96_271:
	s_or_b64 exec, exec, s[6:7]
	scratch_load_dwordx4 v[2:5], v104, off
	v_cmp_gt_u32_e32 vcc, 3, v0
	s_waitcnt vmcnt(0)
	ds_write_b128 v11, v[2:5]
	s_waitcnt lgkmcnt(0)
	; wave barrier
	s_waitcnt lgkmcnt(0)
	s_and_saveexec_b64 s[6:7], vcc
	s_cbranch_execz .LBB96_279
; %bb.272:
	ds_read_b128 v[2:5], v11
	s_and_b64 vcc, exec, s[0:1]
	s_cbranch_vccnz .LBB96_274
; %bb.273:
	scratch_load_dwordx4 v[110:113], v10, off
	s_waitcnt vmcnt(0) lgkmcnt(0)
	v_mul_f64 v[12:13], v[2:3], v[112:113]
	v_mul_f64 v[6:7], v[4:5], v[112:113]
	v_fmac_f64_e32 v[12:13], v[4:5], v[110:111]
	v_fma_f64 v[2:3], v[2:3], v[110:111], -v[6:7]
	v_mov_b64_e32 v[4:5], v[12:13]
.LBB96_274:
	v_cmp_ne_u32_e32 vcc, 2, v0
	s_and_saveexec_b64 s[8:9], vcc
	s_cbranch_execz .LBB96_278
; %bb.275:
	scratch_load_dwordx4 v[110:113], v10, off offset:16
	ds_read_b128 v[114:117], v11 offset:16
	s_waitcnt vmcnt(0) lgkmcnt(0)
	v_mul_f64 v[6:7], v[116:117], v[112:113]
	v_mul_f64 v[12:13], v[114:115], v[112:113]
	v_fma_f64 v[6:7], v[114:115], v[110:111], -v[6:7]
	v_fmac_f64_e32 v[12:13], v[116:117], v[110:111]
	v_add_f64 v[2:3], v[2:3], v[6:7]
	v_add_f64 v[4:5], v[4:5], v[12:13]
	s_and_saveexec_b64 s[10:11], s[2:3]
	s_cbranch_execz .LBB96_277
; %bb.276:
	scratch_load_dwordx4 v[110:113], off, off offset:32
	v_mov_b32_e32 v6, 0
	ds_read_b128 v[114:117], v6 offset:560
	s_waitcnt vmcnt(0) lgkmcnt(0)
	v_mul_f64 v[6:7], v[114:115], v[112:113]
	v_mul_f64 v[12:13], v[116:117], v[112:113]
	v_fmac_f64_e32 v[6:7], v[116:117], v[110:111]
	v_fma_f64 v[12:13], v[114:115], v[110:111], -v[12:13]
	v_add_f64 v[4:5], v[4:5], v[6:7]
	v_add_f64 v[2:3], v[2:3], v[12:13]
.LBB96_277:
	s_or_b64 exec, exec, s[10:11]
.LBB96_278:
	s_or_b64 exec, exec, s[8:9]
	v_mov_b32_e32 v6, 0
	ds_read_b128 v[110:113], v6 offset:48
	s_waitcnt lgkmcnt(0)
	v_mul_f64 v[6:7], v[4:5], v[112:113]
	v_mul_f64 v[114:115], v[2:3], v[112:113]
	v_fma_f64 v[112:113], v[2:3], v[110:111], -v[6:7]
	v_fmac_f64_e32 v[114:115], v[4:5], v[110:111]
	scratch_store_dwordx4 off, v[112:115], off offset:48
.LBB96_279:
	s_or_b64 exec, exec, s[6:7]
	scratch_load_dwordx4 v[2:5], v108, off
	v_cmp_gt_u32_e32 vcc, 4, v0
	s_waitcnt vmcnt(0)
	ds_write_b128 v11, v[2:5]
	s_waitcnt lgkmcnt(0)
	; wave barrier
	s_waitcnt lgkmcnt(0)
	s_and_saveexec_b64 s[2:3], vcc
	s_cbranch_execz .LBB96_287
; %bb.280:
	ds_read_b128 v[2:5], v11
	s_and_b64 vcc, exec, s[0:1]
	s_cbranch_vccnz .LBB96_282
; %bb.281:
	scratch_load_dwordx4 v[110:113], v10, off
	s_waitcnt vmcnt(0) lgkmcnt(0)
	v_mul_f64 v[12:13], v[2:3], v[112:113]
	v_mul_f64 v[6:7], v[4:5], v[112:113]
	v_fmac_f64_e32 v[12:13], v[4:5], v[110:111]
	v_fma_f64 v[2:3], v[2:3], v[110:111], -v[6:7]
	v_mov_b64_e32 v[4:5], v[12:13]
.LBB96_282:
	v_cmp_ne_u32_e32 vcc, 3, v0
	s_and_saveexec_b64 s[6:7], vcc
	s_cbranch_execz .LBB96_286
; %bb.283:
	v_mov_b32_e32 v7, 0
	v_add_u32_e32 v6, 0x220, v56
	v_add3_u32 v7, v56, v7, 24
	s_mov_b64 s[8:9], 0
	v_mov_b32_e32 v12, v0
.LBB96_284:                             ; =>This Inner Loop Header: Depth=1
	v_add_u32_e32 v13, -8, v7
	scratch_load_dwordx4 v[110:113], v13, off
	ds_read_b128 v[114:117], v6
	v_add_u32_e32 v12, 1, v12
	v_cmp_lt_u32_e32 vcc, 2, v12
	v_add_u32_e32 v6, 16, v6
	v_add_u32_e32 v7, 16, v7
	s_or_b64 s[8:9], vcc, s[8:9]
	s_waitcnt vmcnt(0) lgkmcnt(0)
	v_mul_f64 v[118:119], v[116:117], v[112:113]
	v_mul_f64 v[112:113], v[114:115], v[112:113]
	v_fma_f64 v[114:115], v[114:115], v[110:111], -v[118:119]
	v_fmac_f64_e32 v[112:113], v[116:117], v[110:111]
	v_add_f64 v[2:3], v[2:3], v[114:115]
	v_add_f64 v[4:5], v[4:5], v[112:113]
	s_andn2_b64 exec, exec, s[8:9]
	s_cbranch_execnz .LBB96_284
; %bb.285:
	s_or_b64 exec, exec, s[8:9]
.LBB96_286:
	s_or_b64 exec, exec, s[6:7]
	v_mov_b32_e32 v6, 0
	ds_read_b128 v[110:113], v6 offset:64
	s_waitcnt lgkmcnt(0)
	v_mul_f64 v[6:7], v[4:5], v[112:113]
	v_mul_f64 v[114:115], v[2:3], v[112:113]
	v_fma_f64 v[112:113], v[2:3], v[110:111], -v[6:7]
	v_fmac_f64_e32 v[114:115], v[4:5], v[110:111]
	scratch_store_dwordx4 off, v[112:115], off offset:64
.LBB96_287:
	s_or_b64 exec, exec, s[2:3]
	scratch_load_dwordx4 v[2:5], v106, off
	v_cmp_gt_u32_e32 vcc, 5, v0
	s_waitcnt vmcnt(0)
	ds_write_b128 v11, v[2:5]
	s_waitcnt lgkmcnt(0)
	; wave barrier
	s_waitcnt lgkmcnt(0)
	s_and_saveexec_b64 s[2:3], vcc
	s_cbranch_execz .LBB96_295
; %bb.288:
	ds_read_b128 v[2:5], v11
	s_and_b64 vcc, exec, s[0:1]
	s_cbranch_vccnz .LBB96_290
; %bb.289:
	scratch_load_dwordx4 v[110:113], v10, off
	s_waitcnt vmcnt(0) lgkmcnt(0)
	v_mul_f64 v[12:13], v[2:3], v[112:113]
	v_mul_f64 v[6:7], v[4:5], v[112:113]
	v_fmac_f64_e32 v[12:13], v[4:5], v[110:111]
	v_fma_f64 v[2:3], v[2:3], v[110:111], -v[6:7]
	v_mov_b64_e32 v[4:5], v[12:13]
.LBB96_290:
	v_cmp_ne_u32_e32 vcc, 4, v0
	s_and_saveexec_b64 s[6:7], vcc
	s_cbranch_execz .LBB96_294
; %bb.291:
	v_mov_b32_e32 v7, 0
	v_add_u32_e32 v6, 0x220, v56
	v_add3_u32 v7, v56, v7, 24
	s_mov_b64 s[8:9], 0
	v_mov_b32_e32 v12, v0
.LBB96_292:                             ; =>This Inner Loop Header: Depth=1
	v_add_u32_e32 v13, -8, v7
	scratch_load_dwordx4 v[110:113], v13, off
	ds_read_b128 v[114:117], v6
	v_add_u32_e32 v12, 1, v12
	v_cmp_lt_u32_e32 vcc, 3, v12
	v_add_u32_e32 v6, 16, v6
	v_add_u32_e32 v7, 16, v7
	s_or_b64 s[8:9], vcc, s[8:9]
	s_waitcnt vmcnt(0) lgkmcnt(0)
	v_mul_f64 v[118:119], v[116:117], v[112:113]
	v_mul_f64 v[112:113], v[114:115], v[112:113]
	v_fma_f64 v[114:115], v[114:115], v[110:111], -v[118:119]
	v_fmac_f64_e32 v[112:113], v[116:117], v[110:111]
	v_add_f64 v[2:3], v[2:3], v[114:115]
	v_add_f64 v[4:5], v[4:5], v[112:113]
	s_andn2_b64 exec, exec, s[8:9]
	s_cbranch_execnz .LBB96_292
; %bb.293:
	s_or_b64 exec, exec, s[8:9]
.LBB96_294:
	s_or_b64 exec, exec, s[6:7]
	v_mov_b32_e32 v6, 0
	ds_read_b128 v[110:113], v6 offset:80
	s_waitcnt lgkmcnt(0)
	v_mul_f64 v[6:7], v[4:5], v[112:113]
	v_mul_f64 v[114:115], v[2:3], v[112:113]
	v_fma_f64 v[112:113], v[2:3], v[110:111], -v[6:7]
	v_fmac_f64_e32 v[114:115], v[4:5], v[110:111]
	scratch_store_dwordx4 off, v[112:115], off offset:80
.LBB96_295:
	;; [unrolled: 63-line block ×27, first 2 shown]
	s_or_b64 exec, exec, s[2:3]
	scratch_load_dwordx4 v[2:5], v1, off
	v_cmp_gt_u32_e64 s[2:3], 31, v0
	s_waitcnt vmcnt(0)
	ds_write_b128 v11, v[2:5]
	s_waitcnt lgkmcnt(0)
	; wave barrier
	s_waitcnt lgkmcnt(0)
	s_and_saveexec_b64 s[6:7], s[2:3]
	s_cbranch_execz .LBB96_503
; %bb.496:
	ds_read_b128 v[2:5], v11
	s_and_b64 vcc, exec, s[0:1]
	s_cbranch_vccnz .LBB96_498
; %bb.497:
	scratch_load_dwordx4 v[110:113], v10, off
	s_waitcnt vmcnt(0) lgkmcnt(0)
	v_mul_f64 v[12:13], v[2:3], v[112:113]
	v_mul_f64 v[6:7], v[4:5], v[112:113]
	v_fmac_f64_e32 v[12:13], v[4:5], v[110:111]
	v_fma_f64 v[2:3], v[2:3], v[110:111], -v[6:7]
	v_mov_b64_e32 v[4:5], v[12:13]
.LBB96_498:
	v_cmp_ne_u32_e32 vcc, 30, v0
	s_and_saveexec_b64 s[8:9], vcc
	s_cbranch_execz .LBB96_502
; %bb.499:
	v_mov_b32_e32 v7, 0
	v_add_u32_e32 v6, 0x220, v56
	v_add3_u32 v7, v56, v7, 24
	s_mov_b64 s[10:11], 0
	v_mov_b32_e32 v12, v0
.LBB96_500:                             ; =>This Inner Loop Header: Depth=1
	v_add_u32_e32 v13, -8, v7
	scratch_load_dwordx4 v[110:113], v13, off
	ds_read_b128 v[114:117], v6
	v_add_u32_e32 v12, 1, v12
	v_cmp_lt_u32_e32 vcc, 29, v12
	v_add_u32_e32 v6, 16, v6
	v_add_u32_e32 v7, 16, v7
	s_or_b64 s[10:11], vcc, s[10:11]
	s_waitcnt vmcnt(0) lgkmcnt(0)
	v_mul_f64 v[118:119], v[116:117], v[112:113]
	v_mul_f64 v[112:113], v[114:115], v[112:113]
	v_fma_f64 v[114:115], v[114:115], v[110:111], -v[118:119]
	v_fmac_f64_e32 v[112:113], v[116:117], v[110:111]
	v_add_f64 v[2:3], v[2:3], v[114:115]
	v_add_f64 v[4:5], v[4:5], v[112:113]
	s_andn2_b64 exec, exec, s[10:11]
	s_cbranch_execnz .LBB96_500
; %bb.501:
	s_or_b64 exec, exec, s[10:11]
.LBB96_502:
	s_or_b64 exec, exec, s[8:9]
	v_mov_b32_e32 v6, 0
	ds_read_b128 v[110:113], v6 offset:496
	s_waitcnt lgkmcnt(0)
	v_mul_f64 v[6:7], v[4:5], v[112:113]
	v_mul_f64 v[114:115], v[2:3], v[112:113]
	v_fma_f64 v[112:113], v[2:3], v[110:111], -v[6:7]
	v_fmac_f64_e32 v[114:115], v[4:5], v[110:111]
	scratch_store_dwordx4 off, v[112:115], off offset:496
.LBB96_503:
	s_or_b64 exec, exec, s[6:7]
	scratch_load_dwordx4 v[2:5], v8, off
	v_cmp_ne_u32_e32 vcc, 32, v0
                                        ; implicit-def: $vgpr6_vgpr7
                                        ; implicit-def: $vgpr12
	s_waitcnt vmcnt(0)
	ds_write_b128 v11, v[2:5]
	s_waitcnt lgkmcnt(0)
	; wave barrier
	s_waitcnt lgkmcnt(0)
	s_and_saveexec_b64 s[6:7], vcc
	s_cbranch_execz .LBB96_511
; %bb.504:
	ds_read_b128 v[2:5], v11
	s_and_b64 vcc, exec, s[0:1]
	s_cbranch_vccnz .LBB96_506
; %bb.505:
	scratch_load_dwordx4 v[10:13], v10, off
	s_waitcnt vmcnt(0) lgkmcnt(0)
	v_mul_f64 v[6:7], v[4:5], v[12:13]
	v_mul_f64 v[12:13], v[2:3], v[12:13]
	v_fmac_f64_e32 v[12:13], v[4:5], v[10:11]
	v_fma_f64 v[2:3], v[2:3], v[10:11], -v[6:7]
	v_mov_b64_e32 v[4:5], v[12:13]
.LBB96_506:
	s_and_saveexec_b64 s[0:1], s[2:3]
	s_cbranch_execz .LBB96_510
; %bb.507:
	v_mov_b32_e32 v7, 0
	v_add_u32_e32 v6, 0x220, v56
	v_add3_u32 v7, v56, v7, 24
	s_mov_b64 s[2:3], 0
.LBB96_508:                             ; =>This Inner Loop Header: Depth=1
	v_add_u32_e32 v10, -8, v7
	scratch_load_dwordx4 v[10:13], v10, off
	ds_read_b128 v[110:113], v6
	v_add_u32_e32 v0, 1, v0
	v_cmp_lt_u32_e32 vcc, 30, v0
	v_add_u32_e32 v6, 16, v6
	v_add_u32_e32 v7, 16, v7
	s_or_b64 s[2:3], vcc, s[2:3]
	s_waitcnt vmcnt(0) lgkmcnt(0)
	v_mul_f64 v[114:115], v[112:113], v[12:13]
	v_mul_f64 v[12:13], v[110:111], v[12:13]
	v_fma_f64 v[110:111], v[110:111], v[10:11], -v[114:115]
	v_fmac_f64_e32 v[12:13], v[112:113], v[10:11]
	v_add_f64 v[2:3], v[2:3], v[110:111]
	v_add_f64 v[4:5], v[4:5], v[12:13]
	s_andn2_b64 exec, exec, s[2:3]
	s_cbranch_execnz .LBB96_508
; %bb.509:
	s_or_b64 exec, exec, s[2:3]
.LBB96_510:
	s_or_b64 exec, exec, s[0:1]
	v_mov_b32_e32 v0, 0
	ds_read_b128 v[110:113], v0 offset:512
	v_mov_b32_e32 v0, 0
	v_add_u32_e32 v12, 0x208, v0
	s_or_b64 s[4:5], s[4:5], exec
	s_waitcnt lgkmcnt(0)
	v_mul_f64 v[10:11], v[4:5], v[112:113]
	v_mul_f64 v[6:7], v[2:3], v[112:113]
	v_fma_f64 v[2:3], v[2:3], v[110:111], -v[10:11]
	v_fmac_f64_e32 v[6:7], v[4:5], v[110:111]
	scratch_store_dwordx2 off, v[2:3], off offset:512
.LBB96_511:
	s_or_b64 exec, exec, s[6:7]
.LBB96_512:
	s_and_saveexec_b64 s[0:1], s[4:5]
	s_cbranch_execz .LBB96_514
; %bb.513:
	scratch_store_dwordx2 v12, v[6:7], off
.LBB96_514:
	s_or_b64 exec, exec, s[0:1]
	scratch_load_dwordx4 v[2:5], off, off
	scratch_load_dwordx4 v[10:13], v103, off
	scratch_load_dwordx4 v[110:113], v107, off
	;; [unrolled: 1-line block ×6, first 2 shown]
                                        ; kill: killed $vgpr107
                                        ; kill: killed $vgpr108
                                        ; kill: killed $vgpr109
                                        ; kill: killed $vgpr103
                                        ; kill: killed $vgpr104
                                        ; kill: killed $vgpr106
	s_nop 0
	scratch_load_dwordx4 v[104:107], v105, off
	s_waitcnt vmcnt(7)
	global_store_dwordx4 v[18:19], v[2:5], off
	scratch_load_dwordx4 v[2:5], v101, off
	s_nop 0
	scratch_load_dwordx4 v[130:133], v102, off
	s_waitcnt vmcnt(9)
	global_store_dwordx4 v[14:15], v[10:13], off
	scratch_load_dwordx4 v[10:13], v99, off
	;; [unrolled: 5-line block ×3, first 2 shown]
	s_waitcnt vmcnt(12)
	global_store_dwordx4 v[20:21], v[114:117], off
	scratch_load_dwordx4 v[18:21], v96, off
	s_nop 0
	scratch_load_dwordx4 v[98:101], v97, off
	s_waitcnt vmcnt(14)
	global_store_dwordx4 v[22:23], v[118:121], off
	scratch_load_dwordx4 v[108:111], v94, off
	scratch_load_dwordx4 v[112:115], v95, off
	s_waitcnt vmcnt(16)
	global_store_dwordx4 v[24:25], v[122:125], off
	scratch_load_dwordx4 v[22:25], v92, off
	s_nop 0
	scratch_load_dwordx4 v[94:97], v93, off
	s_waitcnt vmcnt(18)
	global_store_dwordx4 v[26:27], v[126:129], off
	scratch_load_dwordx4 v[116:119], v90, off
	scratch_load_dwordx4 v[120:123], v91, off
	s_waitcnt vmcnt(20)
	global_store_dwordx4 v[28:29], v[104:107], off
	scratch_load_dwordx4 v[26:29], v89, off
	s_nop 0
	scratch_load_dwordx4 v[90:93], v88, off
	s_waitcnt vmcnt(21)
	global_store_dwordx4 v[30:31], v[2:5], off
	scratch_load_dwordx4 v[2:5], v87, off
	s_nop 0
	;; [unrolled: 5-line block ×6, first 2 shown]
	scratch_load_dwordx4 v[128:131], v8, off
	s_waitcnt vmcnt(28)
	global_store_dwordx4 v[40:41], v[18:21], off
	s_waitcnt vmcnt(28)
	global_store_dwordx4 v[42:43], v[98:101], off
	;; [unrolled: 2-line block ×20, first 2 shown]
.LBB96_515:
	s_endpgm
	.section	.rodata,"a",@progbits
	.p2align	6, 0x0
	.amdhsa_kernel _ZN9rocsolver6v33100L18trti2_kernel_smallILi33E19rocblas_complex_numIdEPKPS3_EEv13rocblas_fill_17rocblas_diagonal_T1_iil
		.amdhsa_group_segment_fixed_size 1056
		.amdhsa_private_segment_fixed_size 544
		.amdhsa_kernarg_size 32
		.amdhsa_user_sgpr_count 2
		.amdhsa_user_sgpr_dispatch_ptr 0
		.amdhsa_user_sgpr_queue_ptr 0
		.amdhsa_user_sgpr_kernarg_segment_ptr 1
		.amdhsa_user_sgpr_dispatch_id 0
		.amdhsa_user_sgpr_kernarg_preload_length 0
		.amdhsa_user_sgpr_kernarg_preload_offset 0
		.amdhsa_user_sgpr_private_segment_size 0
		.amdhsa_uses_dynamic_stack 0
		.amdhsa_enable_private_segment 1
		.amdhsa_system_sgpr_workgroup_id_x 1
		.amdhsa_system_sgpr_workgroup_id_y 0
		.amdhsa_system_sgpr_workgroup_id_z 0
		.amdhsa_system_sgpr_workgroup_info 0
		.amdhsa_system_vgpr_workitem_id 0
		.amdhsa_next_free_vgpr 138
		.amdhsa_next_free_sgpr 12
		.amdhsa_accum_offset 140
		.amdhsa_reserve_vcc 1
		.amdhsa_float_round_mode_32 0
		.amdhsa_float_round_mode_16_64 0
		.amdhsa_float_denorm_mode_32 3
		.amdhsa_float_denorm_mode_16_64 3
		.amdhsa_dx10_clamp 1
		.amdhsa_ieee_mode 1
		.amdhsa_fp16_overflow 0
		.amdhsa_tg_split 0
		.amdhsa_exception_fp_ieee_invalid_op 0
		.amdhsa_exception_fp_denorm_src 0
		.amdhsa_exception_fp_ieee_div_zero 0
		.amdhsa_exception_fp_ieee_overflow 0
		.amdhsa_exception_fp_ieee_underflow 0
		.amdhsa_exception_fp_ieee_inexact 0
		.amdhsa_exception_int_div_zero 0
	.end_amdhsa_kernel
	.section	.text._ZN9rocsolver6v33100L18trti2_kernel_smallILi33E19rocblas_complex_numIdEPKPS3_EEv13rocblas_fill_17rocblas_diagonal_T1_iil,"axG",@progbits,_ZN9rocsolver6v33100L18trti2_kernel_smallILi33E19rocblas_complex_numIdEPKPS3_EEv13rocblas_fill_17rocblas_diagonal_T1_iil,comdat
.Lfunc_end96:
	.size	_ZN9rocsolver6v33100L18trti2_kernel_smallILi33E19rocblas_complex_numIdEPKPS3_EEv13rocblas_fill_17rocblas_diagonal_T1_iil, .Lfunc_end96-_ZN9rocsolver6v33100L18trti2_kernel_smallILi33E19rocblas_complex_numIdEPKPS3_EEv13rocblas_fill_17rocblas_diagonal_T1_iil
                                        ; -- End function
	.section	.AMDGPU.csdata,"",@progbits
; Kernel info:
; codeLenInByte = 21660
; NumSgprs: 18
; NumVgprs: 138
; NumAgprs: 0
; TotalNumVgprs: 138
; ScratchSize: 544
; MemoryBound: 0
; FloatMode: 240
; IeeeMode: 1
; LDSByteSize: 1056 bytes/workgroup (compile time only)
; SGPRBlocks: 2
; VGPRBlocks: 17
; NumSGPRsForWavesPerEU: 18
; NumVGPRsForWavesPerEU: 138
; AccumOffset: 140
; Occupancy: 3
; WaveLimiterHint : 1
; COMPUTE_PGM_RSRC2:SCRATCH_EN: 1
; COMPUTE_PGM_RSRC2:USER_SGPR: 2
; COMPUTE_PGM_RSRC2:TRAP_HANDLER: 0
; COMPUTE_PGM_RSRC2:TGID_X_EN: 1
; COMPUTE_PGM_RSRC2:TGID_Y_EN: 0
; COMPUTE_PGM_RSRC2:TGID_Z_EN: 0
; COMPUTE_PGM_RSRC2:TIDIG_COMP_CNT: 0
; COMPUTE_PGM_RSRC3_GFX90A:ACCUM_OFFSET: 34
; COMPUTE_PGM_RSRC3_GFX90A:TG_SPLIT: 0
	.section	.text._ZN9rocsolver6v33100L18trti2_kernel_smallILi34E19rocblas_complex_numIdEPKPS3_EEv13rocblas_fill_17rocblas_diagonal_T1_iil,"axG",@progbits,_ZN9rocsolver6v33100L18trti2_kernel_smallILi34E19rocblas_complex_numIdEPKPS3_EEv13rocblas_fill_17rocblas_diagonal_T1_iil,comdat
	.globl	_ZN9rocsolver6v33100L18trti2_kernel_smallILi34E19rocblas_complex_numIdEPKPS3_EEv13rocblas_fill_17rocblas_diagonal_T1_iil ; -- Begin function _ZN9rocsolver6v33100L18trti2_kernel_smallILi34E19rocblas_complex_numIdEPKPS3_EEv13rocblas_fill_17rocblas_diagonal_T1_iil
	.p2align	8
	.type	_ZN9rocsolver6v33100L18trti2_kernel_smallILi34E19rocblas_complex_numIdEPKPS3_EEv13rocblas_fill_17rocblas_diagonal_T1_iil,@function
_ZN9rocsolver6v33100L18trti2_kernel_smallILi34E19rocblas_complex_numIdEPKPS3_EEv13rocblas_fill_17rocblas_diagonal_T1_iil: ; @_ZN9rocsolver6v33100L18trti2_kernel_smallILi34E19rocblas_complex_numIdEPKPS3_EEv13rocblas_fill_17rocblas_diagonal_T1_iil
; %bb.0:
	v_cmp_gt_u32_e32 vcc, 34, v0
	s_and_saveexec_b64 s[4:5], vcc
	s_cbranch_execz .LBB97_531
; %bb.1:
	s_load_dwordx2 s[8:9], s[0:1], 0x10
	s_load_dwordx4 s[4:7], s[0:1], 0x0
	s_ashr_i32 s3, s2, 31
	s_lshl_b64 s[2:3], s[2:3], 3
	v_lshlrev_b32_e32 v82, 4, v0
	s_waitcnt lgkmcnt(0)
	s_ashr_i32 s1, s8, 31
	s_add_u32 s2, s6, s2
	s_addc_u32 s3, s7, s3
	s_load_dwordx2 s[2:3], s[2:3], 0x0
	s_mov_b32 s0, s8
	s_lshl_b64 s[0:1], s[0:1], 4
	v_mov_b32_e32 v83, 0
	s_waitcnt lgkmcnt(0)
	s_add_u32 s0, s2, s0
	s_addc_u32 s1, s3, s1
	s_add_i32 s2, s9, s9
	v_add_u32_e32 v6, s2, v0
	v_add_u32_e32 v14, s9, v6
	;; [unrolled: 1-line block ×6, first 2 shown]
	s_mov_b32 s2, s9
	s_ashr_i32 s3, s9, 31
	v_lshl_add_u64 v[44:45], s[0:1], 0, v[82:83]
	global_load_dwordx4 v[2:5], v82, s[0:1]
	v_add_u32_e32 v24, s9, v22
	v_ashrrev_i32_e32 v7, 31, v6
	v_lshl_add_u64 v[42:43], s[2:3], 4, v[44:45]
	v_ashrrev_i32_e32 v15, 31, v14
	v_ashrrev_i32_e32 v19, 31, v18
	;; [unrolled: 1-line block ×3, first 2 shown]
	v_lshl_add_u64 v[32:33], v[6:7], 4, s[0:1]
	global_load_dwordx4 v[6:9], v[42:43], off
	global_load_dwordx4 v[10:13], v[32:33], off
	v_lshl_add_u64 v[36:37], v[14:15], 4, s[0:1]
	v_ashrrev_i32_e32 v17, 31, v16
	v_lshl_add_u64 v[30:31], v[18:19], 4, s[0:1]
	v_ashrrev_i32_e32 v21, 31, v20
	;; [unrolled: 2-line block ×3, first 2 shown]
	v_lshl_add_u64 v[34:35], v[16:17], 4, s[0:1]
	global_load_dwordx4 v[46:49], v[36:37], off
	global_load_dwordx4 v[50:53], v[34:35], off
	v_lshl_add_u64 v[28:29], v[20:21], 4, s[0:1]
	global_load_dwordx4 v[54:57], v[30:31], off
	global_load_dwordx4 v[58:61], v[28:29], off
	;; [unrolled: 3-line block ×3, first 2 shown]
	v_add_u32_e32 v14, s9, v24
	v_add_u32_e32 v16, s9, v14
	v_ashrrev_i32_e32 v15, 31, v14
	v_add_u32_e32 v22, s9, v16
	v_lshl_add_u64 v[24:25], v[14:15], 4, s[0:1]
	v_add_u32_e32 v14, s9, v22
	v_add_u32_e32 v38, s9, v14
	;; [unrolled: 1-line block ×20, first 2 shown]
	v_ashrrev_i32_e32 v17, 31, v16
	v_ashrrev_i32_e32 v15, 31, v14
	v_add_u32_e32 v124, s9, v122
	v_lshl_add_u64 v[18:19], v[16:17], 4, s[0:1]
	v_lshl_add_u64 v[16:17], v[14:15], 4, s[0:1]
	v_add_u32_e32 v14, s9, v124
	v_ashrrev_i32_e32 v23, 31, v22
	v_ashrrev_i32_e32 v15, 31, v14
	global_load_dwordx4 v[70:73], v[24:25], off
	global_load_dwordx4 v[74:77], v[18:19], off
	v_lshl_add_u64 v[22:23], v[22:23], 4, s[0:1]
	v_ashrrev_i32_e32 v39, 31, v38
	v_lshl_add_u64 v[14:15], v[14:15], 4, s[0:1]
	global_load_dwordx4 v[84:87], v[14:15], off
	v_lshl_add_u64 v[40:41], v[38:39], 4, s[0:1]
	v_ashrrev_i32_e32 v89, 31, v88
	v_ashrrev_i32_e32 v91, 31, v90
	v_ashrrev_i32_e32 v95, 31, v94
	v_ashrrev_i32_e32 v99, 31, v98
	v_lshl_add_u64 v[38:39], v[88:89], 4, s[0:1]
	v_ashrrev_i32_e32 v93, 31, v92
	v_ashrrev_i32_e32 v97, 31, v96
	;; [unrolled: 1-line block ×15, first 2 shown]
	s_waitcnt vmcnt(11)
	scratch_store_dwordx4 off, v[2:5], off
	global_load_dwordx4 v[2:5], v[22:23], off
	s_nop 0
	global_load_dwordx4 v[78:81], v[16:17], off
	s_waitcnt vmcnt(13)
	scratch_store_dwordx4 off, v[6:9], off offset:16
	s_waitcnt vmcnt(13)
	scratch_store_dwordx4 off, v[10:13], off offset:32
	global_load_dwordx4 v[6:9], v[40:41], off
	s_nop 0
	global_load_dwordx4 v[10:13], v[38:39], off
	s_waitcnt vmcnt(15)
	scratch_store_dwordx4 off, v[46:49], off offset:48
	s_waitcnt vmcnt(15)
	scratch_store_dwordx4 off, v[50:53], off offset:64
	;; [unrolled: 2-line block ×6, first 2 shown]
	v_lshl_add_u64 v[46:47], v[90:91], 4, s[0:1]
	v_lshl_add_u64 v[50:51], v[94:95], 4, s[0:1]
	;; [unrolled: 1-line block ×4, first 2 shown]
	global_load_dwordx4 v[58:61], v[46:47], off
	global_load_dwordx4 v[62:65], v[48:49], off
	v_lshl_add_u64 v[52:53], v[96:97], 4, s[0:1]
	global_load_dwordx4 v[66:69], v[50:51], off
	global_load_dwordx4 v[88:91], v[52:53], off
	v_lshl_add_u64 v[56:57], v[100:101], 4, s[0:1]
	global_load_dwordx4 v[92:95], v[54:55], off
	global_load_dwordx4 v[96:99], v[56:57], off
	s_cmpk_lg_i32 s5, 0x84
	s_cselect_b64 s[6:7], -1, 0
	s_cmpk_eq_i32 s5, 0x84
	s_waitcnt vmcnt(21)
	scratch_store_dwordx4 off, v[70:73], off offset:144
	s_waitcnt vmcnt(21)
	scratch_store_dwordx4 off, v[74:77], off offset:160
	;; [unrolled: 2-line block ×12, first 2 shown]
	v_lshl_add_u64 v[58:59], v[102:103], 4, s[0:1]
	v_lshl_add_u64 v[62:63], v[106:107], 4, s[0:1]
	v_lshl_add_u64 v[66:67], v[110:111], 4, s[0:1]
	v_lshl_add_u64 v[70:71], v[114:115], 4, s[0:1]
	v_lshl_add_u64 v[74:75], v[118:119], 4, s[0:1]
	v_lshl_add_u64 v[78:79], v[122:123], 4, s[0:1]
	v_lshl_add_u64 v[60:61], v[104:105], 4, s[0:1]
	global_load_dwordx4 v[2:5], v[58:59], off
	global_load_dwordx4 v[6:9], v[60:61], off
	v_lshl_add_u64 v[64:65], v[108:109], 4, s[0:1]
	global_load_dwordx4 v[10:13], v[62:63], off
	global_load_dwordx4 v[88:91], v[64:65], off
	v_lshl_add_u64 v[68:69], v[112:113], 4, s[0:1]
	;; [unrolled: 3-line block ×5, first 2 shown]
	global_load_dwordx4 v[116:119], v[78:79], off
	global_load_dwordx4 v[120:123], v[80:81], off
	s_waitcnt vmcnt(11)
	scratch_store_dwordx4 off, v[2:5], off offset:336
	s_waitcnt vmcnt(11)
	scratch_store_dwordx4 off, v[6:9], off offset:352
	;; [unrolled: 2-line block ×12, first 2 shown]
	scratch_store_dwordx4 off, v[84:87], off offset:528
	v_mov_b32_e32 v12, 0
	s_cbranch_scc1 .LBB97_7
; %bb.2:
	scratch_load_dwordx4 v[6:9], v82, off
                                        ; implicit-def: $vgpr10_vgpr11
	s_waitcnt vmcnt(0)
	v_xor_b32_e32 v1, 0x80000000, v7
	v_cmp_gt_f64_e32 vcc, 0, v[6:7]
	v_xor_b32_e32 v4, 0x80000000, v9
	v_mov_b32_e32 v2, v6
	v_cndmask_b32_e32 v3, v7, v1, vcc
	v_cmp_gt_f64_e32 vcc, 0, v[8:9]
	s_nop 1
	v_cndmask_b32_e32 v5, v9, v4, vcc
	v_mov_b32_e32 v4, v8
	v_cmp_ngt_f64_e32 vcc, v[2:3], v[4:5]
                                        ; implicit-def: $vgpr2_vgpr3
	s_and_saveexec_b64 s[0:1], vcc
	s_xor_b64 s[0:1], exec, s[0:1]
	s_cbranch_execz .LBB97_4
; %bb.3:
	v_div_scale_f64 v[2:3], s[2:3], v[8:9], v[8:9], v[6:7]
	v_rcp_f64_e32 v[4:5], v[2:3]
	v_div_scale_f64 v[10:11], vcc, v[6:7], v[8:9], v[6:7]
	v_fma_f64 v[84:85], -v[2:3], v[4:5], 1.0
	v_fmac_f64_e32 v[4:5], v[4:5], v[84:85]
	v_fma_f64 v[84:85], -v[2:3], v[4:5], 1.0
	v_fmac_f64_e32 v[4:5], v[4:5], v[84:85]
	v_mul_f64 v[84:85], v[10:11], v[4:5]
	v_fma_f64 v[2:3], -v[2:3], v[84:85], v[10:11]
	v_div_fmas_f64 v[2:3], v[2:3], v[4:5], v[84:85]
	v_div_fixup_f64 v[2:3], v[2:3], v[8:9], v[6:7]
	v_fmac_f64_e32 v[8:9], v[6:7], v[2:3]
	v_div_scale_f64 v[4:5], s[2:3], v[8:9], v[8:9], 1.0
	v_rcp_f64_e32 v[6:7], v[4:5]
	s_nop 0
	v_fma_f64 v[10:11], -v[4:5], v[6:7], 1.0
	v_fmac_f64_e32 v[6:7], v[6:7], v[10:11]
	v_fma_f64 v[10:11], -v[4:5], v[6:7], 1.0
	v_fmac_f64_e32 v[6:7], v[6:7], v[10:11]
	v_div_scale_f64 v[10:11], vcc, 1.0, v[8:9], 1.0
	v_mul_f64 v[84:85], v[10:11], v[6:7]
	v_fma_f64 v[4:5], -v[4:5], v[84:85], v[10:11]
	s_nop 1
	v_div_fmas_f64 v[4:5], v[4:5], v[6:7], v[84:85]
	v_div_fixup_f64 v[4:5], v[4:5], v[8:9], 1.0
	v_mul_f64 v[2:3], v[2:3], v[4:5]
	v_xor_b32_e32 v5, 0x80000000, v5
	v_xor_b32_e32 v11, 0x80000000, v3
	v_mov_b32_e32 v10, v2
                                        ; implicit-def: $vgpr6_vgpr7
.LBB97_4:
	s_or_saveexec_b64 s[0:1], s[0:1]
	v_add_u32_e32 v1, 0, v82
	s_xor_b64 exec, exec, s[0:1]
	s_cbranch_execz .LBB97_6
; %bb.5:
	v_div_scale_f64 v[2:3], s[2:3], v[6:7], v[6:7], v[8:9]
	v_rcp_f64_e32 v[4:5], v[2:3]
	v_div_scale_f64 v[10:11], vcc, v[8:9], v[6:7], v[8:9]
	v_fma_f64 v[84:85], -v[2:3], v[4:5], 1.0
	v_fmac_f64_e32 v[4:5], v[4:5], v[84:85]
	v_fma_f64 v[84:85], -v[2:3], v[4:5], 1.0
	v_fmac_f64_e32 v[4:5], v[4:5], v[84:85]
	v_mul_f64 v[84:85], v[10:11], v[4:5]
	v_fma_f64 v[2:3], -v[2:3], v[84:85], v[10:11]
	v_div_fmas_f64 v[2:3], v[2:3], v[4:5], v[84:85]
	v_div_fixup_f64 v[4:5], v[2:3], v[6:7], v[8:9]
	v_fmac_f64_e32 v[6:7], v[8:9], v[4:5]
	v_div_scale_f64 v[2:3], s[2:3], v[6:7], v[6:7], 1.0
	v_rcp_f64_e32 v[8:9], v[2:3]
	s_nop 0
	v_fma_f64 v[10:11], -v[2:3], v[8:9], 1.0
	v_fmac_f64_e32 v[8:9], v[8:9], v[10:11]
	v_fma_f64 v[10:11], -v[2:3], v[8:9], 1.0
	v_fmac_f64_e32 v[8:9], v[8:9], v[10:11]
	v_div_scale_f64 v[10:11], vcc, 1.0, v[6:7], 1.0
	v_mul_f64 v[84:85], v[10:11], v[8:9]
	v_fma_f64 v[2:3], -v[2:3], v[84:85], v[10:11]
	s_nop 1
	v_div_fmas_f64 v[2:3], v[2:3], v[8:9], v[84:85]
	v_div_fixup_f64 v[2:3], v[2:3], v[6:7], 1.0
	v_xor_b32_e32 v11, 0x80000000, v3
	v_mov_b32_e32 v10, v2
	v_mul_f64 v[4:5], v[4:5], -v[2:3]
.LBB97_6:
	s_or_b64 exec, exec, s[0:1]
	scratch_store_dwordx4 v1, v[2:5], off
	s_nop 1
	v_xor_b32_e32 v5, 0x80000000, v5
	s_branch .LBB97_8
.LBB97_7:
	v_mov_b64_e32 v[4:5], 0
	v_mov_b64_e32 v[10:11], -1.0
.LBB97_8:
	v_add_u32_e32 v107, 16, v12
	v_add_u32_e32 v109, 32, v12
	v_add_u32_e32 v111, 48, v12
	v_add_u32_e32 v110, 64, v12
	v_add_u32_e32 v112, 0x50, v12
	v_add_u32_e32 v108, 0x60, v12
	v_add_u32_e32 v106, 0x70, v12
	v_add_u32_e32 v105, 0x80, v12
	v_add_u32_e32 v103, 0x90, v12
	v_add_u32_e32 v104, 0xa0, v12
	v_add_u32_e32 v101, 0xb0, v12
	v_add_u32_e32 v102, 0xc0, v12
	v_add_u32_e32 v100, 0xd0, v12
	v_add_u32_e32 v99, 0xe0, v12
	v_add_u32_e32 v98, 0xf0, v12
	v_add_u32_e32 v96, 0x100, v12
	v_add_u32_e32 v97, 0x110, v12
	v_add_u32_e32 v94, 0x120, v12
	v_add_u32_e32 v95, 0x130, v12
	v_add_u32_e32 v92, 0x140, v12
	v_add_u32_e32 v93, 0x150, v12
	v_add_u32_e32 v91, 0x160, v12
	v_add_u32_e32 v90, 0x170, v12
	v_add_u32_e32 v89, 0x180, v12
	v_add_u32_e32 v88, 0x190, v12
	v_add_u32_e32 v87, 0x1a0, v12
	v_add_u32_e32 v86, 0x1b0, v12
	v_add_u32_e32 v84, 0x1c0, v12
	v_add_u32_e32 v85, 0x1d0, v12
	v_add_u32_e32 v9, 0x1e0, v12
	v_add_u32_e32 v83, 0x1f0, v12
	v_add_u32_e32 v1, 0x200, v12
	v_add_u32_e32 v8, 0x210, v12
	v_mov_b32_e32 v12, v4
	v_mov_b32_e32 v13, v5
	ds_write_b128 v82, v[10:13]
	s_cmpk_eq_i32 s4, 0x79
	v_add_u32_e32 v11, 0x220, v82
	v_add_u32_e32 v10, 0, v82
	s_cbranch_scc1 .LBB97_268
; %bb.9:
	scratch_load_dwordx4 v[2:5], v1, off
	v_cmp_eq_u32_e64 s[0:1], 33, v0
	s_waitcnt vmcnt(0)
	ds_write_b128 v11, v[2:5]
	s_waitcnt lgkmcnt(0)
	; wave barrier
	s_waitcnt lgkmcnt(0)
	s_and_saveexec_b64 s[2:3], s[0:1]
	s_cbranch_execz .LBB97_13
; %bb.10:
	ds_read_b128 v[2:5], v11
	s_andn2_b64 vcc, exec, s[6:7]
	s_cbranch_vccnz .LBB97_12
; %bb.11:
	scratch_load_dwordx4 v[114:117], v10, off
	s_waitcnt vmcnt(0) lgkmcnt(0)
	v_mul_f64 v[12:13], v[2:3], v[116:117]
	v_mul_f64 v[6:7], v[4:5], v[116:117]
	v_fmac_f64_e32 v[12:13], v[4:5], v[114:115]
	v_fma_f64 v[2:3], v[2:3], v[114:115], -v[6:7]
	v_mov_b64_e32 v[4:5], v[12:13]
.LBB97_12:
	v_mov_b32_e32 v6, 0
	ds_read_b128 v[114:117], v6 offset:512
	s_waitcnt lgkmcnt(0)
	v_mul_f64 v[6:7], v[4:5], v[116:117]
	v_mul_f64 v[118:119], v[2:3], v[116:117]
	v_fma_f64 v[116:117], v[2:3], v[114:115], -v[6:7]
	v_fmac_f64_e32 v[118:119], v[4:5], v[114:115]
	scratch_store_dwordx4 off, v[116:119], off offset:512
.LBB97_13:
	s_or_b64 exec, exec, s[2:3]
	scratch_load_dwordx4 v[2:5], v83, off
	v_cmp_lt_u32_e64 s[2:3], 31, v0
	s_waitcnt vmcnt(0)
	ds_write_b128 v11, v[2:5]
	s_waitcnt lgkmcnt(0)
	; wave barrier
	s_waitcnt lgkmcnt(0)
	s_and_saveexec_b64 s[4:5], s[2:3]
	s_cbranch_execz .LBB97_19
; %bb.14:
	ds_read_b128 v[2:5], v11
	s_andn2_b64 vcc, exec, s[6:7]
	s_cbranch_vccnz .LBB97_16
; %bb.15:
	scratch_load_dwordx4 v[114:117], v10, off
	s_waitcnt vmcnt(0) lgkmcnt(0)
	v_mul_f64 v[12:13], v[2:3], v[116:117]
	v_mul_f64 v[6:7], v[4:5], v[116:117]
	v_fmac_f64_e32 v[12:13], v[4:5], v[114:115]
	v_fma_f64 v[2:3], v[2:3], v[114:115], -v[6:7]
	v_mov_b64_e32 v[4:5], v[12:13]
.LBB97_16:
	s_and_saveexec_b64 s[8:9], s[0:1]
	s_cbranch_execz .LBB97_18
; %bb.17:
	scratch_load_dwordx4 v[114:117], off, off offset:512
	v_mov_b32_e32 v6, 0
	ds_read_b128 v[118:121], v6 offset:1056
	s_waitcnt vmcnt(0) lgkmcnt(0)
	v_mul_f64 v[6:7], v[118:119], v[116:117]
	v_mul_f64 v[12:13], v[120:121], v[116:117]
	v_fmac_f64_e32 v[6:7], v[120:121], v[114:115]
	v_fma_f64 v[12:13], v[118:119], v[114:115], -v[12:13]
	v_add_f64 v[4:5], v[4:5], v[6:7]
	v_add_f64 v[2:3], v[2:3], v[12:13]
.LBB97_18:
	s_or_b64 exec, exec, s[8:9]
	v_mov_b32_e32 v6, 0
	ds_read_b128 v[114:117], v6 offset:496
	s_waitcnt lgkmcnt(0)
	v_mul_f64 v[6:7], v[4:5], v[116:117]
	v_mul_f64 v[118:119], v[2:3], v[116:117]
	v_fma_f64 v[116:117], v[2:3], v[114:115], -v[6:7]
	v_fmac_f64_e32 v[118:119], v[4:5], v[114:115]
	scratch_store_dwordx4 off, v[116:119], off offset:496
.LBB97_19:
	s_or_b64 exec, exec, s[4:5]
	scratch_load_dwordx4 v[2:5], v9, off
	v_cmp_lt_u32_e64 s[0:1], 30, v0
	s_waitcnt vmcnt(0)
	ds_write_b128 v11, v[2:5]
	s_waitcnt lgkmcnt(0)
	; wave barrier
	s_waitcnt lgkmcnt(0)
	s_and_saveexec_b64 s[4:5], s[0:1]
	s_cbranch_execz .LBB97_27
; %bb.20:
	ds_read_b128 v[2:5], v11
	s_andn2_b64 vcc, exec, s[6:7]
	s_cbranch_vccnz .LBB97_22
; %bb.21:
	scratch_load_dwordx4 v[114:117], v10, off
	s_waitcnt vmcnt(0) lgkmcnt(0)
	v_mul_f64 v[12:13], v[2:3], v[116:117]
	v_mul_f64 v[6:7], v[4:5], v[116:117]
	v_fmac_f64_e32 v[12:13], v[4:5], v[114:115]
	v_fma_f64 v[2:3], v[2:3], v[114:115], -v[6:7]
	v_mov_b64_e32 v[4:5], v[12:13]
.LBB97_22:
	s_and_saveexec_b64 s[8:9], s[2:3]
	s_cbranch_execz .LBB97_26
; %bb.23:
	v_mov_b32_e32 v7, 0
	v_subrev_u32_e32 v6, 31, v0
	v_add_u32_e32 v7, 0x1f8, v7
	s_movk_i32 s10, 0x410
	s_mov_b64 s[2:3], 0
.LBB97_24:                              ; =>This Inner Loop Header: Depth=1
	v_add_u32_e32 v12, -8, v7
	scratch_load_dwordx4 v[114:117], v12, off
	v_mov_b32_e32 v12, s10
	ds_read_b128 v[118:121], v12
	v_add_u32_e32 v6, -1, v6
	s_add_i32 s10, s10, 16
	v_cmp_eq_u32_e32 vcc, 0, v6
	v_add_u32_e32 v7, 16, v7
	s_or_b64 s[2:3], vcc, s[2:3]
	s_waitcnt vmcnt(0) lgkmcnt(0)
	v_mul_f64 v[12:13], v[120:121], v[116:117]
	v_mul_f64 v[116:117], v[118:119], v[116:117]
	v_fma_f64 v[12:13], v[118:119], v[114:115], -v[12:13]
	v_fmac_f64_e32 v[116:117], v[120:121], v[114:115]
	v_add_f64 v[2:3], v[2:3], v[12:13]
	v_add_f64 v[4:5], v[4:5], v[116:117]
	s_andn2_b64 exec, exec, s[2:3]
	s_cbranch_execnz .LBB97_24
; %bb.25:
	s_or_b64 exec, exec, s[2:3]
.LBB97_26:
	s_or_b64 exec, exec, s[8:9]
	v_mov_b32_e32 v6, 0
	ds_read_b128 v[114:117], v6 offset:480
	s_waitcnt lgkmcnt(0)
	v_mul_f64 v[6:7], v[4:5], v[116:117]
	v_mul_f64 v[118:119], v[2:3], v[116:117]
	v_fma_f64 v[116:117], v[2:3], v[114:115], -v[6:7]
	v_fmac_f64_e32 v[118:119], v[4:5], v[114:115]
	scratch_store_dwordx4 off, v[116:119], off offset:480
.LBB97_27:
	s_or_b64 exec, exec, s[4:5]
	scratch_load_dwordx4 v[2:5], v85, off
	v_cmp_lt_u32_e64 s[2:3], 29, v0
	s_waitcnt vmcnt(0)
	ds_write_b128 v11, v[2:5]
	s_waitcnt lgkmcnt(0)
	; wave barrier
	s_waitcnt lgkmcnt(0)
	s_and_saveexec_b64 s[4:5], s[2:3]
	s_cbranch_execz .LBB97_35
; %bb.28:
	ds_read_b128 v[2:5], v11
	s_andn2_b64 vcc, exec, s[6:7]
	s_cbranch_vccnz .LBB97_30
; %bb.29:
	scratch_load_dwordx4 v[114:117], v10, off
	s_waitcnt vmcnt(0) lgkmcnt(0)
	v_mul_f64 v[12:13], v[2:3], v[116:117]
	v_mul_f64 v[6:7], v[4:5], v[116:117]
	v_fmac_f64_e32 v[12:13], v[4:5], v[114:115]
	v_fma_f64 v[2:3], v[2:3], v[114:115], -v[6:7]
	v_mov_b64_e32 v[4:5], v[12:13]
.LBB97_30:
	s_and_saveexec_b64 s[8:9], s[0:1]
	s_cbranch_execz .LBB97_34
; %bb.31:
	v_mov_b32_e32 v7, 0
	v_subrev_u32_e32 v6, 30, v0
	v_add_u32_e32 v7, 0x1e8, v7
	s_movk_i32 s10, 0x400
	s_mov_b64 s[0:1], 0
.LBB97_32:                              ; =>This Inner Loop Header: Depth=1
	v_add_u32_e32 v12, -8, v7
	scratch_load_dwordx4 v[114:117], v12, off
	v_mov_b32_e32 v12, s10
	ds_read_b128 v[118:121], v12
	v_add_u32_e32 v6, -1, v6
	s_add_i32 s10, s10, 16
	v_cmp_eq_u32_e32 vcc, 0, v6
	v_add_u32_e32 v7, 16, v7
	s_or_b64 s[0:1], vcc, s[0:1]
	s_waitcnt vmcnt(0) lgkmcnt(0)
	v_mul_f64 v[12:13], v[120:121], v[116:117]
	v_mul_f64 v[116:117], v[118:119], v[116:117]
	v_fma_f64 v[12:13], v[118:119], v[114:115], -v[12:13]
	v_fmac_f64_e32 v[116:117], v[120:121], v[114:115]
	v_add_f64 v[2:3], v[2:3], v[12:13]
	v_add_f64 v[4:5], v[4:5], v[116:117]
	s_andn2_b64 exec, exec, s[0:1]
	s_cbranch_execnz .LBB97_32
; %bb.33:
	s_or_b64 exec, exec, s[0:1]
.LBB97_34:
	s_or_b64 exec, exec, s[8:9]
	v_mov_b32_e32 v6, 0
	ds_read_b128 v[114:117], v6 offset:464
	s_waitcnt lgkmcnt(0)
	v_mul_f64 v[6:7], v[4:5], v[116:117]
	v_mul_f64 v[118:119], v[2:3], v[116:117]
	v_fma_f64 v[116:117], v[2:3], v[114:115], -v[6:7]
	v_fmac_f64_e32 v[118:119], v[4:5], v[114:115]
	scratch_store_dwordx4 off, v[116:119], off offset:464
.LBB97_35:
	;; [unrolled: 63-line block ×10, first 2 shown]
	s_or_b64 exec, exec, s[4:5]
	scratch_load_dwordx4 v[2:5], v92, off
	v_cmp_lt_u32_e64 s[0:1], 20, v0
	s_waitcnt vmcnt(0)
	ds_write_b128 v11, v[2:5]
	s_waitcnt lgkmcnt(0)
	; wave barrier
	s_waitcnt lgkmcnt(0)
	s_and_saveexec_b64 s[4:5], s[0:1]
	s_cbranch_execz .LBB97_107
; %bb.100:
	ds_read_b128 v[2:5], v11
	s_andn2_b64 vcc, exec, s[6:7]
	s_cbranch_vccnz .LBB97_102
; %bb.101:
	scratch_load_dwordx4 v[114:117], v10, off
	s_waitcnt vmcnt(0) lgkmcnt(0)
	v_mul_f64 v[12:13], v[2:3], v[116:117]
	v_mul_f64 v[6:7], v[4:5], v[116:117]
	v_fmac_f64_e32 v[12:13], v[4:5], v[114:115]
	v_fma_f64 v[2:3], v[2:3], v[114:115], -v[6:7]
	v_mov_b64_e32 v[4:5], v[12:13]
.LBB97_102:
	s_and_saveexec_b64 s[8:9], s[2:3]
	s_cbranch_execz .LBB97_106
; %bb.103:
	v_mov_b32_e32 v7, 0
	v_subrev_u32_e32 v6, 21, v0
	v_add_u32_e32 v7, 0x158, v7
	s_movk_i32 s10, 0x370
	s_mov_b64 s[2:3], 0
.LBB97_104:                             ; =>This Inner Loop Header: Depth=1
	v_add_u32_e32 v12, -8, v7
	scratch_load_dwordx4 v[114:117], v12, off
	v_mov_b32_e32 v12, s10
	ds_read_b128 v[118:121], v12
	v_add_u32_e32 v6, -1, v6
	s_add_i32 s10, s10, 16
	v_cmp_eq_u32_e32 vcc, 0, v6
	v_add_u32_e32 v7, 16, v7
	s_or_b64 s[2:3], vcc, s[2:3]
	s_waitcnt vmcnt(0) lgkmcnt(0)
	v_mul_f64 v[12:13], v[120:121], v[116:117]
	v_mul_f64 v[116:117], v[118:119], v[116:117]
	v_fma_f64 v[12:13], v[118:119], v[114:115], -v[12:13]
	v_fmac_f64_e32 v[116:117], v[120:121], v[114:115]
	v_add_f64 v[2:3], v[2:3], v[12:13]
	v_add_f64 v[4:5], v[4:5], v[116:117]
	s_andn2_b64 exec, exec, s[2:3]
	s_cbranch_execnz .LBB97_104
; %bb.105:
	s_or_b64 exec, exec, s[2:3]
.LBB97_106:
	s_or_b64 exec, exec, s[8:9]
	v_mov_b32_e32 v6, 0
	ds_read_b128 v[114:117], v6 offset:320
	s_waitcnt lgkmcnt(0)
	v_mul_f64 v[6:7], v[4:5], v[116:117]
	v_mul_f64 v[118:119], v[2:3], v[116:117]
	v_fma_f64 v[116:117], v[2:3], v[114:115], -v[6:7]
	v_fmac_f64_e32 v[118:119], v[4:5], v[114:115]
	scratch_store_dwordx4 off, v[116:119], off offset:320
.LBB97_107:
	s_or_b64 exec, exec, s[4:5]
	scratch_load_dwordx4 v[2:5], v95, off
	v_cmp_lt_u32_e64 s[2:3], 19, v0
	s_waitcnt vmcnt(0)
	ds_write_b128 v11, v[2:5]
	s_waitcnt lgkmcnt(0)
	; wave barrier
	s_waitcnt lgkmcnt(0)
	s_and_saveexec_b64 s[4:5], s[2:3]
	s_cbranch_execz .LBB97_115
; %bb.108:
	ds_read_b128 v[2:5], v11
	s_andn2_b64 vcc, exec, s[6:7]
	s_cbranch_vccnz .LBB97_110
; %bb.109:
	scratch_load_dwordx4 v[114:117], v10, off
	s_waitcnt vmcnt(0) lgkmcnt(0)
	v_mul_f64 v[12:13], v[2:3], v[116:117]
	v_mul_f64 v[6:7], v[4:5], v[116:117]
	v_fmac_f64_e32 v[12:13], v[4:5], v[114:115]
	v_fma_f64 v[2:3], v[2:3], v[114:115], -v[6:7]
	v_mov_b64_e32 v[4:5], v[12:13]
.LBB97_110:
	s_and_saveexec_b64 s[8:9], s[0:1]
	s_cbranch_execz .LBB97_114
; %bb.111:
	v_mov_b32_e32 v7, 0
	v_subrev_u32_e32 v6, 20, v0
	v_add_u32_e32 v7, 0x148, v7
	s_movk_i32 s10, 0x360
	s_mov_b64 s[0:1], 0
.LBB97_112:                             ; =>This Inner Loop Header: Depth=1
	v_add_u32_e32 v12, -8, v7
	scratch_load_dwordx4 v[114:117], v12, off
	v_mov_b32_e32 v12, s10
	ds_read_b128 v[118:121], v12
	v_add_u32_e32 v6, -1, v6
	s_add_i32 s10, s10, 16
	v_cmp_eq_u32_e32 vcc, 0, v6
	v_add_u32_e32 v7, 16, v7
	s_or_b64 s[0:1], vcc, s[0:1]
	s_waitcnt vmcnt(0) lgkmcnt(0)
	v_mul_f64 v[12:13], v[120:121], v[116:117]
	v_mul_f64 v[116:117], v[118:119], v[116:117]
	v_fma_f64 v[12:13], v[118:119], v[114:115], -v[12:13]
	v_fmac_f64_e32 v[116:117], v[120:121], v[114:115]
	v_add_f64 v[2:3], v[2:3], v[12:13]
	v_add_f64 v[4:5], v[4:5], v[116:117]
	s_andn2_b64 exec, exec, s[0:1]
	s_cbranch_execnz .LBB97_112
; %bb.113:
	s_or_b64 exec, exec, s[0:1]
.LBB97_114:
	s_or_b64 exec, exec, s[8:9]
	v_mov_b32_e32 v6, 0
	ds_read_b128 v[114:117], v6 offset:304
	s_waitcnt lgkmcnt(0)
	v_mul_f64 v[6:7], v[4:5], v[116:117]
	v_mul_f64 v[118:119], v[2:3], v[116:117]
	v_fma_f64 v[116:117], v[2:3], v[114:115], -v[6:7]
	v_fmac_f64_e32 v[118:119], v[4:5], v[114:115]
	scratch_store_dwordx4 off, v[116:119], off offset:304
.LBB97_115:
	;; [unrolled: 63-line block ×5, first 2 shown]
	s_or_b64 exec, exec, s[4:5]
	scratch_load_dwordx4 v[2:5], v98, off
	v_cmp_lt_u32_e64 s[2:3], 15, v0
	s_waitcnt vmcnt(0)
	ds_write_b128 v11, v[2:5]
	s_waitcnt lgkmcnt(0)
	; wave barrier
	s_waitcnt lgkmcnt(0)
	s_and_saveexec_b64 s[4:5], s[2:3]
	s_cbranch_execz .LBB97_147
; %bb.140:
	ds_read_b128 v[2:5], v11
	s_andn2_b64 vcc, exec, s[6:7]
	s_cbranch_vccnz .LBB97_142
; %bb.141:
	scratch_load_dwordx4 v[114:117], v10, off
	s_waitcnt vmcnt(0) lgkmcnt(0)
	v_mul_f64 v[12:13], v[2:3], v[116:117]
	v_mul_f64 v[6:7], v[4:5], v[116:117]
	v_fmac_f64_e32 v[12:13], v[4:5], v[114:115]
	v_fma_f64 v[2:3], v[2:3], v[114:115], -v[6:7]
	v_mov_b64_e32 v[4:5], v[12:13]
.LBB97_142:
	s_and_saveexec_b64 s[8:9], s[0:1]
	s_cbranch_execz .LBB97_146
; %bb.143:
	v_mov_b32_e32 v7, 0
	v_add_u32_e32 v6, -16, v0
	v_add_u32_e32 v7, 0x108, v7
	s_movk_i32 s10, 0x320
	s_mov_b64 s[0:1], 0
.LBB97_144:                             ; =>This Inner Loop Header: Depth=1
	v_add_u32_e32 v12, -8, v7
	scratch_load_dwordx4 v[114:117], v12, off
	v_mov_b32_e32 v12, s10
	ds_read_b128 v[118:121], v12
	v_add_u32_e32 v6, -1, v6
	s_add_i32 s10, s10, 16
	v_cmp_eq_u32_e32 vcc, 0, v6
	v_add_u32_e32 v7, 16, v7
	s_or_b64 s[0:1], vcc, s[0:1]
	s_waitcnt vmcnt(0) lgkmcnt(0)
	v_mul_f64 v[12:13], v[120:121], v[116:117]
	v_mul_f64 v[116:117], v[118:119], v[116:117]
	v_fma_f64 v[12:13], v[118:119], v[114:115], -v[12:13]
	v_fmac_f64_e32 v[116:117], v[120:121], v[114:115]
	v_add_f64 v[2:3], v[2:3], v[12:13]
	v_add_f64 v[4:5], v[4:5], v[116:117]
	s_andn2_b64 exec, exec, s[0:1]
	s_cbranch_execnz .LBB97_144
; %bb.145:
	s_or_b64 exec, exec, s[0:1]
.LBB97_146:
	s_or_b64 exec, exec, s[8:9]
	v_mov_b32_e32 v6, 0
	ds_read_b128 v[114:117], v6 offset:240
	s_waitcnt lgkmcnt(0)
	v_mul_f64 v[6:7], v[4:5], v[116:117]
	v_mul_f64 v[118:119], v[2:3], v[116:117]
	v_fma_f64 v[116:117], v[2:3], v[114:115], -v[6:7]
	v_fmac_f64_e32 v[118:119], v[4:5], v[114:115]
	scratch_store_dwordx4 off, v[116:119], off offset:240
.LBB97_147:
	s_or_b64 exec, exec, s[4:5]
	scratch_load_dwordx4 v[2:5], v99, off
	v_cmp_lt_u32_e64 s[0:1], 14, v0
	s_waitcnt vmcnt(0)
	ds_write_b128 v11, v[2:5]
	s_waitcnt lgkmcnt(0)
	; wave barrier
	s_waitcnt lgkmcnt(0)
	s_and_saveexec_b64 s[4:5], s[0:1]
	s_cbranch_execz .LBB97_155
; %bb.148:
	ds_read_b128 v[2:5], v11
	s_andn2_b64 vcc, exec, s[6:7]
	s_cbranch_vccnz .LBB97_150
; %bb.149:
	scratch_load_dwordx4 v[114:117], v10, off
	s_waitcnt vmcnt(0) lgkmcnt(0)
	v_mul_f64 v[12:13], v[2:3], v[116:117]
	v_mul_f64 v[6:7], v[4:5], v[116:117]
	v_fmac_f64_e32 v[12:13], v[4:5], v[114:115]
	v_fma_f64 v[2:3], v[2:3], v[114:115], -v[6:7]
	v_mov_b64_e32 v[4:5], v[12:13]
.LBB97_150:
	s_and_saveexec_b64 s[8:9], s[2:3]
	s_cbranch_execz .LBB97_154
; %bb.151:
	v_mov_b32_e32 v7, 0
	v_add_u32_e32 v6, -15, v0
	v_add_u32_e32 v7, 0xf8, v7
	s_movk_i32 s10, 0x310
	s_mov_b64 s[2:3], 0
.LBB97_152:                             ; =>This Inner Loop Header: Depth=1
	v_add_u32_e32 v12, -8, v7
	scratch_load_dwordx4 v[114:117], v12, off
	v_mov_b32_e32 v12, s10
	ds_read_b128 v[118:121], v12
	v_add_u32_e32 v6, -1, v6
	s_add_i32 s10, s10, 16
	v_cmp_eq_u32_e32 vcc, 0, v6
	v_add_u32_e32 v7, 16, v7
	s_or_b64 s[2:3], vcc, s[2:3]
	s_waitcnt vmcnt(0) lgkmcnt(0)
	v_mul_f64 v[12:13], v[120:121], v[116:117]
	v_mul_f64 v[116:117], v[118:119], v[116:117]
	v_fma_f64 v[12:13], v[118:119], v[114:115], -v[12:13]
	v_fmac_f64_e32 v[116:117], v[120:121], v[114:115]
	v_add_f64 v[2:3], v[2:3], v[12:13]
	v_add_f64 v[4:5], v[4:5], v[116:117]
	s_andn2_b64 exec, exec, s[2:3]
	s_cbranch_execnz .LBB97_152
; %bb.153:
	s_or_b64 exec, exec, s[2:3]
.LBB97_154:
	s_or_b64 exec, exec, s[8:9]
	v_mov_b32_e32 v6, 0
	ds_read_b128 v[114:117], v6 offset:224
	s_waitcnt lgkmcnt(0)
	v_mul_f64 v[6:7], v[4:5], v[116:117]
	v_mul_f64 v[118:119], v[2:3], v[116:117]
	v_fma_f64 v[116:117], v[2:3], v[114:115], -v[6:7]
	v_fmac_f64_e32 v[118:119], v[4:5], v[114:115]
	scratch_store_dwordx4 off, v[116:119], off offset:224
.LBB97_155:
	;; [unrolled: 63-line block ×15, first 2 shown]
	s_or_b64 exec, exec, s[2:3]
	scratch_load_dwordx4 v[2:5], off, off
	v_cmp_ne_u32_e32 vcc, 0, v0
	s_mov_b64 s[2:3], 0
	s_mov_b64 s[4:5], 0
                                        ; implicit-def: $vgpr6_vgpr7
                                        ; implicit-def: $vgpr12
	s_waitcnt vmcnt(0)
	ds_write_b128 v11, v[2:5]
	s_waitcnt lgkmcnt(0)
	; wave barrier
	s_waitcnt lgkmcnt(0)
	s_and_saveexec_b64 s[8:9], vcc
	s_cbranch_execz .LBB97_267
; %bb.260:
	ds_read_b128 v[2:5], v11
	s_andn2_b64 vcc, exec, s[6:7]
	s_cbranch_vccnz .LBB97_262
; %bb.261:
	scratch_load_dwordx4 v[114:117], v10, off
	s_waitcnt vmcnt(0) lgkmcnt(0)
	v_mul_f64 v[12:13], v[2:3], v[116:117]
	v_mul_f64 v[6:7], v[4:5], v[116:117]
	v_fmac_f64_e32 v[12:13], v[4:5], v[114:115]
	v_fma_f64 v[2:3], v[2:3], v[114:115], -v[6:7]
	v_mov_b64_e32 v[4:5], v[12:13]
.LBB97_262:
	s_and_saveexec_b64 s[4:5], s[0:1]
	s_cbranch_execz .LBB97_266
; %bb.263:
	v_mov_b32_e32 v7, 0
	v_add_u32_e32 v6, -1, v0
	v_add_u32_e32 v7, 24, v7
	s_movk_i32 s10, 0x230
	s_mov_b64 s[0:1], 0
.LBB97_264:                             ; =>This Inner Loop Header: Depth=1
	v_add_u32_e32 v12, -8, v7
	scratch_load_dwordx4 v[114:117], v12, off
	v_mov_b32_e32 v12, s10
	ds_read_b128 v[118:121], v12
	v_add_u32_e32 v6, -1, v6
	s_add_i32 s10, s10, 16
	v_cmp_eq_u32_e32 vcc, 0, v6
	v_add_u32_e32 v7, 16, v7
	s_or_b64 s[0:1], vcc, s[0:1]
	s_waitcnt vmcnt(0) lgkmcnt(0)
	v_mul_f64 v[12:13], v[120:121], v[116:117]
	v_mul_f64 v[116:117], v[118:119], v[116:117]
	v_fma_f64 v[12:13], v[118:119], v[114:115], -v[12:13]
	v_fmac_f64_e32 v[116:117], v[120:121], v[114:115]
	v_add_f64 v[2:3], v[2:3], v[12:13]
	v_add_f64 v[4:5], v[4:5], v[116:117]
	s_andn2_b64 exec, exec, s[0:1]
	s_cbranch_execnz .LBB97_264
; %bb.265:
	s_or_b64 exec, exec, s[0:1]
.LBB97_266:
	s_or_b64 exec, exec, s[4:5]
	v_mov_b32_e32 v6, 0
	ds_read_b128 v[114:117], v6
	v_mov_b32_e32 v6, 0
	v_or_b32_e32 v12, 8, v6
	s_mov_b64 s[4:5], exec
	s_waitcnt lgkmcnt(0)
	v_mul_f64 v[118:119], v[4:5], v[116:117]
	v_mul_f64 v[6:7], v[2:3], v[116:117]
	v_fma_f64 v[2:3], v[2:3], v[114:115], -v[118:119]
	v_fmac_f64_e32 v[6:7], v[4:5], v[114:115]
	scratch_store_dwordx2 off, v[2:3], off
.LBB97_267:
	s_or_b64 exec, exec, s[8:9]
	s_and_b64 vcc, exec, s[2:3]
	s_cbranch_vccnz .LBB97_269
	s_branch .LBB97_528
.LBB97_268:
	s_mov_b64 s[4:5], 0
                                        ; implicit-def: $vgpr6_vgpr7
                                        ; implicit-def: $vgpr12
	s_cbranch_execz .LBB97_528
.LBB97_269:
	scratch_load_dwordx4 v[2:5], v107, off
	v_cndmask_b32_e64 v6, 0, 1, s[6:7]
	v_cmp_eq_u32_e64 s[2:3], 0, v0
	v_cmp_ne_u32_e64 s[0:1], 1, v6
	s_waitcnt vmcnt(0)
	ds_write_b128 v11, v[2:5]
	s_waitcnt lgkmcnt(0)
	; wave barrier
	s_waitcnt lgkmcnt(0)
	s_and_saveexec_b64 s[6:7], s[2:3]
	s_cbranch_execz .LBB97_273
; %bb.270:
	ds_read_b128 v[2:5], v11
	s_and_b64 vcc, exec, s[0:1]
	s_cbranch_vccnz .LBB97_272
; %bb.271:
	scratch_load_dwordx4 v[114:117], v10, off
	s_waitcnt vmcnt(0) lgkmcnt(0)
	v_mul_f64 v[12:13], v[2:3], v[116:117]
	v_mul_f64 v[6:7], v[4:5], v[116:117]
	v_fmac_f64_e32 v[12:13], v[4:5], v[114:115]
	v_fma_f64 v[2:3], v[2:3], v[114:115], -v[6:7]
	v_mov_b64_e32 v[4:5], v[12:13]
.LBB97_272:
	v_mov_b32_e32 v6, 0
	ds_read_b128 v[114:117], v6 offset:16
	s_waitcnt lgkmcnt(0)
	v_mul_f64 v[6:7], v[4:5], v[116:117]
	v_mul_f64 v[118:119], v[2:3], v[116:117]
	v_fma_f64 v[116:117], v[2:3], v[114:115], -v[6:7]
	v_fmac_f64_e32 v[118:119], v[4:5], v[114:115]
	scratch_store_dwordx4 off, v[116:119], off offset:16
.LBB97_273:
	s_or_b64 exec, exec, s[6:7]
	scratch_load_dwordx4 v[2:5], v109, off
	v_cmp_gt_u32_e32 vcc, 2, v0
	s_waitcnt vmcnt(0)
	ds_write_b128 v11, v[2:5]
	s_waitcnt lgkmcnt(0)
	; wave barrier
	s_waitcnt lgkmcnt(0)
	s_and_saveexec_b64 s[6:7], vcc
	s_cbranch_execz .LBB97_279
; %bb.274:
	ds_read_b128 v[2:5], v11
	s_and_b64 vcc, exec, s[0:1]
	s_cbranch_vccnz .LBB97_276
; %bb.275:
	scratch_load_dwordx4 v[114:117], v10, off
	s_waitcnt vmcnt(0) lgkmcnt(0)
	v_mul_f64 v[12:13], v[2:3], v[116:117]
	v_mul_f64 v[6:7], v[4:5], v[116:117]
	v_fmac_f64_e32 v[12:13], v[4:5], v[114:115]
	v_fma_f64 v[2:3], v[2:3], v[114:115], -v[6:7]
	v_mov_b64_e32 v[4:5], v[12:13]
.LBB97_276:
	s_and_saveexec_b64 s[8:9], s[2:3]
	s_cbranch_execz .LBB97_278
; %bb.277:
	scratch_load_dwordx4 v[114:117], v10, off offset:16
	ds_read_b128 v[118:121], v11 offset:16
	s_waitcnt vmcnt(0) lgkmcnt(0)
	v_mul_f64 v[6:7], v[120:121], v[116:117]
	v_mul_f64 v[12:13], v[118:119], v[116:117]
	v_fma_f64 v[6:7], v[118:119], v[114:115], -v[6:7]
	v_fmac_f64_e32 v[12:13], v[120:121], v[114:115]
	v_add_f64 v[2:3], v[2:3], v[6:7]
	v_add_f64 v[4:5], v[4:5], v[12:13]
.LBB97_278:
	s_or_b64 exec, exec, s[8:9]
	v_mov_b32_e32 v6, 0
	ds_read_b128 v[114:117], v6 offset:32
	s_waitcnt lgkmcnt(0)
	v_mul_f64 v[6:7], v[4:5], v[116:117]
	v_mul_f64 v[118:119], v[2:3], v[116:117]
	v_fma_f64 v[116:117], v[2:3], v[114:115], -v[6:7]
	v_fmac_f64_e32 v[118:119], v[4:5], v[114:115]
	scratch_store_dwordx4 off, v[116:119], off offset:32
.LBB97_279:
	s_or_b64 exec, exec, s[6:7]
	scratch_load_dwordx4 v[2:5], v111, off
	v_cmp_gt_u32_e32 vcc, 3, v0
	s_waitcnt vmcnt(0)
	ds_write_b128 v11, v[2:5]
	s_waitcnt lgkmcnt(0)
	; wave barrier
	s_waitcnt lgkmcnt(0)
	s_and_saveexec_b64 s[6:7], vcc
	s_cbranch_execz .LBB97_287
; %bb.280:
	ds_read_b128 v[2:5], v11
	s_and_b64 vcc, exec, s[0:1]
	s_cbranch_vccnz .LBB97_282
; %bb.281:
	scratch_load_dwordx4 v[114:117], v10, off
	s_waitcnt vmcnt(0) lgkmcnt(0)
	v_mul_f64 v[12:13], v[2:3], v[116:117]
	v_mul_f64 v[6:7], v[4:5], v[116:117]
	v_fmac_f64_e32 v[12:13], v[4:5], v[114:115]
	v_fma_f64 v[2:3], v[2:3], v[114:115], -v[6:7]
	v_mov_b64_e32 v[4:5], v[12:13]
.LBB97_282:
	v_cmp_ne_u32_e32 vcc, 2, v0
	s_and_saveexec_b64 s[8:9], vcc
	s_cbranch_execz .LBB97_286
; %bb.283:
	scratch_load_dwordx4 v[114:117], v10, off offset:16
	ds_read_b128 v[118:121], v11 offset:16
	s_waitcnt vmcnt(0) lgkmcnt(0)
	v_mul_f64 v[6:7], v[120:121], v[116:117]
	v_mul_f64 v[12:13], v[118:119], v[116:117]
	v_fma_f64 v[6:7], v[118:119], v[114:115], -v[6:7]
	v_fmac_f64_e32 v[12:13], v[120:121], v[114:115]
	v_add_f64 v[2:3], v[2:3], v[6:7]
	v_add_f64 v[4:5], v[4:5], v[12:13]
	s_and_saveexec_b64 s[10:11], s[2:3]
	s_cbranch_execz .LBB97_285
; %bb.284:
	scratch_load_dwordx4 v[114:117], off, off offset:32
	v_mov_b32_e32 v6, 0
	ds_read_b128 v[118:121], v6 offset:576
	s_waitcnt vmcnt(0) lgkmcnt(0)
	v_mul_f64 v[6:7], v[118:119], v[116:117]
	v_mul_f64 v[12:13], v[120:121], v[116:117]
	v_fmac_f64_e32 v[6:7], v[120:121], v[114:115]
	v_fma_f64 v[12:13], v[118:119], v[114:115], -v[12:13]
	v_add_f64 v[4:5], v[4:5], v[6:7]
	v_add_f64 v[2:3], v[2:3], v[12:13]
.LBB97_285:
	s_or_b64 exec, exec, s[10:11]
.LBB97_286:
	s_or_b64 exec, exec, s[8:9]
	v_mov_b32_e32 v6, 0
	ds_read_b128 v[114:117], v6 offset:48
	s_waitcnt lgkmcnt(0)
	v_mul_f64 v[6:7], v[4:5], v[116:117]
	v_mul_f64 v[118:119], v[2:3], v[116:117]
	v_fma_f64 v[116:117], v[2:3], v[114:115], -v[6:7]
	v_fmac_f64_e32 v[118:119], v[4:5], v[114:115]
	scratch_store_dwordx4 off, v[116:119], off offset:48
.LBB97_287:
	s_or_b64 exec, exec, s[6:7]
	scratch_load_dwordx4 v[2:5], v110, off
	v_cmp_gt_u32_e32 vcc, 4, v0
	s_waitcnt vmcnt(0)
	ds_write_b128 v11, v[2:5]
	s_waitcnt lgkmcnt(0)
	; wave barrier
	s_waitcnt lgkmcnt(0)
	s_and_saveexec_b64 s[2:3], vcc
	s_cbranch_execz .LBB97_295
; %bb.288:
	ds_read_b128 v[2:5], v11
	s_and_b64 vcc, exec, s[0:1]
	s_cbranch_vccnz .LBB97_290
; %bb.289:
	scratch_load_dwordx4 v[114:117], v10, off
	s_waitcnt vmcnt(0) lgkmcnt(0)
	v_mul_f64 v[12:13], v[2:3], v[116:117]
	v_mul_f64 v[6:7], v[4:5], v[116:117]
	v_fmac_f64_e32 v[12:13], v[4:5], v[114:115]
	v_fma_f64 v[2:3], v[2:3], v[114:115], -v[6:7]
	v_mov_b64_e32 v[4:5], v[12:13]
.LBB97_290:
	v_cmp_ne_u32_e32 vcc, 3, v0
	s_and_saveexec_b64 s[6:7], vcc
	s_cbranch_execz .LBB97_294
; %bb.291:
	v_mov_b32_e32 v7, 0
	v_add_u32_e32 v6, 0x230, v82
	v_add3_u32 v7, v82, v7, 24
	s_mov_b64 s[8:9], 0
	v_mov_b32_e32 v12, v0
.LBB97_292:                             ; =>This Inner Loop Header: Depth=1
	v_add_u32_e32 v13, -8, v7
	scratch_load_dwordx4 v[114:117], v13, off
	ds_read_b128 v[118:121], v6
	v_add_u32_e32 v12, 1, v12
	v_cmp_lt_u32_e32 vcc, 2, v12
	v_add_u32_e32 v6, 16, v6
	v_add_u32_e32 v7, 16, v7
	s_or_b64 s[8:9], vcc, s[8:9]
	s_waitcnt vmcnt(0) lgkmcnt(0)
	v_mul_f64 v[122:123], v[120:121], v[116:117]
	v_mul_f64 v[116:117], v[118:119], v[116:117]
	v_fma_f64 v[118:119], v[118:119], v[114:115], -v[122:123]
	v_fmac_f64_e32 v[116:117], v[120:121], v[114:115]
	v_add_f64 v[2:3], v[2:3], v[118:119]
	v_add_f64 v[4:5], v[4:5], v[116:117]
	s_andn2_b64 exec, exec, s[8:9]
	s_cbranch_execnz .LBB97_292
; %bb.293:
	s_or_b64 exec, exec, s[8:9]
.LBB97_294:
	s_or_b64 exec, exec, s[6:7]
	v_mov_b32_e32 v6, 0
	ds_read_b128 v[114:117], v6 offset:64
	s_waitcnt lgkmcnt(0)
	v_mul_f64 v[6:7], v[4:5], v[116:117]
	v_mul_f64 v[118:119], v[2:3], v[116:117]
	v_fma_f64 v[116:117], v[2:3], v[114:115], -v[6:7]
	v_fmac_f64_e32 v[118:119], v[4:5], v[114:115]
	scratch_store_dwordx4 off, v[116:119], off offset:64
.LBB97_295:
	s_or_b64 exec, exec, s[2:3]
	scratch_load_dwordx4 v[2:5], v112, off
	v_cmp_gt_u32_e32 vcc, 5, v0
	s_waitcnt vmcnt(0)
	ds_write_b128 v11, v[2:5]
	s_waitcnt lgkmcnt(0)
	; wave barrier
	s_waitcnt lgkmcnt(0)
	s_and_saveexec_b64 s[2:3], vcc
	s_cbranch_execz .LBB97_303
; %bb.296:
	ds_read_b128 v[2:5], v11
	s_and_b64 vcc, exec, s[0:1]
	s_cbranch_vccnz .LBB97_298
; %bb.297:
	scratch_load_dwordx4 v[114:117], v10, off
	s_waitcnt vmcnt(0) lgkmcnt(0)
	v_mul_f64 v[12:13], v[2:3], v[116:117]
	v_mul_f64 v[6:7], v[4:5], v[116:117]
	v_fmac_f64_e32 v[12:13], v[4:5], v[114:115]
	v_fma_f64 v[2:3], v[2:3], v[114:115], -v[6:7]
	v_mov_b64_e32 v[4:5], v[12:13]
.LBB97_298:
	v_cmp_ne_u32_e32 vcc, 4, v0
	s_and_saveexec_b64 s[6:7], vcc
	s_cbranch_execz .LBB97_302
; %bb.299:
	v_mov_b32_e32 v7, 0
	v_add_u32_e32 v6, 0x230, v82
	v_add3_u32 v7, v82, v7, 24
	s_mov_b64 s[8:9], 0
	v_mov_b32_e32 v12, v0
.LBB97_300:                             ; =>This Inner Loop Header: Depth=1
	v_add_u32_e32 v13, -8, v7
	scratch_load_dwordx4 v[114:117], v13, off
	ds_read_b128 v[118:121], v6
	v_add_u32_e32 v12, 1, v12
	v_cmp_lt_u32_e32 vcc, 3, v12
	v_add_u32_e32 v6, 16, v6
	v_add_u32_e32 v7, 16, v7
	s_or_b64 s[8:9], vcc, s[8:9]
	s_waitcnt vmcnt(0) lgkmcnt(0)
	v_mul_f64 v[122:123], v[120:121], v[116:117]
	v_mul_f64 v[116:117], v[118:119], v[116:117]
	v_fma_f64 v[118:119], v[118:119], v[114:115], -v[122:123]
	v_fmac_f64_e32 v[116:117], v[120:121], v[114:115]
	v_add_f64 v[2:3], v[2:3], v[118:119]
	v_add_f64 v[4:5], v[4:5], v[116:117]
	s_andn2_b64 exec, exec, s[8:9]
	s_cbranch_execnz .LBB97_300
; %bb.301:
	s_or_b64 exec, exec, s[8:9]
.LBB97_302:
	s_or_b64 exec, exec, s[6:7]
	v_mov_b32_e32 v6, 0
	ds_read_b128 v[114:117], v6 offset:80
	s_waitcnt lgkmcnt(0)
	v_mul_f64 v[6:7], v[4:5], v[116:117]
	v_mul_f64 v[118:119], v[2:3], v[116:117]
	v_fma_f64 v[116:117], v[2:3], v[114:115], -v[6:7]
	v_fmac_f64_e32 v[118:119], v[4:5], v[114:115]
	scratch_store_dwordx4 off, v[116:119], off offset:80
.LBB97_303:
	;; [unrolled: 63-line block ×28, first 2 shown]
	s_or_b64 exec, exec, s[2:3]
	scratch_load_dwordx4 v[2:5], v1, off
	v_cmp_gt_u32_e64 s[2:3], 32, v0
	s_waitcnt vmcnt(0)
	ds_write_b128 v11, v[2:5]
	s_waitcnt lgkmcnt(0)
	; wave barrier
	s_waitcnt lgkmcnt(0)
	s_and_saveexec_b64 s[6:7], s[2:3]
	s_cbranch_execz .LBB97_519
; %bb.512:
	ds_read_b128 v[2:5], v11
	s_and_b64 vcc, exec, s[0:1]
	s_cbranch_vccnz .LBB97_514
; %bb.513:
	scratch_load_dwordx4 v[114:117], v10, off
	s_waitcnt vmcnt(0) lgkmcnt(0)
	v_mul_f64 v[12:13], v[2:3], v[116:117]
	v_mul_f64 v[6:7], v[4:5], v[116:117]
	v_fmac_f64_e32 v[12:13], v[4:5], v[114:115]
	v_fma_f64 v[2:3], v[2:3], v[114:115], -v[6:7]
	v_mov_b64_e32 v[4:5], v[12:13]
.LBB97_514:
	v_cmp_ne_u32_e32 vcc, 31, v0
	s_and_saveexec_b64 s[8:9], vcc
	s_cbranch_execz .LBB97_518
; %bb.515:
	v_mov_b32_e32 v7, 0
	v_add_u32_e32 v6, 0x230, v82
	v_add3_u32 v7, v82, v7, 24
	s_mov_b64 s[10:11], 0
	v_mov_b32_e32 v12, v0
.LBB97_516:                             ; =>This Inner Loop Header: Depth=1
	v_add_u32_e32 v13, -8, v7
	scratch_load_dwordx4 v[114:117], v13, off
	ds_read_b128 v[118:121], v6
	v_add_u32_e32 v12, 1, v12
	v_cmp_lt_u32_e32 vcc, 30, v12
	v_add_u32_e32 v6, 16, v6
	v_add_u32_e32 v7, 16, v7
	s_or_b64 s[10:11], vcc, s[10:11]
	s_waitcnt vmcnt(0) lgkmcnt(0)
	v_mul_f64 v[122:123], v[120:121], v[116:117]
	v_mul_f64 v[116:117], v[118:119], v[116:117]
	v_fma_f64 v[118:119], v[118:119], v[114:115], -v[122:123]
	v_fmac_f64_e32 v[116:117], v[120:121], v[114:115]
	v_add_f64 v[2:3], v[2:3], v[118:119]
	v_add_f64 v[4:5], v[4:5], v[116:117]
	s_andn2_b64 exec, exec, s[10:11]
	s_cbranch_execnz .LBB97_516
; %bb.517:
	s_or_b64 exec, exec, s[10:11]
.LBB97_518:
	s_or_b64 exec, exec, s[8:9]
	v_mov_b32_e32 v6, 0
	ds_read_b128 v[114:117], v6 offset:512
	s_waitcnt lgkmcnt(0)
	v_mul_f64 v[6:7], v[4:5], v[116:117]
	v_mul_f64 v[118:119], v[2:3], v[116:117]
	v_fma_f64 v[116:117], v[2:3], v[114:115], -v[6:7]
	v_fmac_f64_e32 v[118:119], v[4:5], v[114:115]
	scratch_store_dwordx4 off, v[116:119], off offset:512
.LBB97_519:
	s_or_b64 exec, exec, s[6:7]
	scratch_load_dwordx4 v[2:5], v8, off
	v_cmp_ne_u32_e32 vcc, 33, v0
                                        ; implicit-def: $vgpr6_vgpr7
                                        ; implicit-def: $vgpr12
	s_waitcnt vmcnt(0)
	ds_write_b128 v11, v[2:5]
	s_waitcnt lgkmcnt(0)
	; wave barrier
	s_waitcnt lgkmcnt(0)
	s_and_saveexec_b64 s[6:7], vcc
	s_cbranch_execz .LBB97_527
; %bb.520:
	ds_read_b128 v[2:5], v11
	s_and_b64 vcc, exec, s[0:1]
	s_cbranch_vccnz .LBB97_522
; %bb.521:
	scratch_load_dwordx4 v[10:13], v10, off
	s_waitcnt vmcnt(0) lgkmcnt(0)
	v_mul_f64 v[6:7], v[4:5], v[12:13]
	v_mul_f64 v[12:13], v[2:3], v[12:13]
	v_fmac_f64_e32 v[12:13], v[4:5], v[10:11]
	v_fma_f64 v[2:3], v[2:3], v[10:11], -v[6:7]
	v_mov_b64_e32 v[4:5], v[12:13]
.LBB97_522:
	s_and_saveexec_b64 s[0:1], s[2:3]
	s_cbranch_execz .LBB97_526
; %bb.523:
	v_mov_b32_e32 v7, 0
	v_add_u32_e32 v6, 0x230, v82
	v_add3_u32 v7, v82, v7, 24
	s_mov_b64 s[2:3], 0
.LBB97_524:                             ; =>This Inner Loop Header: Depth=1
	v_add_u32_e32 v10, -8, v7
	scratch_load_dwordx4 v[10:13], v10, off
	ds_read_b128 v[114:117], v6
	v_add_u32_e32 v0, 1, v0
	v_cmp_lt_u32_e32 vcc, 31, v0
	v_add_u32_e32 v6, 16, v6
	v_add_u32_e32 v7, 16, v7
	s_or_b64 s[2:3], vcc, s[2:3]
	s_waitcnt vmcnt(0) lgkmcnt(0)
	v_mul_f64 v[118:119], v[116:117], v[12:13]
	v_mul_f64 v[12:13], v[114:115], v[12:13]
	v_fma_f64 v[114:115], v[114:115], v[10:11], -v[118:119]
	v_fmac_f64_e32 v[12:13], v[116:117], v[10:11]
	v_add_f64 v[2:3], v[2:3], v[114:115]
	v_add_f64 v[4:5], v[4:5], v[12:13]
	s_andn2_b64 exec, exec, s[2:3]
	s_cbranch_execnz .LBB97_524
; %bb.525:
	s_or_b64 exec, exec, s[2:3]
.LBB97_526:
	s_or_b64 exec, exec, s[0:1]
	v_mov_b32_e32 v0, 0
	ds_read_b128 v[114:117], v0 offset:528
	v_mov_b32_e32 v0, 0
	v_add_u32_e32 v12, 0x218, v0
	s_or_b64 s[4:5], s[4:5], exec
	s_waitcnt lgkmcnt(0)
	v_mul_f64 v[10:11], v[4:5], v[116:117]
	v_mul_f64 v[6:7], v[2:3], v[116:117]
	v_fma_f64 v[2:3], v[2:3], v[114:115], -v[10:11]
	v_fmac_f64_e32 v[6:7], v[4:5], v[114:115]
	scratch_store_dwordx2 off, v[2:3], off offset:528
.LBB97_527:
	s_or_b64 exec, exec, s[6:7]
.LBB97_528:
	s_and_saveexec_b64 s[0:1], s[4:5]
	s_cbranch_execz .LBB97_530
; %bb.529:
	scratch_store_dwordx2 v12, v[6:7], off
.LBB97_530:
	s_or_b64 exec, exec, s[0:1]
	scratch_load_dwordx4 v[2:5], off, off
	scratch_load_dwordx4 v[10:13], v107, off
	scratch_load_dwordx4 v[114:117], v109, off
	;; [unrolled: 1-line block ×5, first 2 shown]
                                        ; kill: killed $vgpr111
                                        ; kill: killed $vgpr112
                                        ; kill: killed $vgpr109
                                        ; kill: killed $vgpr110
                                        ; kill: killed $vgpr107
	s_nop 0
	scratch_load_dwordx4 v[108:111], v108, off
	s_waitcnt vmcnt(6)
	global_store_dwordx4 v[44:45], v[2:5], off
	scratch_load_dwordx4 v[2:5], v106, off
	s_nop 0
	scratch_load_dwordx4 v[130:133], v105, off
	s_waitcnt vmcnt(8)
	global_store_dwordx4 v[42:43], v[10:13], off
	scratch_load_dwordx4 v[10:13], v103, off
	;; [unrolled: 5-line block ×3, first 2 shown]
	s_nop 0
	scratch_load_dwordx4 v[112:115], v102, off
	s_nop 0
	scratch_load_dwordx4 v[100:103], v100, off
	s_waitcnt vmcnt(13)
	global_store_dwordx4 v[36:37], v[118:121], off
	s_waitcnt vmcnt(13)
	global_store_dwordx4 v[34:35], v[122:125], off
	scratch_load_dwordx4 v[32:35], v99, off
	s_nop 0
	scratch_load_dwordx4 v[116:119], v98, off
	s_waitcnt vmcnt(15)
	global_store_dwordx4 v[30:31], v[126:129], off
	scratch_load_dwordx4 v[120:123], v96, off
	s_nop 0
	scratch_load_dwordx4 v[124:127], v97, off
	;; [unrolled: 5-line block ×10, first 2 shown]
	s_waitcnt vmcnt(28)
	global_store_dwordx4 v[38:39], v[32:35], off
	s_waitcnt vmcnt(28)
	global_store_dwordx4 v[46:47], v[116:119], off
	s_waitcnt vmcnt(27)
	global_store_dwordx4 v[48:49], v[120:123], off
	s_waitcnt vmcnt(27)
	global_store_dwordx4 v[50:51], v[124:127], off
	s_waitcnt vmcnt(26)
	global_store_dwordx4 v[52:53], v[28:31], off
	s_waitcnt vmcnt(26)
	global_store_dwordx4 v[54:55], v[96:99], off
	s_waitcnt vmcnt(25)
	global_store_dwordx4 v[56:57], v[2:5], off
	s_waitcnt vmcnt(25)
	global_store_dwordx4 v[58:59], v[108:111], off
	s_waitcnt vmcnt(24)
	global_store_dwordx4 v[60:61], v[92:95], off
	s_waitcnt vmcnt(24)
	global_store_dwordx4 v[62:63], v[128:131], off
	s_waitcnt vmcnt(23)
	global_store_dwordx4 v[64:65], v[10:13], off
	s_waitcnt vmcnt(23)
	global_store_dwordx4 v[66:67], v[24:27], off
	s_waitcnt vmcnt(22)
	global_store_dwordx4 v[68:69], v[18:21], off
	s_waitcnt vmcnt(22)
	global_store_dwordx4 v[70:71], v[42:45], off
	s_waitcnt vmcnt(21)
	global_store_dwordx4 v[72:73], v[86:89], off
	s_waitcnt vmcnt(21)
	global_store_dwordx4 v[74:75], v[104:107], off
	s_waitcnt vmcnt(20)
	global_store_dwordx4 v[76:77], v[112:115], off
	s_waitcnt vmcnt(20)
	global_store_dwordx4 v[78:79], v[132:135], off
	s_waitcnt vmcnt(19)
	global_store_dwordx4 v[80:81], v[82:85], off
	s_waitcnt vmcnt(19)
	global_store_dwordx4 v[14:15], v[100:103], off
.LBB97_531:
	s_endpgm
	.section	.rodata,"a",@progbits
	.p2align	6, 0x0
	.amdhsa_kernel _ZN9rocsolver6v33100L18trti2_kernel_smallILi34E19rocblas_complex_numIdEPKPS3_EEv13rocblas_fill_17rocblas_diagonal_T1_iil
		.amdhsa_group_segment_fixed_size 1088
		.amdhsa_private_segment_fixed_size 560
		.amdhsa_kernarg_size 32
		.amdhsa_user_sgpr_count 2
		.amdhsa_user_sgpr_dispatch_ptr 0
		.amdhsa_user_sgpr_queue_ptr 0
		.amdhsa_user_sgpr_kernarg_segment_ptr 1
		.amdhsa_user_sgpr_dispatch_id 0
		.amdhsa_user_sgpr_kernarg_preload_length 0
		.amdhsa_user_sgpr_kernarg_preload_offset 0
		.amdhsa_user_sgpr_private_segment_size 0
		.amdhsa_uses_dynamic_stack 0
		.amdhsa_enable_private_segment 1
		.amdhsa_system_sgpr_workgroup_id_x 1
		.amdhsa_system_sgpr_workgroup_id_y 0
		.amdhsa_system_sgpr_workgroup_id_z 0
		.amdhsa_system_sgpr_workgroup_info 0
		.amdhsa_system_vgpr_workitem_id 0
		.amdhsa_next_free_vgpr 136
		.amdhsa_next_free_sgpr 12
		.amdhsa_accum_offset 136
		.amdhsa_reserve_vcc 1
		.amdhsa_float_round_mode_32 0
		.amdhsa_float_round_mode_16_64 0
		.amdhsa_float_denorm_mode_32 3
		.amdhsa_float_denorm_mode_16_64 3
		.amdhsa_dx10_clamp 1
		.amdhsa_ieee_mode 1
		.amdhsa_fp16_overflow 0
		.amdhsa_tg_split 0
		.amdhsa_exception_fp_ieee_invalid_op 0
		.amdhsa_exception_fp_denorm_src 0
		.amdhsa_exception_fp_ieee_div_zero 0
		.amdhsa_exception_fp_ieee_overflow 0
		.amdhsa_exception_fp_ieee_underflow 0
		.amdhsa_exception_fp_ieee_inexact 0
		.amdhsa_exception_int_div_zero 0
	.end_amdhsa_kernel
	.section	.text._ZN9rocsolver6v33100L18trti2_kernel_smallILi34E19rocblas_complex_numIdEPKPS3_EEv13rocblas_fill_17rocblas_diagonal_T1_iil,"axG",@progbits,_ZN9rocsolver6v33100L18trti2_kernel_smallILi34E19rocblas_complex_numIdEPKPS3_EEv13rocblas_fill_17rocblas_diagonal_T1_iil,comdat
.Lfunc_end97:
	.size	_ZN9rocsolver6v33100L18trti2_kernel_smallILi34E19rocblas_complex_numIdEPKPS3_EEv13rocblas_fill_17rocblas_diagonal_T1_iil, .Lfunc_end97-_ZN9rocsolver6v33100L18trti2_kernel_smallILi34E19rocblas_complex_numIdEPKPS3_EEv13rocblas_fill_17rocblas_diagonal_T1_iil
                                        ; -- End function
	.section	.AMDGPU.csdata,"",@progbits
; Kernel info:
; codeLenInByte = 22340
; NumSgprs: 18
; NumVgprs: 136
; NumAgprs: 0
; TotalNumVgprs: 136
; ScratchSize: 560
; MemoryBound: 0
; FloatMode: 240
; IeeeMode: 1
; LDSByteSize: 1088 bytes/workgroup (compile time only)
; SGPRBlocks: 2
; VGPRBlocks: 16
; NumSGPRsForWavesPerEU: 18
; NumVGPRsForWavesPerEU: 136
; AccumOffset: 136
; Occupancy: 3
; WaveLimiterHint : 1
; COMPUTE_PGM_RSRC2:SCRATCH_EN: 1
; COMPUTE_PGM_RSRC2:USER_SGPR: 2
; COMPUTE_PGM_RSRC2:TRAP_HANDLER: 0
; COMPUTE_PGM_RSRC2:TGID_X_EN: 1
; COMPUTE_PGM_RSRC2:TGID_Y_EN: 0
; COMPUTE_PGM_RSRC2:TGID_Z_EN: 0
; COMPUTE_PGM_RSRC2:TIDIG_COMP_CNT: 0
; COMPUTE_PGM_RSRC3_GFX90A:ACCUM_OFFSET: 33
; COMPUTE_PGM_RSRC3_GFX90A:TG_SPLIT: 0
	.section	.text._ZN9rocsolver6v33100L18trti2_kernel_smallILi35E19rocblas_complex_numIdEPKPS3_EEv13rocblas_fill_17rocblas_diagonal_T1_iil,"axG",@progbits,_ZN9rocsolver6v33100L18trti2_kernel_smallILi35E19rocblas_complex_numIdEPKPS3_EEv13rocblas_fill_17rocblas_diagonal_T1_iil,comdat
	.globl	_ZN9rocsolver6v33100L18trti2_kernel_smallILi35E19rocblas_complex_numIdEPKPS3_EEv13rocblas_fill_17rocblas_diagonal_T1_iil ; -- Begin function _ZN9rocsolver6v33100L18trti2_kernel_smallILi35E19rocblas_complex_numIdEPKPS3_EEv13rocblas_fill_17rocblas_diagonal_T1_iil
	.p2align	8
	.type	_ZN9rocsolver6v33100L18trti2_kernel_smallILi35E19rocblas_complex_numIdEPKPS3_EEv13rocblas_fill_17rocblas_diagonal_T1_iil,@function
_ZN9rocsolver6v33100L18trti2_kernel_smallILi35E19rocblas_complex_numIdEPKPS3_EEv13rocblas_fill_17rocblas_diagonal_T1_iil: ; @_ZN9rocsolver6v33100L18trti2_kernel_smallILi35E19rocblas_complex_numIdEPKPS3_EEv13rocblas_fill_17rocblas_diagonal_T1_iil
; %bb.0:
	v_cmp_gt_u32_e32 vcc, 35, v0
	s_and_saveexec_b64 s[4:5], vcc
	s_cbranch_execz .LBB98_547
; %bb.1:
	s_load_dwordx2 s[8:9], s[0:1], 0x10
	s_load_dwordx4 s[4:7], s[0:1], 0x0
	s_ashr_i32 s3, s2, 31
	s_lshl_b64 s[0:1], s[2:3], 3
	v_lshlrev_b32_e32 v62, 4, v0
	s_waitcnt lgkmcnt(0)
	s_ashr_i32 s3, s8, 31
	s_add_u32 s0, s6, s0
	s_addc_u32 s1, s7, s1
	s_load_dwordx2 s[0:1], s[0:1], 0x0
	s_mov_b32 s2, s8
	s_lshl_b64 s[2:3], s[2:3], 4
	v_mov_b32_e32 v63, 0
	s_waitcnt lgkmcnt(0)
	s_add_u32 s0, s0, s2
	s_addc_u32 s1, s1, s3
	v_lshl_add_u64 v[16:17], s[0:1], 0, v[62:63]
	s_ashr_i32 s3, s9, 31
	s_mov_b32 s2, s9
	v_lshl_add_u64 v[14:15], s[2:3], 4, v[16:17]
	s_add_i32 s2, s9, s9
	v_add_u32_e32 v20, s2, v0
	v_add_u32_e32 v22, s9, v20
	v_ashrrev_i32_e32 v21, 31, v20
	v_ashrrev_i32_e32 v23, 31, v22
	v_add_u32_e32 v24, s9, v22
	v_lshl_add_u64 v[18:19], v[20:21], 4, s[0:1]
	v_lshl_add_u64 v[20:21], v[22:23], 4, s[0:1]
	v_ashrrev_i32_e32 v25, 31, v24
	global_load_dwordx4 v[2:5], v62, s[0:1]
	global_load_dwordx4 v[6:9], v[14:15], off
	global_load_dwordx4 v[10:13], v[18:19], off
	v_lshl_add_u64 v[22:23], v[24:25], 4, s[0:1]
	global_load_dwordx4 v[56:59], v[20:21], off
	global_load_dwordx4 v[64:67], v[22:23], off
	v_add_u32_e32 v24, s9, v24
	v_add_u32_e32 v26, s9, v24
	;; [unrolled: 1-line block ×14, first 2 shown]
	v_ashrrev_i32_e32 v25, 31, v24
	v_ashrrev_i32_e32 v29, 31, v28
	;; [unrolled: 1-line block ×7, first 2 shown]
	v_add_u32_e32 v52, s9, v50
	v_lshl_add_u64 v[24:25], v[24:25], 4, s[0:1]
	v_ashrrev_i32_e32 v27, 31, v26
	v_lshl_add_u64 v[28:29], v[28:29], 4, s[0:1]
	v_ashrrev_i32_e32 v31, 31, v30
	;; [unrolled: 2-line block ×7, first 2 shown]
	v_add_u32_e32 v60, s9, v52
	v_lshl_add_u64 v[26:27], v[26:27], 4, s[0:1]
	global_load_dwordx4 v[68:71], v[24:25], off
	global_load_dwordx4 v[72:75], v[26:27], off
	v_lshl_add_u64 v[30:31], v[30:31], 4, s[0:1]
	global_load_dwordx4 v[76:79], v[28:29], off
	global_load_dwordx4 v[80:83], v[30:31], off
	;; [unrolled: 3-line block ×7, first 2 shown]
	v_ashrrev_i32_e32 v61, 31, v60
	v_ashrrev_i32_e32 v53, 31, v52
	v_lshl_add_u64 v[54:55], v[60:61], 4, s[0:1]
	v_lshl_add_u64 v[52:53], v[52:53], 4, s[0:1]
	s_cmpk_lg_i32 s5, 0x84
	s_cselect_b64 s[6:7], -1, 0
	s_cmpk_eq_i32 s5, 0x84
	s_waitcnt vmcnt(18)
	scratch_store_dwordx4 off, v[2:5], off
	s_waitcnt vmcnt(18)
	scratch_store_dwordx4 off, v[6:9], off offset:16
	s_waitcnt vmcnt(18)
	scratch_store_dwordx4 off, v[10:13], off offset:32
	;; [unrolled: 2-line block ×4, first 2 shown]
	v_add_u32_e32 v10, s9, v60
	v_ashrrev_i32_e32 v11, 31, v10
	v_add_u32_e32 v60, s9, v10
	v_lshl_add_u64 v[56:57], v[10:11], 4, s[0:1]
	v_ashrrev_i32_e32 v61, 31, v60
	global_load_dwordx4 v[2:5], v[52:53], off
	global_load_dwordx4 v[6:9], v[54:55], off
	v_lshl_add_u64 v[58:59], v[60:61], 4, s[0:1]
	global_load_dwordx4 v[10:13], v[56:57], off
	global_load_dwordx4 v[64:67], v[58:59], off
	s_waitcnt vmcnt(22)
	scratch_store_dwordx4 off, v[68:71], off offset:80
	s_waitcnt vmcnt(22)
	scratch_store_dwordx4 off, v[72:75], off offset:96
	;; [unrolled: 2-line block ×18, first 2 shown]
	v_add_u32_e32 v2, s9, v60
	v_add_u32_e32 v10, s9, v2
	v_ashrrev_i32_e32 v11, 31, v10
	v_lshl_add_u64 v[64:65], v[10:11], 4, s[0:1]
	v_add_u32_e32 v10, s9, v10
	v_add_u32_e32 v70, s9, v10
	;; [unrolled: 1-line block ×9, first 2 shown]
	v_ashrrev_i32_e32 v71, 31, v70
	v_ashrrev_i32_e32 v73, 31, v72
	;; [unrolled: 1-line block ×10, first 2 shown]
	v_lshl_add_u64 v[68:69], v[70:71], 4, s[0:1]
	v_lshl_add_u64 v[70:71], v[72:73], 4, s[0:1]
	v_lshl_add_u64 v[72:73], v[74:75], 4, s[0:1]
	v_lshl_add_u64 v[74:75], v[76:77], 4, s[0:1]
	v_lshl_add_u64 v[76:77], v[78:79], 4, s[0:1]
	v_lshl_add_u64 v[78:79], v[80:81], 4, s[0:1]
	v_lshl_add_u64 v[80:81], v[82:83], 4, s[0:1]
	v_lshl_add_u64 v[82:83], v[84:85], 4, s[0:1]
	v_add_u32_e32 v84, s9, v84
	v_lshl_add_u64 v[60:61], v[2:3], 4, s[0:1]
	v_lshl_add_u64 v[66:67], v[10:11], 4, s[0:1]
	v_ashrrev_i32_e32 v85, 31, v84
	global_load_dwordx4 v[2:5], v[60:61], off
	global_load_dwordx4 v[6:9], v[64:65], off
	;; [unrolled: 1-line block ×10, first 2 shown]
	v_lshl_add_u64 v[84:85], v[84:85], 4, s[0:1]
	global_load_dwordx4 v[114:117], v[82:83], off
	global_load_dwordx4 v[118:121], v[84:85], off
	s_waitcnt vmcnt(11)
	scratch_store_dwordx4 off, v[2:5], off offset:368
	s_waitcnt vmcnt(11)
	scratch_store_dwordx4 off, v[6:9], off offset:384
	;; [unrolled: 2-line block ×12, first 2 shown]
	v_mov_b32_e32 v12, 0
	s_cbranch_scc1 .LBB98_7
; %bb.2:
	scratch_load_dwordx4 v[6:9], v62, off
                                        ; implicit-def: $vgpr10_vgpr11
	s_waitcnt vmcnt(0)
	v_xor_b32_e32 v1, 0x80000000, v7
	v_cmp_gt_f64_e32 vcc, 0, v[6:7]
	v_xor_b32_e32 v4, 0x80000000, v9
	v_mov_b32_e32 v2, v6
	v_cndmask_b32_e32 v3, v7, v1, vcc
	v_cmp_gt_f64_e32 vcc, 0, v[8:9]
	s_nop 1
	v_cndmask_b32_e32 v5, v9, v4, vcc
	v_mov_b32_e32 v4, v8
	v_cmp_ngt_f64_e32 vcc, v[2:3], v[4:5]
                                        ; implicit-def: $vgpr2_vgpr3
	s_and_saveexec_b64 s[0:1], vcc
	s_xor_b64 s[0:1], exec, s[0:1]
	s_cbranch_execz .LBB98_4
; %bb.3:
	v_div_scale_f64 v[2:3], s[2:3], v[8:9], v[8:9], v[6:7]
	v_rcp_f64_e32 v[4:5], v[2:3]
	v_div_scale_f64 v[10:11], vcc, v[6:7], v[8:9], v[6:7]
	v_fma_f64 v[86:87], -v[2:3], v[4:5], 1.0
	v_fmac_f64_e32 v[4:5], v[4:5], v[86:87]
	v_fma_f64 v[86:87], -v[2:3], v[4:5], 1.0
	v_fmac_f64_e32 v[4:5], v[4:5], v[86:87]
	v_mul_f64 v[86:87], v[10:11], v[4:5]
	v_fma_f64 v[2:3], -v[2:3], v[86:87], v[10:11]
	v_div_fmas_f64 v[2:3], v[2:3], v[4:5], v[86:87]
	v_div_fixup_f64 v[2:3], v[2:3], v[8:9], v[6:7]
	v_fmac_f64_e32 v[8:9], v[6:7], v[2:3]
	v_div_scale_f64 v[4:5], s[2:3], v[8:9], v[8:9], 1.0
	v_rcp_f64_e32 v[6:7], v[4:5]
	s_nop 0
	v_fma_f64 v[10:11], -v[4:5], v[6:7], 1.0
	v_fmac_f64_e32 v[6:7], v[6:7], v[10:11]
	v_fma_f64 v[10:11], -v[4:5], v[6:7], 1.0
	v_fmac_f64_e32 v[6:7], v[6:7], v[10:11]
	v_div_scale_f64 v[10:11], vcc, 1.0, v[8:9], 1.0
	v_mul_f64 v[86:87], v[10:11], v[6:7]
	v_fma_f64 v[4:5], -v[4:5], v[86:87], v[10:11]
	s_nop 1
	v_div_fmas_f64 v[4:5], v[4:5], v[6:7], v[86:87]
	v_div_fixup_f64 v[4:5], v[4:5], v[8:9], 1.0
	v_mul_f64 v[2:3], v[2:3], v[4:5]
	v_xor_b32_e32 v5, 0x80000000, v5
	v_xor_b32_e32 v11, 0x80000000, v3
	v_mov_b32_e32 v10, v2
                                        ; implicit-def: $vgpr6_vgpr7
.LBB98_4:
	s_or_saveexec_b64 s[0:1], s[0:1]
	v_add_u32_e32 v1, 0, v62
	s_xor_b64 exec, exec, s[0:1]
	s_cbranch_execz .LBB98_6
; %bb.5:
	v_div_scale_f64 v[2:3], s[2:3], v[6:7], v[6:7], v[8:9]
	v_rcp_f64_e32 v[4:5], v[2:3]
	v_div_scale_f64 v[10:11], vcc, v[8:9], v[6:7], v[8:9]
	v_fma_f64 v[86:87], -v[2:3], v[4:5], 1.0
	v_fmac_f64_e32 v[4:5], v[4:5], v[86:87]
	v_fma_f64 v[86:87], -v[2:3], v[4:5], 1.0
	v_fmac_f64_e32 v[4:5], v[4:5], v[86:87]
	v_mul_f64 v[86:87], v[10:11], v[4:5]
	v_fma_f64 v[2:3], -v[2:3], v[86:87], v[10:11]
	v_div_fmas_f64 v[2:3], v[2:3], v[4:5], v[86:87]
	v_div_fixup_f64 v[4:5], v[2:3], v[6:7], v[8:9]
	v_fmac_f64_e32 v[6:7], v[8:9], v[4:5]
	v_div_scale_f64 v[2:3], s[2:3], v[6:7], v[6:7], 1.0
	v_rcp_f64_e32 v[8:9], v[2:3]
	s_nop 0
	v_fma_f64 v[10:11], -v[2:3], v[8:9], 1.0
	v_fmac_f64_e32 v[8:9], v[8:9], v[10:11]
	v_fma_f64 v[10:11], -v[2:3], v[8:9], 1.0
	v_fmac_f64_e32 v[8:9], v[8:9], v[10:11]
	v_div_scale_f64 v[10:11], vcc, 1.0, v[6:7], 1.0
	v_mul_f64 v[86:87], v[10:11], v[8:9]
	v_fma_f64 v[2:3], -v[2:3], v[86:87], v[10:11]
	s_nop 1
	v_div_fmas_f64 v[2:3], v[2:3], v[8:9], v[86:87]
	v_div_fixup_f64 v[2:3], v[2:3], v[6:7], 1.0
	v_xor_b32_e32 v11, 0x80000000, v3
	v_mov_b32_e32 v10, v2
	v_mul_f64 v[4:5], v[4:5], -v[2:3]
.LBB98_6:
	s_or_b64 exec, exec, s[0:1]
	scratch_store_dwordx4 v1, v[2:5], off
	s_nop 1
	v_xor_b32_e32 v5, 0x80000000, v5
	s_branch .LBB98_8
.LBB98_7:
	v_mov_b64_e32 v[4:5], 0
	v_mov_b64_e32 v[10:11], -1.0
.LBB98_8:
	v_add_u32_e32 v113, 16, v12
	v_add_u32_e32 v111, 32, v12
	v_add_u32_e32 v114, 48, v12
	v_add_u32_e32 v112, 64, v12
	v_add_u32_e32 v115, 0x50, v12
	v_add_u32_e32 v110, 0x60, v12
	v_add_u32_e32 v109, 0x70, v12
	v_add_u32_e32 v108, 0x80, v12
	v_add_u32_e32 v107, 0x90, v12
	v_add_u32_e32 v106, 0xa0, v12
	v_add_u32_e32 v105, 0xb0, v12
	v_add_u32_e32 v103, 0xc0, v12
	v_add_u32_e32 v104, 0xd0, v12
	v_add_u32_e32 v102, 0xe0, v12
	v_add_u32_e32 v101, 0xf0, v12
	v_add_u32_e32 v100, 0x100, v12
	v_add_u32_e32 v98, 0x110, v12
	v_add_u32_e32 v99, 0x120, v12
	v_add_u32_e32 v96, 0x130, v12
	v_add_u32_e32 v97, 0x140, v12
	v_add_u32_e32 v94, 0x150, v12
	v_add_u32_e32 v95, 0x160, v12
	v_add_u32_e32 v92, 0x170, v12
	v_add_u32_e32 v93, 0x180, v12
	v_add_u32_e32 v91, 0x190, v12
	v_add_u32_e32 v90, 0x1a0, v12
	v_add_u32_e32 v89, 0x1b0, v12
	v_add_u32_e32 v88, 0x1c0, v12
	v_add_u32_e32 v87, 0x1d0, v12
	v_add_u32_e32 v86, 0x1e0, v12
	v_add_u32_e32 v9, 0x1f0, v12
	v_add_u32_e32 v63, 0x200, v12
	v_add_u32_e32 v1, 0x210, v12
	v_add_u32_e32 v8, 0x220, v12
	v_mov_b32_e32 v12, v4
	v_mov_b32_e32 v13, v5
	ds_write_b128 v62, v[10:13]
	s_cmpk_eq_i32 s4, 0x79
	v_add_u32_e32 v11, 0x230, v62
	v_add_u32_e32 v10, 0, v62
	s_cbranch_scc1 .LBB98_276
; %bb.9:
	scratch_load_dwordx4 v[2:5], v1, off
	v_cmp_eq_u32_e64 s[0:1], 34, v0
	s_waitcnt vmcnt(0)
	ds_write_b128 v11, v[2:5]
	s_waitcnt lgkmcnt(0)
	; wave barrier
	s_waitcnt lgkmcnt(0)
	s_and_saveexec_b64 s[2:3], s[0:1]
	s_cbranch_execz .LBB98_13
; %bb.10:
	ds_read_b128 v[2:5], v11
	s_andn2_b64 vcc, exec, s[6:7]
	s_cbranch_vccnz .LBB98_12
; %bb.11:
	scratch_load_dwordx4 v[116:119], v10, off
	s_waitcnt vmcnt(0) lgkmcnt(0)
	v_mul_f64 v[12:13], v[2:3], v[118:119]
	v_mul_f64 v[6:7], v[4:5], v[118:119]
	v_fmac_f64_e32 v[12:13], v[4:5], v[116:117]
	v_fma_f64 v[2:3], v[2:3], v[116:117], -v[6:7]
	v_mov_b64_e32 v[4:5], v[12:13]
.LBB98_12:
	v_mov_b32_e32 v6, 0
	ds_read_b128 v[116:119], v6 offset:528
	s_waitcnt lgkmcnt(0)
	v_mul_f64 v[6:7], v[4:5], v[118:119]
	v_mul_f64 v[120:121], v[2:3], v[118:119]
	v_fma_f64 v[118:119], v[2:3], v[116:117], -v[6:7]
	v_fmac_f64_e32 v[120:121], v[4:5], v[116:117]
	scratch_store_dwordx4 off, v[118:121], off offset:528
.LBB98_13:
	s_or_b64 exec, exec, s[2:3]
	scratch_load_dwordx4 v[2:5], v63, off
	v_cmp_lt_u32_e64 s[2:3], 32, v0
	s_waitcnt vmcnt(0)
	ds_write_b128 v11, v[2:5]
	s_waitcnt lgkmcnt(0)
	; wave barrier
	s_waitcnt lgkmcnt(0)
	s_and_saveexec_b64 s[4:5], s[2:3]
	s_cbranch_execz .LBB98_19
; %bb.14:
	ds_read_b128 v[2:5], v11
	s_andn2_b64 vcc, exec, s[6:7]
	s_cbranch_vccnz .LBB98_16
; %bb.15:
	scratch_load_dwordx4 v[116:119], v10, off
	s_waitcnt vmcnt(0) lgkmcnt(0)
	v_mul_f64 v[12:13], v[2:3], v[118:119]
	v_mul_f64 v[6:7], v[4:5], v[118:119]
	v_fmac_f64_e32 v[12:13], v[4:5], v[116:117]
	v_fma_f64 v[2:3], v[2:3], v[116:117], -v[6:7]
	v_mov_b64_e32 v[4:5], v[12:13]
.LBB98_16:
	s_and_saveexec_b64 s[8:9], s[0:1]
	s_cbranch_execz .LBB98_18
; %bb.17:
	scratch_load_dwordx4 v[116:119], off, off offset:528
	v_mov_b32_e32 v6, 0
	ds_read_b128 v[120:123], v6 offset:1088
	s_waitcnt vmcnt(0) lgkmcnt(0)
	v_mul_f64 v[6:7], v[120:121], v[118:119]
	v_mul_f64 v[12:13], v[122:123], v[118:119]
	v_fmac_f64_e32 v[6:7], v[122:123], v[116:117]
	v_fma_f64 v[12:13], v[120:121], v[116:117], -v[12:13]
	v_add_f64 v[4:5], v[4:5], v[6:7]
	v_add_f64 v[2:3], v[2:3], v[12:13]
.LBB98_18:
	s_or_b64 exec, exec, s[8:9]
	v_mov_b32_e32 v6, 0
	ds_read_b128 v[116:119], v6 offset:512
	s_waitcnt lgkmcnt(0)
	v_mul_f64 v[6:7], v[4:5], v[118:119]
	v_mul_f64 v[120:121], v[2:3], v[118:119]
	v_fma_f64 v[118:119], v[2:3], v[116:117], -v[6:7]
	v_fmac_f64_e32 v[120:121], v[4:5], v[116:117]
	scratch_store_dwordx4 off, v[118:121], off offset:512
.LBB98_19:
	s_or_b64 exec, exec, s[4:5]
	scratch_load_dwordx4 v[2:5], v9, off
	v_cmp_lt_u32_e64 s[0:1], 31, v0
	s_waitcnt vmcnt(0)
	ds_write_b128 v11, v[2:5]
	s_waitcnt lgkmcnt(0)
	; wave barrier
	s_waitcnt lgkmcnt(0)
	s_and_saveexec_b64 s[4:5], s[0:1]
	s_cbranch_execz .LBB98_27
; %bb.20:
	ds_read_b128 v[2:5], v11
	s_andn2_b64 vcc, exec, s[6:7]
	s_cbranch_vccnz .LBB98_22
; %bb.21:
	scratch_load_dwordx4 v[116:119], v10, off
	s_waitcnt vmcnt(0) lgkmcnt(0)
	v_mul_f64 v[12:13], v[2:3], v[118:119]
	v_mul_f64 v[6:7], v[4:5], v[118:119]
	v_fmac_f64_e32 v[12:13], v[4:5], v[116:117]
	v_fma_f64 v[2:3], v[2:3], v[116:117], -v[6:7]
	v_mov_b64_e32 v[4:5], v[12:13]
.LBB98_22:
	s_and_saveexec_b64 s[8:9], s[2:3]
	s_cbranch_execz .LBB98_26
; %bb.23:
	v_mov_b32_e32 v7, 0
	v_subrev_u32_e32 v6, 32, v0
	v_add_u32_e32 v7, 0x208, v7
	s_movk_i32 s10, 0x430
	s_mov_b64 s[2:3], 0
.LBB98_24:                              ; =>This Inner Loop Header: Depth=1
	v_add_u32_e32 v12, -8, v7
	scratch_load_dwordx4 v[116:119], v12, off
	v_mov_b32_e32 v12, s10
	ds_read_b128 v[120:123], v12
	v_add_u32_e32 v6, -1, v6
	s_add_i32 s10, s10, 16
	v_cmp_eq_u32_e32 vcc, 0, v6
	v_add_u32_e32 v7, 16, v7
	s_or_b64 s[2:3], vcc, s[2:3]
	s_waitcnt vmcnt(0) lgkmcnt(0)
	v_mul_f64 v[12:13], v[122:123], v[118:119]
	v_mul_f64 v[118:119], v[120:121], v[118:119]
	v_fma_f64 v[12:13], v[120:121], v[116:117], -v[12:13]
	v_fmac_f64_e32 v[118:119], v[122:123], v[116:117]
	v_add_f64 v[2:3], v[2:3], v[12:13]
	v_add_f64 v[4:5], v[4:5], v[118:119]
	s_andn2_b64 exec, exec, s[2:3]
	s_cbranch_execnz .LBB98_24
; %bb.25:
	s_or_b64 exec, exec, s[2:3]
.LBB98_26:
	s_or_b64 exec, exec, s[8:9]
	v_mov_b32_e32 v6, 0
	ds_read_b128 v[116:119], v6 offset:496
	s_waitcnt lgkmcnt(0)
	v_mul_f64 v[6:7], v[4:5], v[118:119]
	v_mul_f64 v[120:121], v[2:3], v[118:119]
	v_fma_f64 v[118:119], v[2:3], v[116:117], -v[6:7]
	v_fmac_f64_e32 v[120:121], v[4:5], v[116:117]
	scratch_store_dwordx4 off, v[118:121], off offset:496
.LBB98_27:
	s_or_b64 exec, exec, s[4:5]
	scratch_load_dwordx4 v[2:5], v86, off
	v_cmp_lt_u32_e64 s[2:3], 30, v0
	s_waitcnt vmcnt(0)
	ds_write_b128 v11, v[2:5]
	s_waitcnt lgkmcnt(0)
	; wave barrier
	s_waitcnt lgkmcnt(0)
	s_and_saveexec_b64 s[4:5], s[2:3]
	s_cbranch_execz .LBB98_35
; %bb.28:
	ds_read_b128 v[2:5], v11
	s_andn2_b64 vcc, exec, s[6:7]
	s_cbranch_vccnz .LBB98_30
; %bb.29:
	scratch_load_dwordx4 v[116:119], v10, off
	s_waitcnt vmcnt(0) lgkmcnt(0)
	v_mul_f64 v[12:13], v[2:3], v[118:119]
	v_mul_f64 v[6:7], v[4:5], v[118:119]
	v_fmac_f64_e32 v[12:13], v[4:5], v[116:117]
	v_fma_f64 v[2:3], v[2:3], v[116:117], -v[6:7]
	v_mov_b64_e32 v[4:5], v[12:13]
.LBB98_30:
	s_and_saveexec_b64 s[8:9], s[0:1]
	s_cbranch_execz .LBB98_34
; %bb.31:
	v_mov_b32_e32 v7, 0
	v_subrev_u32_e32 v6, 31, v0
	v_add_u32_e32 v7, 0x1f8, v7
	s_movk_i32 s10, 0x420
	s_mov_b64 s[0:1], 0
.LBB98_32:                              ; =>This Inner Loop Header: Depth=1
	v_add_u32_e32 v12, -8, v7
	scratch_load_dwordx4 v[116:119], v12, off
	v_mov_b32_e32 v12, s10
	ds_read_b128 v[120:123], v12
	v_add_u32_e32 v6, -1, v6
	s_add_i32 s10, s10, 16
	v_cmp_eq_u32_e32 vcc, 0, v6
	v_add_u32_e32 v7, 16, v7
	s_or_b64 s[0:1], vcc, s[0:1]
	s_waitcnt vmcnt(0) lgkmcnt(0)
	v_mul_f64 v[12:13], v[122:123], v[118:119]
	v_mul_f64 v[118:119], v[120:121], v[118:119]
	v_fma_f64 v[12:13], v[120:121], v[116:117], -v[12:13]
	v_fmac_f64_e32 v[118:119], v[122:123], v[116:117]
	v_add_f64 v[2:3], v[2:3], v[12:13]
	v_add_f64 v[4:5], v[4:5], v[118:119]
	s_andn2_b64 exec, exec, s[0:1]
	s_cbranch_execnz .LBB98_32
; %bb.33:
	s_or_b64 exec, exec, s[0:1]
.LBB98_34:
	s_or_b64 exec, exec, s[8:9]
	v_mov_b32_e32 v6, 0
	ds_read_b128 v[116:119], v6 offset:480
	s_waitcnt lgkmcnt(0)
	v_mul_f64 v[6:7], v[4:5], v[118:119]
	v_mul_f64 v[120:121], v[2:3], v[118:119]
	v_fma_f64 v[118:119], v[2:3], v[116:117], -v[6:7]
	v_fmac_f64_e32 v[120:121], v[4:5], v[116:117]
	scratch_store_dwordx4 off, v[118:121], off offset:480
.LBB98_35:
	;; [unrolled: 63-line block ×10, first 2 shown]
	s_or_b64 exec, exec, s[4:5]
	scratch_load_dwordx4 v[2:5], v94, off
	v_cmp_lt_u32_e64 s[0:1], 21, v0
	s_waitcnt vmcnt(0)
	ds_write_b128 v11, v[2:5]
	s_waitcnt lgkmcnt(0)
	; wave barrier
	s_waitcnt lgkmcnt(0)
	s_and_saveexec_b64 s[4:5], s[0:1]
	s_cbranch_execz .LBB98_107
; %bb.100:
	ds_read_b128 v[2:5], v11
	s_andn2_b64 vcc, exec, s[6:7]
	s_cbranch_vccnz .LBB98_102
; %bb.101:
	scratch_load_dwordx4 v[116:119], v10, off
	s_waitcnt vmcnt(0) lgkmcnt(0)
	v_mul_f64 v[12:13], v[2:3], v[118:119]
	v_mul_f64 v[6:7], v[4:5], v[118:119]
	v_fmac_f64_e32 v[12:13], v[4:5], v[116:117]
	v_fma_f64 v[2:3], v[2:3], v[116:117], -v[6:7]
	v_mov_b64_e32 v[4:5], v[12:13]
.LBB98_102:
	s_and_saveexec_b64 s[8:9], s[2:3]
	s_cbranch_execz .LBB98_106
; %bb.103:
	v_mov_b32_e32 v7, 0
	v_subrev_u32_e32 v6, 22, v0
	v_add_u32_e32 v7, 0x168, v7
	s_movk_i32 s10, 0x390
	s_mov_b64 s[2:3], 0
.LBB98_104:                             ; =>This Inner Loop Header: Depth=1
	v_add_u32_e32 v12, -8, v7
	scratch_load_dwordx4 v[116:119], v12, off
	v_mov_b32_e32 v12, s10
	ds_read_b128 v[120:123], v12
	v_add_u32_e32 v6, -1, v6
	s_add_i32 s10, s10, 16
	v_cmp_eq_u32_e32 vcc, 0, v6
	v_add_u32_e32 v7, 16, v7
	s_or_b64 s[2:3], vcc, s[2:3]
	s_waitcnt vmcnt(0) lgkmcnt(0)
	v_mul_f64 v[12:13], v[122:123], v[118:119]
	v_mul_f64 v[118:119], v[120:121], v[118:119]
	v_fma_f64 v[12:13], v[120:121], v[116:117], -v[12:13]
	v_fmac_f64_e32 v[118:119], v[122:123], v[116:117]
	v_add_f64 v[2:3], v[2:3], v[12:13]
	v_add_f64 v[4:5], v[4:5], v[118:119]
	s_andn2_b64 exec, exec, s[2:3]
	s_cbranch_execnz .LBB98_104
; %bb.105:
	s_or_b64 exec, exec, s[2:3]
.LBB98_106:
	s_or_b64 exec, exec, s[8:9]
	v_mov_b32_e32 v6, 0
	ds_read_b128 v[116:119], v6 offset:336
	s_waitcnt lgkmcnt(0)
	v_mul_f64 v[6:7], v[4:5], v[118:119]
	v_mul_f64 v[120:121], v[2:3], v[118:119]
	v_fma_f64 v[118:119], v[2:3], v[116:117], -v[6:7]
	v_fmac_f64_e32 v[120:121], v[4:5], v[116:117]
	scratch_store_dwordx4 off, v[118:121], off offset:336
.LBB98_107:
	s_or_b64 exec, exec, s[4:5]
	scratch_load_dwordx4 v[2:5], v97, off
	v_cmp_lt_u32_e64 s[2:3], 20, v0
	s_waitcnt vmcnt(0)
	ds_write_b128 v11, v[2:5]
	s_waitcnt lgkmcnt(0)
	; wave barrier
	s_waitcnt lgkmcnt(0)
	s_and_saveexec_b64 s[4:5], s[2:3]
	s_cbranch_execz .LBB98_115
; %bb.108:
	ds_read_b128 v[2:5], v11
	s_andn2_b64 vcc, exec, s[6:7]
	s_cbranch_vccnz .LBB98_110
; %bb.109:
	scratch_load_dwordx4 v[116:119], v10, off
	s_waitcnt vmcnt(0) lgkmcnt(0)
	v_mul_f64 v[12:13], v[2:3], v[118:119]
	v_mul_f64 v[6:7], v[4:5], v[118:119]
	v_fmac_f64_e32 v[12:13], v[4:5], v[116:117]
	v_fma_f64 v[2:3], v[2:3], v[116:117], -v[6:7]
	v_mov_b64_e32 v[4:5], v[12:13]
.LBB98_110:
	s_and_saveexec_b64 s[8:9], s[0:1]
	s_cbranch_execz .LBB98_114
; %bb.111:
	v_mov_b32_e32 v7, 0
	v_subrev_u32_e32 v6, 21, v0
	v_add_u32_e32 v7, 0x158, v7
	s_movk_i32 s10, 0x380
	s_mov_b64 s[0:1], 0
.LBB98_112:                             ; =>This Inner Loop Header: Depth=1
	v_add_u32_e32 v12, -8, v7
	scratch_load_dwordx4 v[116:119], v12, off
	v_mov_b32_e32 v12, s10
	ds_read_b128 v[120:123], v12
	v_add_u32_e32 v6, -1, v6
	s_add_i32 s10, s10, 16
	v_cmp_eq_u32_e32 vcc, 0, v6
	v_add_u32_e32 v7, 16, v7
	s_or_b64 s[0:1], vcc, s[0:1]
	s_waitcnt vmcnt(0) lgkmcnt(0)
	v_mul_f64 v[12:13], v[122:123], v[118:119]
	v_mul_f64 v[118:119], v[120:121], v[118:119]
	v_fma_f64 v[12:13], v[120:121], v[116:117], -v[12:13]
	v_fmac_f64_e32 v[118:119], v[122:123], v[116:117]
	v_add_f64 v[2:3], v[2:3], v[12:13]
	v_add_f64 v[4:5], v[4:5], v[118:119]
	s_andn2_b64 exec, exec, s[0:1]
	s_cbranch_execnz .LBB98_112
; %bb.113:
	s_or_b64 exec, exec, s[0:1]
.LBB98_114:
	s_or_b64 exec, exec, s[8:9]
	v_mov_b32_e32 v6, 0
	ds_read_b128 v[116:119], v6 offset:320
	s_waitcnt lgkmcnt(0)
	v_mul_f64 v[6:7], v[4:5], v[118:119]
	v_mul_f64 v[120:121], v[2:3], v[118:119]
	v_fma_f64 v[118:119], v[2:3], v[116:117], -v[6:7]
	v_fmac_f64_e32 v[120:121], v[4:5], v[116:117]
	scratch_store_dwordx4 off, v[118:121], off offset:320
.LBB98_115:
	;; [unrolled: 63-line block ×6, first 2 shown]
	s_or_b64 exec, exec, s[4:5]
	scratch_load_dwordx4 v[2:5], v101, off
	v_cmp_lt_u32_e64 s[0:1], 15, v0
	s_waitcnt vmcnt(0)
	ds_write_b128 v11, v[2:5]
	s_waitcnt lgkmcnt(0)
	; wave barrier
	s_waitcnt lgkmcnt(0)
	s_and_saveexec_b64 s[4:5], s[0:1]
	s_cbranch_execz .LBB98_155
; %bb.148:
	ds_read_b128 v[2:5], v11
	s_andn2_b64 vcc, exec, s[6:7]
	s_cbranch_vccnz .LBB98_150
; %bb.149:
	scratch_load_dwordx4 v[116:119], v10, off
	s_waitcnt vmcnt(0) lgkmcnt(0)
	v_mul_f64 v[12:13], v[2:3], v[118:119]
	v_mul_f64 v[6:7], v[4:5], v[118:119]
	v_fmac_f64_e32 v[12:13], v[4:5], v[116:117]
	v_fma_f64 v[2:3], v[2:3], v[116:117], -v[6:7]
	v_mov_b64_e32 v[4:5], v[12:13]
.LBB98_150:
	s_and_saveexec_b64 s[8:9], s[2:3]
	s_cbranch_execz .LBB98_154
; %bb.151:
	v_mov_b32_e32 v7, 0
	v_add_u32_e32 v6, -16, v0
	v_add_u32_e32 v7, 0x108, v7
	s_movk_i32 s10, 0x330
	s_mov_b64 s[2:3], 0
.LBB98_152:                             ; =>This Inner Loop Header: Depth=1
	v_add_u32_e32 v12, -8, v7
	scratch_load_dwordx4 v[116:119], v12, off
	v_mov_b32_e32 v12, s10
	ds_read_b128 v[120:123], v12
	v_add_u32_e32 v6, -1, v6
	s_add_i32 s10, s10, 16
	v_cmp_eq_u32_e32 vcc, 0, v6
	v_add_u32_e32 v7, 16, v7
	s_or_b64 s[2:3], vcc, s[2:3]
	s_waitcnt vmcnt(0) lgkmcnt(0)
	v_mul_f64 v[12:13], v[122:123], v[118:119]
	v_mul_f64 v[118:119], v[120:121], v[118:119]
	v_fma_f64 v[12:13], v[120:121], v[116:117], -v[12:13]
	v_fmac_f64_e32 v[118:119], v[122:123], v[116:117]
	v_add_f64 v[2:3], v[2:3], v[12:13]
	v_add_f64 v[4:5], v[4:5], v[118:119]
	s_andn2_b64 exec, exec, s[2:3]
	s_cbranch_execnz .LBB98_152
; %bb.153:
	s_or_b64 exec, exec, s[2:3]
.LBB98_154:
	s_or_b64 exec, exec, s[8:9]
	v_mov_b32_e32 v6, 0
	ds_read_b128 v[116:119], v6 offset:240
	s_waitcnt lgkmcnt(0)
	v_mul_f64 v[6:7], v[4:5], v[118:119]
	v_mul_f64 v[120:121], v[2:3], v[118:119]
	v_fma_f64 v[118:119], v[2:3], v[116:117], -v[6:7]
	v_fmac_f64_e32 v[120:121], v[4:5], v[116:117]
	scratch_store_dwordx4 off, v[118:121], off offset:240
.LBB98_155:
	s_or_b64 exec, exec, s[4:5]
	scratch_load_dwordx4 v[2:5], v102, off
	v_cmp_lt_u32_e64 s[2:3], 14, v0
	s_waitcnt vmcnt(0)
	ds_write_b128 v11, v[2:5]
	s_waitcnt lgkmcnt(0)
	; wave barrier
	s_waitcnt lgkmcnt(0)
	s_and_saveexec_b64 s[4:5], s[2:3]
	s_cbranch_execz .LBB98_163
; %bb.156:
	ds_read_b128 v[2:5], v11
	s_andn2_b64 vcc, exec, s[6:7]
	s_cbranch_vccnz .LBB98_158
; %bb.157:
	scratch_load_dwordx4 v[116:119], v10, off
	s_waitcnt vmcnt(0) lgkmcnt(0)
	v_mul_f64 v[12:13], v[2:3], v[118:119]
	v_mul_f64 v[6:7], v[4:5], v[118:119]
	v_fmac_f64_e32 v[12:13], v[4:5], v[116:117]
	v_fma_f64 v[2:3], v[2:3], v[116:117], -v[6:7]
	v_mov_b64_e32 v[4:5], v[12:13]
.LBB98_158:
	s_and_saveexec_b64 s[8:9], s[0:1]
	s_cbranch_execz .LBB98_162
; %bb.159:
	v_mov_b32_e32 v7, 0
	v_add_u32_e32 v6, -15, v0
	v_add_u32_e32 v7, 0xf8, v7
	s_movk_i32 s10, 0x320
	s_mov_b64 s[0:1], 0
.LBB98_160:                             ; =>This Inner Loop Header: Depth=1
	v_add_u32_e32 v12, -8, v7
	scratch_load_dwordx4 v[116:119], v12, off
	v_mov_b32_e32 v12, s10
	ds_read_b128 v[120:123], v12
	v_add_u32_e32 v6, -1, v6
	s_add_i32 s10, s10, 16
	v_cmp_eq_u32_e32 vcc, 0, v6
	v_add_u32_e32 v7, 16, v7
	s_or_b64 s[0:1], vcc, s[0:1]
	s_waitcnt vmcnt(0) lgkmcnt(0)
	v_mul_f64 v[12:13], v[122:123], v[118:119]
	v_mul_f64 v[118:119], v[120:121], v[118:119]
	v_fma_f64 v[12:13], v[120:121], v[116:117], -v[12:13]
	v_fmac_f64_e32 v[118:119], v[122:123], v[116:117]
	v_add_f64 v[2:3], v[2:3], v[12:13]
	v_add_f64 v[4:5], v[4:5], v[118:119]
	s_andn2_b64 exec, exec, s[0:1]
	s_cbranch_execnz .LBB98_160
; %bb.161:
	s_or_b64 exec, exec, s[0:1]
.LBB98_162:
	s_or_b64 exec, exec, s[8:9]
	v_mov_b32_e32 v6, 0
	ds_read_b128 v[116:119], v6 offset:224
	s_waitcnt lgkmcnt(0)
	v_mul_f64 v[6:7], v[4:5], v[118:119]
	v_mul_f64 v[120:121], v[2:3], v[118:119]
	v_fma_f64 v[118:119], v[2:3], v[116:117], -v[6:7]
	v_fmac_f64_e32 v[120:121], v[4:5], v[116:117]
	scratch_store_dwordx4 off, v[118:121], off offset:224
.LBB98_163:
	;; [unrolled: 63-line block ×15, first 2 shown]
	s_or_b64 exec, exec, s[4:5]
	scratch_load_dwordx4 v[2:5], off, off
	v_cmp_ne_u32_e32 vcc, 0, v0
	s_mov_b64 s[2:3], 0
	s_mov_b64 s[4:5], 0
                                        ; implicit-def: $vgpr6_vgpr7
                                        ; implicit-def: $vgpr12
	s_waitcnt vmcnt(0)
	ds_write_b128 v11, v[2:5]
	s_waitcnt lgkmcnt(0)
	; wave barrier
	s_waitcnt lgkmcnt(0)
	s_and_saveexec_b64 s[8:9], vcc
	s_cbranch_execz .LBB98_275
; %bb.268:
	ds_read_b128 v[2:5], v11
	s_andn2_b64 vcc, exec, s[6:7]
	s_cbranch_vccnz .LBB98_270
; %bb.269:
	scratch_load_dwordx4 v[116:119], v10, off
	s_waitcnt vmcnt(0) lgkmcnt(0)
	v_mul_f64 v[12:13], v[2:3], v[118:119]
	v_mul_f64 v[6:7], v[4:5], v[118:119]
	v_fmac_f64_e32 v[12:13], v[4:5], v[116:117]
	v_fma_f64 v[2:3], v[2:3], v[116:117], -v[6:7]
	v_mov_b64_e32 v[4:5], v[12:13]
.LBB98_270:
	s_and_saveexec_b64 s[4:5], s[0:1]
	s_cbranch_execz .LBB98_274
; %bb.271:
	v_mov_b32_e32 v7, 0
	v_add_u32_e32 v6, -1, v0
	v_add_u32_e32 v7, 24, v7
	s_movk_i32 s10, 0x240
	s_mov_b64 s[0:1], 0
.LBB98_272:                             ; =>This Inner Loop Header: Depth=1
	v_add_u32_e32 v12, -8, v7
	scratch_load_dwordx4 v[116:119], v12, off
	v_mov_b32_e32 v12, s10
	ds_read_b128 v[120:123], v12
	v_add_u32_e32 v6, -1, v6
	s_add_i32 s10, s10, 16
	v_cmp_eq_u32_e32 vcc, 0, v6
	v_add_u32_e32 v7, 16, v7
	s_or_b64 s[0:1], vcc, s[0:1]
	s_waitcnt vmcnt(0) lgkmcnt(0)
	v_mul_f64 v[12:13], v[122:123], v[118:119]
	v_mul_f64 v[118:119], v[120:121], v[118:119]
	v_fma_f64 v[12:13], v[120:121], v[116:117], -v[12:13]
	v_fmac_f64_e32 v[118:119], v[122:123], v[116:117]
	v_add_f64 v[2:3], v[2:3], v[12:13]
	v_add_f64 v[4:5], v[4:5], v[118:119]
	s_andn2_b64 exec, exec, s[0:1]
	s_cbranch_execnz .LBB98_272
; %bb.273:
	s_or_b64 exec, exec, s[0:1]
.LBB98_274:
	s_or_b64 exec, exec, s[4:5]
	v_mov_b32_e32 v6, 0
	ds_read_b128 v[116:119], v6
	v_mov_b32_e32 v6, 0
	v_or_b32_e32 v12, 8, v6
	s_mov_b64 s[4:5], exec
	s_waitcnt lgkmcnt(0)
	v_mul_f64 v[120:121], v[4:5], v[118:119]
	v_mul_f64 v[6:7], v[2:3], v[118:119]
	v_fma_f64 v[2:3], v[2:3], v[116:117], -v[120:121]
	v_fmac_f64_e32 v[6:7], v[4:5], v[116:117]
	scratch_store_dwordx2 off, v[2:3], off
.LBB98_275:
	s_or_b64 exec, exec, s[8:9]
	s_and_b64 vcc, exec, s[2:3]
	s_cbranch_vccnz .LBB98_277
	s_branch .LBB98_544
.LBB98_276:
	s_mov_b64 s[4:5], 0
                                        ; implicit-def: $vgpr6_vgpr7
                                        ; implicit-def: $vgpr12
	s_cbranch_execz .LBB98_544
.LBB98_277:
	scratch_load_dwordx4 v[2:5], v113, off
	v_cndmask_b32_e64 v6, 0, 1, s[6:7]
	v_cmp_eq_u32_e64 s[2:3], 0, v0
	v_cmp_ne_u32_e64 s[0:1], 1, v6
	s_waitcnt vmcnt(0)
	ds_write_b128 v11, v[2:5]
	s_waitcnt lgkmcnt(0)
	; wave barrier
	s_waitcnt lgkmcnt(0)
	s_and_saveexec_b64 s[6:7], s[2:3]
	s_cbranch_execz .LBB98_281
; %bb.278:
	ds_read_b128 v[2:5], v11
	s_and_b64 vcc, exec, s[0:1]
	s_cbranch_vccnz .LBB98_280
; %bb.279:
	scratch_load_dwordx4 v[116:119], v10, off
	s_waitcnt vmcnt(0) lgkmcnt(0)
	v_mul_f64 v[12:13], v[2:3], v[118:119]
	v_mul_f64 v[6:7], v[4:5], v[118:119]
	v_fmac_f64_e32 v[12:13], v[4:5], v[116:117]
	v_fma_f64 v[2:3], v[2:3], v[116:117], -v[6:7]
	v_mov_b64_e32 v[4:5], v[12:13]
.LBB98_280:
	v_mov_b32_e32 v6, 0
	ds_read_b128 v[116:119], v6 offset:16
	s_waitcnt lgkmcnt(0)
	v_mul_f64 v[6:7], v[4:5], v[118:119]
	v_mul_f64 v[120:121], v[2:3], v[118:119]
	v_fma_f64 v[118:119], v[2:3], v[116:117], -v[6:7]
	v_fmac_f64_e32 v[120:121], v[4:5], v[116:117]
	scratch_store_dwordx4 off, v[118:121], off offset:16
.LBB98_281:
	s_or_b64 exec, exec, s[6:7]
	scratch_load_dwordx4 v[2:5], v111, off
	v_cmp_gt_u32_e32 vcc, 2, v0
	s_waitcnt vmcnt(0)
	ds_write_b128 v11, v[2:5]
	s_waitcnt lgkmcnt(0)
	; wave barrier
	s_waitcnt lgkmcnt(0)
	s_and_saveexec_b64 s[6:7], vcc
	s_cbranch_execz .LBB98_287
; %bb.282:
	ds_read_b128 v[2:5], v11
	s_and_b64 vcc, exec, s[0:1]
	s_cbranch_vccnz .LBB98_284
; %bb.283:
	scratch_load_dwordx4 v[116:119], v10, off
	s_waitcnt vmcnt(0) lgkmcnt(0)
	v_mul_f64 v[12:13], v[2:3], v[118:119]
	v_mul_f64 v[6:7], v[4:5], v[118:119]
	v_fmac_f64_e32 v[12:13], v[4:5], v[116:117]
	v_fma_f64 v[2:3], v[2:3], v[116:117], -v[6:7]
	v_mov_b64_e32 v[4:5], v[12:13]
.LBB98_284:
	s_and_saveexec_b64 s[8:9], s[2:3]
	s_cbranch_execz .LBB98_286
; %bb.285:
	scratch_load_dwordx4 v[116:119], v10, off offset:16
	ds_read_b128 v[120:123], v11 offset:16
	s_waitcnt vmcnt(0) lgkmcnt(0)
	v_mul_f64 v[6:7], v[122:123], v[118:119]
	v_mul_f64 v[12:13], v[120:121], v[118:119]
	v_fma_f64 v[6:7], v[120:121], v[116:117], -v[6:7]
	v_fmac_f64_e32 v[12:13], v[122:123], v[116:117]
	v_add_f64 v[2:3], v[2:3], v[6:7]
	v_add_f64 v[4:5], v[4:5], v[12:13]
.LBB98_286:
	s_or_b64 exec, exec, s[8:9]
	v_mov_b32_e32 v6, 0
	ds_read_b128 v[116:119], v6 offset:32
	s_waitcnt lgkmcnt(0)
	v_mul_f64 v[6:7], v[4:5], v[118:119]
	v_mul_f64 v[120:121], v[2:3], v[118:119]
	v_fma_f64 v[118:119], v[2:3], v[116:117], -v[6:7]
	v_fmac_f64_e32 v[120:121], v[4:5], v[116:117]
	scratch_store_dwordx4 off, v[118:121], off offset:32
.LBB98_287:
	s_or_b64 exec, exec, s[6:7]
	scratch_load_dwordx4 v[2:5], v114, off
	v_cmp_gt_u32_e32 vcc, 3, v0
	s_waitcnt vmcnt(0)
	ds_write_b128 v11, v[2:5]
	s_waitcnt lgkmcnt(0)
	; wave barrier
	s_waitcnt lgkmcnt(0)
	s_and_saveexec_b64 s[6:7], vcc
	s_cbranch_execz .LBB98_295
; %bb.288:
	ds_read_b128 v[2:5], v11
	s_and_b64 vcc, exec, s[0:1]
	s_cbranch_vccnz .LBB98_290
; %bb.289:
	scratch_load_dwordx4 v[116:119], v10, off
	s_waitcnt vmcnt(0) lgkmcnt(0)
	v_mul_f64 v[12:13], v[2:3], v[118:119]
	v_mul_f64 v[6:7], v[4:5], v[118:119]
	v_fmac_f64_e32 v[12:13], v[4:5], v[116:117]
	v_fma_f64 v[2:3], v[2:3], v[116:117], -v[6:7]
	v_mov_b64_e32 v[4:5], v[12:13]
.LBB98_290:
	v_cmp_ne_u32_e32 vcc, 2, v0
	s_and_saveexec_b64 s[8:9], vcc
	s_cbranch_execz .LBB98_294
; %bb.291:
	scratch_load_dwordx4 v[116:119], v10, off offset:16
	ds_read_b128 v[120:123], v11 offset:16
	s_waitcnt vmcnt(0) lgkmcnt(0)
	v_mul_f64 v[6:7], v[122:123], v[118:119]
	v_mul_f64 v[12:13], v[120:121], v[118:119]
	v_fma_f64 v[6:7], v[120:121], v[116:117], -v[6:7]
	v_fmac_f64_e32 v[12:13], v[122:123], v[116:117]
	v_add_f64 v[2:3], v[2:3], v[6:7]
	v_add_f64 v[4:5], v[4:5], v[12:13]
	s_and_saveexec_b64 s[10:11], s[2:3]
	s_cbranch_execz .LBB98_293
; %bb.292:
	scratch_load_dwordx4 v[116:119], off, off offset:32
	v_mov_b32_e32 v6, 0
	ds_read_b128 v[120:123], v6 offset:592
	s_waitcnt vmcnt(0) lgkmcnt(0)
	v_mul_f64 v[6:7], v[120:121], v[118:119]
	v_mul_f64 v[12:13], v[122:123], v[118:119]
	v_fmac_f64_e32 v[6:7], v[122:123], v[116:117]
	v_fma_f64 v[12:13], v[120:121], v[116:117], -v[12:13]
	v_add_f64 v[4:5], v[4:5], v[6:7]
	v_add_f64 v[2:3], v[2:3], v[12:13]
.LBB98_293:
	s_or_b64 exec, exec, s[10:11]
.LBB98_294:
	s_or_b64 exec, exec, s[8:9]
	v_mov_b32_e32 v6, 0
	ds_read_b128 v[116:119], v6 offset:48
	s_waitcnt lgkmcnt(0)
	v_mul_f64 v[6:7], v[4:5], v[118:119]
	v_mul_f64 v[120:121], v[2:3], v[118:119]
	v_fma_f64 v[118:119], v[2:3], v[116:117], -v[6:7]
	v_fmac_f64_e32 v[120:121], v[4:5], v[116:117]
	scratch_store_dwordx4 off, v[118:121], off offset:48
.LBB98_295:
	s_or_b64 exec, exec, s[6:7]
	scratch_load_dwordx4 v[2:5], v112, off
	v_cmp_gt_u32_e32 vcc, 4, v0
	s_waitcnt vmcnt(0)
	ds_write_b128 v11, v[2:5]
	s_waitcnt lgkmcnt(0)
	; wave barrier
	s_waitcnt lgkmcnt(0)
	s_and_saveexec_b64 s[2:3], vcc
	s_cbranch_execz .LBB98_303
; %bb.296:
	ds_read_b128 v[2:5], v11
	s_and_b64 vcc, exec, s[0:1]
	s_cbranch_vccnz .LBB98_298
; %bb.297:
	scratch_load_dwordx4 v[116:119], v10, off
	s_waitcnt vmcnt(0) lgkmcnt(0)
	v_mul_f64 v[12:13], v[2:3], v[118:119]
	v_mul_f64 v[6:7], v[4:5], v[118:119]
	v_fmac_f64_e32 v[12:13], v[4:5], v[116:117]
	v_fma_f64 v[2:3], v[2:3], v[116:117], -v[6:7]
	v_mov_b64_e32 v[4:5], v[12:13]
.LBB98_298:
	v_cmp_ne_u32_e32 vcc, 3, v0
	s_and_saveexec_b64 s[6:7], vcc
	s_cbranch_execz .LBB98_302
; %bb.299:
	v_mov_b32_e32 v7, 0
	v_add_u32_e32 v6, 0x240, v62
	v_add3_u32 v7, v62, v7, 24
	s_mov_b64 s[8:9], 0
	v_mov_b32_e32 v12, v0
.LBB98_300:                             ; =>This Inner Loop Header: Depth=1
	v_add_u32_e32 v13, -8, v7
	scratch_load_dwordx4 v[116:119], v13, off
	ds_read_b128 v[120:123], v6
	v_add_u32_e32 v12, 1, v12
	v_cmp_lt_u32_e32 vcc, 2, v12
	v_add_u32_e32 v6, 16, v6
	v_add_u32_e32 v7, 16, v7
	s_or_b64 s[8:9], vcc, s[8:9]
	s_waitcnt vmcnt(0) lgkmcnt(0)
	v_mul_f64 v[124:125], v[122:123], v[118:119]
	v_mul_f64 v[118:119], v[120:121], v[118:119]
	v_fma_f64 v[120:121], v[120:121], v[116:117], -v[124:125]
	v_fmac_f64_e32 v[118:119], v[122:123], v[116:117]
	v_add_f64 v[2:3], v[2:3], v[120:121]
	v_add_f64 v[4:5], v[4:5], v[118:119]
	s_andn2_b64 exec, exec, s[8:9]
	s_cbranch_execnz .LBB98_300
; %bb.301:
	s_or_b64 exec, exec, s[8:9]
.LBB98_302:
	s_or_b64 exec, exec, s[6:7]
	v_mov_b32_e32 v6, 0
	ds_read_b128 v[116:119], v6 offset:64
	s_waitcnt lgkmcnt(0)
	v_mul_f64 v[6:7], v[4:5], v[118:119]
	v_mul_f64 v[120:121], v[2:3], v[118:119]
	v_fma_f64 v[118:119], v[2:3], v[116:117], -v[6:7]
	v_fmac_f64_e32 v[120:121], v[4:5], v[116:117]
	scratch_store_dwordx4 off, v[118:121], off offset:64
.LBB98_303:
	s_or_b64 exec, exec, s[2:3]
	scratch_load_dwordx4 v[2:5], v115, off
	v_cmp_gt_u32_e32 vcc, 5, v0
	s_waitcnt vmcnt(0)
	ds_write_b128 v11, v[2:5]
	s_waitcnt lgkmcnt(0)
	; wave barrier
	s_waitcnt lgkmcnt(0)
	s_and_saveexec_b64 s[2:3], vcc
	s_cbranch_execz .LBB98_311
; %bb.304:
	ds_read_b128 v[2:5], v11
	s_and_b64 vcc, exec, s[0:1]
	s_cbranch_vccnz .LBB98_306
; %bb.305:
	scratch_load_dwordx4 v[116:119], v10, off
	s_waitcnt vmcnt(0) lgkmcnt(0)
	v_mul_f64 v[12:13], v[2:3], v[118:119]
	v_mul_f64 v[6:7], v[4:5], v[118:119]
	v_fmac_f64_e32 v[12:13], v[4:5], v[116:117]
	v_fma_f64 v[2:3], v[2:3], v[116:117], -v[6:7]
	v_mov_b64_e32 v[4:5], v[12:13]
.LBB98_306:
	v_cmp_ne_u32_e32 vcc, 4, v0
	s_and_saveexec_b64 s[6:7], vcc
	s_cbranch_execz .LBB98_310
; %bb.307:
	v_mov_b32_e32 v7, 0
	v_add_u32_e32 v6, 0x240, v62
	v_add3_u32 v7, v62, v7, 24
	s_mov_b64 s[8:9], 0
	v_mov_b32_e32 v12, v0
.LBB98_308:                             ; =>This Inner Loop Header: Depth=1
	v_add_u32_e32 v13, -8, v7
	scratch_load_dwordx4 v[116:119], v13, off
	ds_read_b128 v[120:123], v6
	v_add_u32_e32 v12, 1, v12
	v_cmp_lt_u32_e32 vcc, 3, v12
	v_add_u32_e32 v6, 16, v6
	v_add_u32_e32 v7, 16, v7
	s_or_b64 s[8:9], vcc, s[8:9]
	s_waitcnt vmcnt(0) lgkmcnt(0)
	v_mul_f64 v[124:125], v[122:123], v[118:119]
	v_mul_f64 v[118:119], v[120:121], v[118:119]
	v_fma_f64 v[120:121], v[120:121], v[116:117], -v[124:125]
	v_fmac_f64_e32 v[118:119], v[122:123], v[116:117]
	v_add_f64 v[2:3], v[2:3], v[120:121]
	v_add_f64 v[4:5], v[4:5], v[118:119]
	s_andn2_b64 exec, exec, s[8:9]
	s_cbranch_execnz .LBB98_308
; %bb.309:
	s_or_b64 exec, exec, s[8:9]
.LBB98_310:
	s_or_b64 exec, exec, s[6:7]
	v_mov_b32_e32 v6, 0
	ds_read_b128 v[116:119], v6 offset:80
	s_waitcnt lgkmcnt(0)
	v_mul_f64 v[6:7], v[4:5], v[118:119]
	v_mul_f64 v[120:121], v[2:3], v[118:119]
	v_fma_f64 v[118:119], v[2:3], v[116:117], -v[6:7]
	v_fmac_f64_e32 v[120:121], v[4:5], v[116:117]
	scratch_store_dwordx4 off, v[118:121], off offset:80
.LBB98_311:
	;; [unrolled: 63-line block ×29, first 2 shown]
	s_or_b64 exec, exec, s[2:3]
	scratch_load_dwordx4 v[2:5], v1, off
	v_cmp_gt_u32_e64 s[2:3], 33, v0
	s_waitcnt vmcnt(0)
	ds_write_b128 v11, v[2:5]
	s_waitcnt lgkmcnt(0)
	; wave barrier
	s_waitcnt lgkmcnt(0)
	s_and_saveexec_b64 s[6:7], s[2:3]
	s_cbranch_execz .LBB98_535
; %bb.528:
	ds_read_b128 v[2:5], v11
	s_and_b64 vcc, exec, s[0:1]
	s_cbranch_vccnz .LBB98_530
; %bb.529:
	scratch_load_dwordx4 v[116:119], v10, off
	s_waitcnt vmcnt(0) lgkmcnt(0)
	v_mul_f64 v[12:13], v[2:3], v[118:119]
	v_mul_f64 v[6:7], v[4:5], v[118:119]
	v_fmac_f64_e32 v[12:13], v[4:5], v[116:117]
	v_fma_f64 v[2:3], v[2:3], v[116:117], -v[6:7]
	v_mov_b64_e32 v[4:5], v[12:13]
.LBB98_530:
	v_cmp_ne_u32_e32 vcc, 32, v0
	s_and_saveexec_b64 s[8:9], vcc
	s_cbranch_execz .LBB98_534
; %bb.531:
	v_mov_b32_e32 v7, 0
	v_add_u32_e32 v6, 0x240, v62
	v_add3_u32 v7, v62, v7, 24
	s_mov_b64 s[10:11], 0
	v_mov_b32_e32 v12, v0
.LBB98_532:                             ; =>This Inner Loop Header: Depth=1
	v_add_u32_e32 v13, -8, v7
	scratch_load_dwordx4 v[116:119], v13, off
	ds_read_b128 v[120:123], v6
	v_add_u32_e32 v12, 1, v12
	v_cmp_lt_u32_e32 vcc, 31, v12
	v_add_u32_e32 v6, 16, v6
	v_add_u32_e32 v7, 16, v7
	s_or_b64 s[10:11], vcc, s[10:11]
	s_waitcnt vmcnt(0) lgkmcnt(0)
	v_mul_f64 v[124:125], v[122:123], v[118:119]
	v_mul_f64 v[118:119], v[120:121], v[118:119]
	v_fma_f64 v[120:121], v[120:121], v[116:117], -v[124:125]
	v_fmac_f64_e32 v[118:119], v[122:123], v[116:117]
	v_add_f64 v[2:3], v[2:3], v[120:121]
	v_add_f64 v[4:5], v[4:5], v[118:119]
	s_andn2_b64 exec, exec, s[10:11]
	s_cbranch_execnz .LBB98_532
; %bb.533:
	s_or_b64 exec, exec, s[10:11]
.LBB98_534:
	s_or_b64 exec, exec, s[8:9]
	v_mov_b32_e32 v6, 0
	ds_read_b128 v[116:119], v6 offset:528
	s_waitcnt lgkmcnt(0)
	v_mul_f64 v[6:7], v[4:5], v[118:119]
	v_mul_f64 v[120:121], v[2:3], v[118:119]
	v_fma_f64 v[118:119], v[2:3], v[116:117], -v[6:7]
	v_fmac_f64_e32 v[120:121], v[4:5], v[116:117]
	scratch_store_dwordx4 off, v[118:121], off offset:528
.LBB98_535:
	s_or_b64 exec, exec, s[6:7]
	scratch_load_dwordx4 v[2:5], v8, off
	v_cmp_ne_u32_e32 vcc, 34, v0
                                        ; implicit-def: $vgpr6_vgpr7
                                        ; implicit-def: $vgpr12
	s_waitcnt vmcnt(0)
	ds_write_b128 v11, v[2:5]
	s_waitcnt lgkmcnt(0)
	; wave barrier
	s_waitcnt lgkmcnt(0)
	s_and_saveexec_b64 s[6:7], vcc
	s_cbranch_execz .LBB98_543
; %bb.536:
	ds_read_b128 v[2:5], v11
	s_and_b64 vcc, exec, s[0:1]
	s_cbranch_vccnz .LBB98_538
; %bb.537:
	scratch_load_dwordx4 v[10:13], v10, off
	s_waitcnt vmcnt(0) lgkmcnt(0)
	v_mul_f64 v[6:7], v[4:5], v[12:13]
	v_mul_f64 v[12:13], v[2:3], v[12:13]
	v_fmac_f64_e32 v[12:13], v[4:5], v[10:11]
	v_fma_f64 v[2:3], v[2:3], v[10:11], -v[6:7]
	v_mov_b64_e32 v[4:5], v[12:13]
.LBB98_538:
	s_and_saveexec_b64 s[0:1], s[2:3]
	s_cbranch_execz .LBB98_542
; %bb.539:
	v_mov_b32_e32 v7, 0
	v_add_u32_e32 v6, 0x240, v62
	v_add3_u32 v7, v62, v7, 24
	s_mov_b64 s[2:3], 0
.LBB98_540:                             ; =>This Inner Loop Header: Depth=1
	v_add_u32_e32 v10, -8, v7
	scratch_load_dwordx4 v[10:13], v10, off
	ds_read_b128 v[116:119], v6
	v_add_u32_e32 v0, 1, v0
	v_cmp_lt_u32_e32 vcc, 32, v0
	v_add_u32_e32 v6, 16, v6
	v_add_u32_e32 v7, 16, v7
	s_or_b64 s[2:3], vcc, s[2:3]
	s_waitcnt vmcnt(0) lgkmcnt(0)
	v_mul_f64 v[120:121], v[118:119], v[12:13]
	v_mul_f64 v[12:13], v[116:117], v[12:13]
	v_fma_f64 v[116:117], v[116:117], v[10:11], -v[120:121]
	v_fmac_f64_e32 v[12:13], v[118:119], v[10:11]
	v_add_f64 v[2:3], v[2:3], v[116:117]
	v_add_f64 v[4:5], v[4:5], v[12:13]
	s_andn2_b64 exec, exec, s[2:3]
	s_cbranch_execnz .LBB98_540
; %bb.541:
	s_or_b64 exec, exec, s[2:3]
.LBB98_542:
	s_or_b64 exec, exec, s[0:1]
	v_mov_b32_e32 v0, 0
	ds_read_b128 v[116:119], v0 offset:544
	v_mov_b32_e32 v0, 0
	v_add_u32_e32 v12, 0x228, v0
	s_or_b64 s[4:5], s[4:5], exec
	s_waitcnt lgkmcnt(0)
	v_mul_f64 v[10:11], v[4:5], v[118:119]
	v_mul_f64 v[6:7], v[2:3], v[118:119]
	v_fma_f64 v[2:3], v[2:3], v[116:117], -v[10:11]
	v_fmac_f64_e32 v[6:7], v[4:5], v[116:117]
	scratch_store_dwordx2 off, v[2:3], off offset:544
.LBB98_543:
	s_or_b64 exec, exec, s[6:7]
.LBB98_544:
	s_and_saveexec_b64 s[0:1], s[4:5]
	s_cbranch_execz .LBB98_546
; %bb.545:
	scratch_store_dwordx2 v12, v[6:7], off
.LBB98_546:
	s_or_b64 exec, exec, s[0:1]
	scratch_load_dwordx4 v[2:5], off, off
	scratch_load_dwordx4 v[10:13], v113, off
	scratch_load_dwordx4 v[116:119], v111, off
	;; [unrolled: 1-line block ×5, first 2 shown]
	s_waitcnt vmcnt(5)
	global_store_dwordx4 v[16:17], v[2:5], off
	scratch_load_dwordx4 v[2:5], v110, off
	s_nop 0
	scratch_load_dwordx4 v[112:115], v109, off
	s_waitcnt vmcnt(7)
	global_store_dwordx4 v[14:15], v[10:13], off
	scratch_load_dwordx4 v[10:13], v108, off
	s_nop 0
	scratch_load_dwordx4 v[14:17], v107, off
	s_waitcnt vmcnt(9)
	global_store_dwordx4 v[18:19], v[116:119], off
	scratch_load_dwordx4 v[108:111], v106, off
	s_nop 0
	scratch_load_dwordx4 v[116:119], v105, off
	s_waitcnt vmcnt(11)
	global_store_dwordx4 v[20:21], v[120:123], off
	scratch_load_dwordx4 v[18:21], v103, off
	s_nop 0
	scratch_load_dwordx4 v[120:123], v104, off
	s_nop 0
	scratch_load_dwordx4 v[102:105], v102, off
	s_waitcnt vmcnt(14)
	global_store_dwordx4 v[22:23], v[124:127], off
	s_waitcnt vmcnt(14)
	global_store_dwordx4 v[24:25], v[128:131], off
	scratch_load_dwordx4 v[22:25], v101, off
	s_nop 0
	scratch_load_dwordx4 v[124:127], v100, off
	s_waitcnt vmcnt(15)
	global_store_dwordx4 v[26:27], v[2:5], off
	scratch_load_dwordx4 v[2:5], v98, off
	s_nop 0
	scratch_load_dwordx4 v[128:131], v99, off
	;; [unrolled: 5-line block ×10, first 2 shown]
	s_waitcnt vmcnt(28)
	global_store_dwordx4 v[44:45], v[22:25], off
	s_waitcnt vmcnt(28)
	global_store_dwordx4 v[46:47], v[124:127], off
	;; [unrolled: 2-line block ×20, first 2 shown]
.LBB98_547:
	s_endpgm
	.section	.rodata,"a",@progbits
	.p2align	6, 0x0
	.amdhsa_kernel _ZN9rocsolver6v33100L18trti2_kernel_smallILi35E19rocblas_complex_numIdEPKPS3_EEv13rocblas_fill_17rocblas_diagonal_T1_iil
		.amdhsa_group_segment_fixed_size 1120
		.amdhsa_private_segment_fixed_size 576
		.amdhsa_kernarg_size 32
		.amdhsa_user_sgpr_count 2
		.amdhsa_user_sgpr_dispatch_ptr 0
		.amdhsa_user_sgpr_queue_ptr 0
		.amdhsa_user_sgpr_kernarg_segment_ptr 1
		.amdhsa_user_sgpr_dispatch_id 0
		.amdhsa_user_sgpr_kernarg_preload_length 0
		.amdhsa_user_sgpr_kernarg_preload_offset 0
		.amdhsa_user_sgpr_private_segment_size 0
		.amdhsa_uses_dynamic_stack 0
		.amdhsa_enable_private_segment 1
		.amdhsa_system_sgpr_workgroup_id_x 1
		.amdhsa_system_sgpr_workgroup_id_y 0
		.amdhsa_system_sgpr_workgroup_id_z 0
		.amdhsa_system_sgpr_workgroup_info 0
		.amdhsa_system_vgpr_workitem_id 0
		.amdhsa_next_free_vgpr 136
		.amdhsa_next_free_sgpr 12
		.amdhsa_accum_offset 136
		.amdhsa_reserve_vcc 1
		.amdhsa_float_round_mode_32 0
		.amdhsa_float_round_mode_16_64 0
		.amdhsa_float_denorm_mode_32 3
		.amdhsa_float_denorm_mode_16_64 3
		.amdhsa_dx10_clamp 1
		.amdhsa_ieee_mode 1
		.amdhsa_fp16_overflow 0
		.amdhsa_tg_split 0
		.amdhsa_exception_fp_ieee_invalid_op 0
		.amdhsa_exception_fp_denorm_src 0
		.amdhsa_exception_fp_ieee_div_zero 0
		.amdhsa_exception_fp_ieee_overflow 0
		.amdhsa_exception_fp_ieee_underflow 0
		.amdhsa_exception_fp_ieee_inexact 0
		.amdhsa_exception_int_div_zero 0
	.end_amdhsa_kernel
	.section	.text._ZN9rocsolver6v33100L18trti2_kernel_smallILi35E19rocblas_complex_numIdEPKPS3_EEv13rocblas_fill_17rocblas_diagonal_T1_iil,"axG",@progbits,_ZN9rocsolver6v33100L18trti2_kernel_smallILi35E19rocblas_complex_numIdEPKPS3_EEv13rocblas_fill_17rocblas_diagonal_T1_iil,comdat
.Lfunc_end98:
	.size	_ZN9rocsolver6v33100L18trti2_kernel_smallILi35E19rocblas_complex_numIdEPKPS3_EEv13rocblas_fill_17rocblas_diagonal_T1_iil, .Lfunc_end98-_ZN9rocsolver6v33100L18trti2_kernel_smallILi35E19rocblas_complex_numIdEPKPS3_EEv13rocblas_fill_17rocblas_diagonal_T1_iil
                                        ; -- End function
	.section	.AMDGPU.csdata,"",@progbits
; Kernel info:
; codeLenInByte = 23000
; NumSgprs: 18
; NumVgprs: 136
; NumAgprs: 0
; TotalNumVgprs: 136
; ScratchSize: 576
; MemoryBound: 0
; FloatMode: 240
; IeeeMode: 1
; LDSByteSize: 1120 bytes/workgroup (compile time only)
; SGPRBlocks: 2
; VGPRBlocks: 16
; NumSGPRsForWavesPerEU: 18
; NumVGPRsForWavesPerEU: 136
; AccumOffset: 136
; Occupancy: 3
; WaveLimiterHint : 1
; COMPUTE_PGM_RSRC2:SCRATCH_EN: 1
; COMPUTE_PGM_RSRC2:USER_SGPR: 2
; COMPUTE_PGM_RSRC2:TRAP_HANDLER: 0
; COMPUTE_PGM_RSRC2:TGID_X_EN: 1
; COMPUTE_PGM_RSRC2:TGID_Y_EN: 0
; COMPUTE_PGM_RSRC2:TGID_Z_EN: 0
; COMPUTE_PGM_RSRC2:TIDIG_COMP_CNT: 0
; COMPUTE_PGM_RSRC3_GFX90A:ACCUM_OFFSET: 33
; COMPUTE_PGM_RSRC3_GFX90A:TG_SPLIT: 0
	.section	.text._ZN9rocsolver6v33100L18trti2_kernel_smallILi36E19rocblas_complex_numIdEPKPS3_EEv13rocblas_fill_17rocblas_diagonal_T1_iil,"axG",@progbits,_ZN9rocsolver6v33100L18trti2_kernel_smallILi36E19rocblas_complex_numIdEPKPS3_EEv13rocblas_fill_17rocblas_diagonal_T1_iil,comdat
	.globl	_ZN9rocsolver6v33100L18trti2_kernel_smallILi36E19rocblas_complex_numIdEPKPS3_EEv13rocblas_fill_17rocblas_diagonal_T1_iil ; -- Begin function _ZN9rocsolver6v33100L18trti2_kernel_smallILi36E19rocblas_complex_numIdEPKPS3_EEv13rocblas_fill_17rocblas_diagonal_T1_iil
	.p2align	8
	.type	_ZN9rocsolver6v33100L18trti2_kernel_smallILi36E19rocblas_complex_numIdEPKPS3_EEv13rocblas_fill_17rocblas_diagonal_T1_iil,@function
_ZN9rocsolver6v33100L18trti2_kernel_smallILi36E19rocblas_complex_numIdEPKPS3_EEv13rocblas_fill_17rocblas_diagonal_T1_iil: ; @_ZN9rocsolver6v33100L18trti2_kernel_smallILi36E19rocblas_complex_numIdEPKPS3_EEv13rocblas_fill_17rocblas_diagonal_T1_iil
; %bb.0:
	v_cmp_gt_u32_e32 vcc, 36, v0
	s_and_saveexec_b64 s[4:5], vcc
	s_cbranch_execz .LBB99_563
; %bb.1:
	s_load_dwordx2 s[8:9], s[0:1], 0x10
	s_load_dwordx4 s[4:7], s[0:1], 0x0
	s_ashr_i32 s3, s2, 31
	s_lshl_b64 s[2:3], s[2:3], 3
	v_lshlrev_b32_e32 v86, 4, v0
	s_waitcnt lgkmcnt(0)
	s_ashr_i32 s1, s8, 31
	s_add_u32 s2, s6, s2
	s_addc_u32 s3, s7, s3
	s_load_dwordx2 s[2:3], s[2:3], 0x0
	s_mov_b32 s0, s8
	s_lshl_b64 s[0:1], s[0:1], 4
	v_mov_b32_e32 v87, 0
	v_mov_b32_e32 v1, 0
	s_waitcnt lgkmcnt(0)
	s_add_u32 s0, s2, s0
	s_addc_u32 s1, s3, s1
	s_add_i32 s2, s9, s9
	v_add_u32_e32 v6, s2, v0
	v_add_u32_e32 v14, s9, v6
	;; [unrolled: 1-line block ×12, first 2 shown]
	s_mov_b32 s2, s9
	s_ashr_i32 s3, s9, 31
	v_lshl_add_u64 v[40:41], s[0:1], 0, v[86:87]
	v_ashrrev_i32_e32 v15, 31, v14
	v_ashrrev_i32_e32 v17, 31, v16
	v_ashrrev_i32_e32 v19, 31, v18
	v_ashrrev_i32_e32 v21, 31, v20
	v_ashrrev_i32_e32 v23, 31, v22
	v_ashrrev_i32_e32 v33, 31, v32
	v_ashrrev_i32_e32 v35, 31, v34
	v_ashrrev_i32_e32 v39, 31, v38
	v_ashrrev_i32_e32 v43, 31, v42
	v_ashrrev_i32_e32 v93, 31, v92
	v_ashrrev_i32_e32 v7, 31, v6
	v_lshl_add_u64 v[36:37], s[2:3], 4, v[40:41]
	v_lshl_add_u64 v[30:31], v[14:15], 4, s[0:1]
	;; [unrolled: 1-line block ×10, first 2 shown]
	v_ashrrev_i32_e32 v45, 31, v44
	v_lshl_add_u64 v[38:39], v[92:93], 4, s[0:1]
	global_load_dwordx4 v[2:5], v86, s[0:1]
	v_lshl_add_u64 v[24:25], v[6:7], 4, s[0:1]
	global_load_dwordx4 v[6:9], v[36:37], off
	global_load_dwordx4 v[10:13], v[24:25], off
	;; [unrolled: 1-line block ×10, first 2 shown]
	v_lshl_add_u64 v[34:35], v[44:45], 4, s[0:1]
	global_load_dwordx4 v[78:81], v[32:33], off
	global_load_dwordx4 v[82:85], v[34:35], off
	;; [unrolled: 1-line block ×3, first 2 shown]
	v_add_u32_e32 v42, s9, v92
	v_add_u32_e32 v96, s9, v42
	;; [unrolled: 1-line block ×22, first 2 shown]
	v_ashrrev_i32_e32 v45, 31, v44
	v_ashrrev_i32_e32 v43, 31, v42
	v_lshl_add_u64 v[44:45], v[44:45], 4, s[0:1]
	global_load_dwordx4 v[92:95], v[44:45], off
	v_ashrrev_i32_e32 v97, 31, v96
	v_ashrrev_i32_e32 v101, 31, v100
	;; [unrolled: 1-line block ×10, first 2 shown]
	v_lshl_add_u64 v[42:43], v[42:43], 4, s[0:1]
	v_ashrrev_i32_e32 v99, 31, v98
	v_ashrrev_i32_e32 v103, 31, v102
	;; [unrolled: 1-line block ×6, first 2 shown]
	s_waitcnt vmcnt(14)
	scratch_store_dwordx4 off, v[2:5], off
	s_waitcnt vmcnt(14)
	scratch_store_dwordx4 off, v[6:9], off offset:16
	s_waitcnt vmcnt(14)
	scratch_store_dwordx4 off, v[10:13], off offset:32
	;; [unrolled: 2-line block ×13, first 2 shown]
	v_lshl_add_u64 v[46:47], v[96:97], 4, s[0:1]
	v_lshl_add_u64 v[50:51], v[100:101], 4, s[0:1]
	;; [unrolled: 1-line block ×7, first 2 shown]
	v_ashrrev_i32_e32 v135, 31, v134
	v_lshl_add_u64 v[74:75], v[140:141], 4, s[0:1]
	v_ashrrev_i32_e32 v143, 31, v142
	v_lshl_add_u64 v[78:79], v[148:149], 4, s[0:1]
	;; [unrolled: 2-line block ×3, first 2 shown]
	v_ashrrev_i32_e32 v159, 31, v158
	global_load_dwordx4 v[2:5], v[42:43], off
	v_lshl_add_u64 v[48:49], v[98:99], 4, s[0:1]
	global_load_dwordx4 v[6:9], v[46:47], off
	global_load_dwordx4 v[10:13], v[48:49], off
	v_lshl_add_u64 v[52:53], v[102:103], 4, s[0:1]
	global_load_dwordx4 v[88:91], v[50:51], off
	;; [unrolled: 3-line block ×10, first 2 shown]
	global_load_dwordx4 v[160:163], v[84:85], off
	s_cmpk_lg_i32 s5, 0x84
	s_cselect_b64 s[6:7], -1, 0
	s_cmpk_eq_i32 s5, 0x84
	s_waitcnt vmcnt(20)
	scratch_store_dwordx4 off, v[2:5], off offset:224
	s_waitcnt vmcnt(20)
	scratch_store_dwordx4 off, v[6:9], off offset:240
	;; [unrolled: 2-line block ×21, first 2 shown]
	scratch_store_dwordx4 off, v[92:95], off offset:560
	s_cbranch_scc1 .LBB99_7
; %bb.2:
	scratch_load_dwordx4 v[6:9], v86, off
                                        ; implicit-def: $vgpr10_vgpr11
	s_waitcnt vmcnt(0)
	v_xor_b32_e32 v3, 0x80000000, v7
	v_cmp_gt_f64_e32 vcc, 0, v[6:7]
	v_xor_b32_e32 v4, 0x80000000, v9
	v_mov_b32_e32 v2, v6
	v_cndmask_b32_e32 v3, v7, v3, vcc
	v_cmp_gt_f64_e32 vcc, 0, v[8:9]
	s_nop 1
	v_cndmask_b32_e32 v5, v9, v4, vcc
	v_mov_b32_e32 v4, v8
	v_cmp_ngt_f64_e32 vcc, v[2:3], v[4:5]
                                        ; implicit-def: $vgpr2_vgpr3
	s_and_saveexec_b64 s[0:1], vcc
	s_xor_b64 s[0:1], exec, s[0:1]
	s_cbranch_execz .LBB99_4
; %bb.3:
	v_div_scale_f64 v[2:3], s[2:3], v[8:9], v[8:9], v[6:7]
	v_rcp_f64_e32 v[4:5], v[2:3]
	v_div_scale_f64 v[10:11], vcc, v[6:7], v[8:9], v[6:7]
	v_fma_f64 v[12:13], -v[2:3], v[4:5], 1.0
	v_fmac_f64_e32 v[4:5], v[4:5], v[12:13]
	v_fma_f64 v[12:13], -v[2:3], v[4:5], 1.0
	v_fmac_f64_e32 v[4:5], v[4:5], v[12:13]
	v_mul_f64 v[12:13], v[10:11], v[4:5]
	v_fma_f64 v[2:3], -v[2:3], v[12:13], v[10:11]
	v_div_fmas_f64 v[2:3], v[2:3], v[4:5], v[12:13]
	v_div_fixup_f64 v[2:3], v[2:3], v[8:9], v[6:7]
	v_fmac_f64_e32 v[8:9], v[6:7], v[2:3]
	v_div_scale_f64 v[4:5], s[2:3], v[8:9], v[8:9], 1.0
	v_rcp_f64_e32 v[6:7], v[4:5]
	s_nop 0
	v_fma_f64 v[10:11], -v[4:5], v[6:7], 1.0
	v_fmac_f64_e32 v[6:7], v[6:7], v[10:11]
	v_fma_f64 v[10:11], -v[4:5], v[6:7], 1.0
	v_fmac_f64_e32 v[6:7], v[6:7], v[10:11]
	v_div_scale_f64 v[10:11], vcc, 1.0, v[8:9], 1.0
	v_mul_f64 v[12:13], v[10:11], v[6:7]
	v_fma_f64 v[4:5], -v[4:5], v[12:13], v[10:11]
	s_nop 1
	v_div_fmas_f64 v[4:5], v[4:5], v[6:7], v[12:13]
	v_div_fixup_f64 v[4:5], v[4:5], v[8:9], 1.0
	v_mul_f64 v[2:3], v[2:3], v[4:5]
	v_xor_b32_e32 v5, 0x80000000, v5
	v_xor_b32_e32 v11, 0x80000000, v3
	v_mov_b32_e32 v10, v2
                                        ; implicit-def: $vgpr6_vgpr7
.LBB99_4:
	s_or_saveexec_b64 s[0:1], s[0:1]
	v_add_u32_e32 v12, 0, v86
	s_xor_b64 exec, exec, s[0:1]
	s_cbranch_execz .LBB99_6
; %bb.5:
	v_div_scale_f64 v[2:3], s[2:3], v[6:7], v[6:7], v[8:9]
	v_rcp_f64_e32 v[4:5], v[2:3]
	v_div_scale_f64 v[10:11], vcc, v[8:9], v[6:7], v[8:9]
	v_fma_f64 v[88:89], -v[2:3], v[4:5], 1.0
	v_fmac_f64_e32 v[4:5], v[4:5], v[88:89]
	v_fma_f64 v[88:89], -v[2:3], v[4:5], 1.0
	v_fmac_f64_e32 v[4:5], v[4:5], v[88:89]
	v_mul_f64 v[88:89], v[10:11], v[4:5]
	v_fma_f64 v[2:3], -v[2:3], v[88:89], v[10:11]
	v_div_fmas_f64 v[2:3], v[2:3], v[4:5], v[88:89]
	v_div_fixup_f64 v[4:5], v[2:3], v[6:7], v[8:9]
	v_fmac_f64_e32 v[6:7], v[8:9], v[4:5]
	v_div_scale_f64 v[2:3], s[2:3], v[6:7], v[6:7], 1.0
	v_rcp_f64_e32 v[8:9], v[2:3]
	s_nop 0
	v_fma_f64 v[10:11], -v[2:3], v[8:9], 1.0
	v_fmac_f64_e32 v[8:9], v[8:9], v[10:11]
	v_fma_f64 v[10:11], -v[2:3], v[8:9], 1.0
	v_fmac_f64_e32 v[8:9], v[8:9], v[10:11]
	v_div_scale_f64 v[10:11], vcc, 1.0, v[6:7], 1.0
	v_mul_f64 v[88:89], v[10:11], v[8:9]
	v_fma_f64 v[2:3], -v[2:3], v[88:89], v[10:11]
	s_nop 1
	v_div_fmas_f64 v[2:3], v[2:3], v[8:9], v[88:89]
	v_div_fixup_f64 v[2:3], v[2:3], v[6:7], 1.0
	v_xor_b32_e32 v11, 0x80000000, v3
	v_mov_b32_e32 v10, v2
	v_mul_f64 v[4:5], v[4:5], -v[2:3]
.LBB99_6:
	s_or_b64 exec, exec, s[0:1]
	scratch_store_dwordx4 v12, v[2:5], off
	s_nop 1
	v_xor_b32_e32 v5, 0x80000000, v5
	s_branch .LBB99_8
.LBB99_7:
	v_mov_b64_e32 v[4:5], 0
	v_mov_b64_e32 v[10:11], -1.0
.LBB99_8:
	v_mov_b32_e32 v12, v4
	v_mov_b32_e32 v13, v5
	v_add_u32_e32 v114, 16, v1
	v_add_u32_e32 v117, 32, v1
	;; [unrolled: 1-line block ×35, first 2 shown]
	ds_write_b128 v86, v[10:13]
	s_cmpk_eq_i32 s4, 0x79
	v_add_u32_e32 v11, 0x240, v86
	v_add_u32_e32 v10, 0, v86
	s_cbranch_scc1 .LBB99_284
; %bb.9:
	scratch_load_dwordx4 v[2:5], v8, off
	v_cmp_eq_u32_e64 s[0:1], 35, v0
	s_waitcnt vmcnt(0)
	ds_write_b128 v11, v[2:5]
	s_waitcnt lgkmcnt(0)
	; wave barrier
	s_waitcnt lgkmcnt(0)
	s_and_saveexec_b64 s[2:3], s[0:1]
	s_cbranch_execz .LBB99_13
; %bb.10:
	ds_read_b128 v[2:5], v11
	s_andn2_b64 vcc, exec, s[6:7]
	s_cbranch_vccnz .LBB99_12
; %bb.11:
	scratch_load_dwordx4 v[120:123], v10, off
	s_waitcnt vmcnt(0) lgkmcnt(0)
	v_mul_f64 v[12:13], v[2:3], v[122:123]
	v_mul_f64 v[6:7], v[4:5], v[122:123]
	v_fmac_f64_e32 v[12:13], v[4:5], v[120:121]
	v_fma_f64 v[2:3], v[2:3], v[120:121], -v[6:7]
	v_mov_b64_e32 v[4:5], v[12:13]
.LBB99_12:
	v_mov_b32_e32 v6, 0
	ds_read_b128 v[120:123], v6 offset:544
	s_waitcnt lgkmcnt(0)
	v_mul_f64 v[6:7], v[4:5], v[122:123]
	v_mul_f64 v[124:125], v[2:3], v[122:123]
	v_fma_f64 v[122:123], v[2:3], v[120:121], -v[6:7]
	v_fmac_f64_e32 v[124:125], v[4:5], v[120:121]
	scratch_store_dwordx4 off, v[122:125], off offset:544
.LBB99_13:
	s_or_b64 exec, exec, s[2:3]
	scratch_load_dwordx4 v[2:5], v9, off
	v_cmp_lt_u32_e64 s[2:3], 33, v0
	s_waitcnt vmcnt(0)
	ds_write_b128 v11, v[2:5]
	s_waitcnt lgkmcnt(0)
	; wave barrier
	s_waitcnt lgkmcnt(0)
	s_and_saveexec_b64 s[4:5], s[2:3]
	s_cbranch_execz .LBB99_19
; %bb.14:
	ds_read_b128 v[2:5], v11
	s_andn2_b64 vcc, exec, s[6:7]
	s_cbranch_vccnz .LBB99_16
; %bb.15:
	scratch_load_dwordx4 v[120:123], v10, off
	s_waitcnt vmcnt(0) lgkmcnt(0)
	v_mul_f64 v[12:13], v[2:3], v[122:123]
	v_mul_f64 v[6:7], v[4:5], v[122:123]
	v_fmac_f64_e32 v[12:13], v[4:5], v[120:121]
	v_fma_f64 v[2:3], v[2:3], v[120:121], -v[6:7]
	v_mov_b64_e32 v[4:5], v[12:13]
.LBB99_16:
	s_and_saveexec_b64 s[8:9], s[0:1]
	s_cbranch_execz .LBB99_18
; %bb.17:
	scratch_load_dwordx4 v[120:123], off, off offset:544
	v_mov_b32_e32 v6, 0
	ds_read_b128 v[124:127], v6 offset:1120
	s_waitcnt vmcnt(0) lgkmcnt(0)
	v_mul_f64 v[6:7], v[124:125], v[122:123]
	v_mul_f64 v[12:13], v[126:127], v[122:123]
	v_fmac_f64_e32 v[6:7], v[126:127], v[120:121]
	v_fma_f64 v[12:13], v[124:125], v[120:121], -v[12:13]
	v_add_f64 v[4:5], v[4:5], v[6:7]
	v_add_f64 v[2:3], v[2:3], v[12:13]
.LBB99_18:
	s_or_b64 exec, exec, s[8:9]
	v_mov_b32_e32 v6, 0
	ds_read_b128 v[120:123], v6 offset:528
	s_waitcnt lgkmcnt(0)
	v_mul_f64 v[6:7], v[4:5], v[122:123]
	v_mul_f64 v[124:125], v[2:3], v[122:123]
	v_fma_f64 v[122:123], v[2:3], v[120:121], -v[6:7]
	v_fmac_f64_e32 v[124:125], v[4:5], v[120:121]
	scratch_store_dwordx4 off, v[122:125], off offset:528
.LBB99_19:
	s_or_b64 exec, exec, s[4:5]
	scratch_load_dwordx4 v[2:5], v87, off
	v_cmp_lt_u32_e64 s[0:1], 32, v0
	s_waitcnt vmcnt(0)
	ds_write_b128 v11, v[2:5]
	s_waitcnt lgkmcnt(0)
	; wave barrier
	s_waitcnt lgkmcnt(0)
	s_and_saveexec_b64 s[4:5], s[0:1]
	s_cbranch_execz .LBB99_27
; %bb.20:
	ds_read_b128 v[2:5], v11
	s_andn2_b64 vcc, exec, s[6:7]
	s_cbranch_vccnz .LBB99_22
; %bb.21:
	scratch_load_dwordx4 v[120:123], v10, off
	s_waitcnt vmcnt(0) lgkmcnt(0)
	v_mul_f64 v[12:13], v[2:3], v[122:123]
	v_mul_f64 v[6:7], v[4:5], v[122:123]
	v_fmac_f64_e32 v[12:13], v[4:5], v[120:121]
	v_fma_f64 v[2:3], v[2:3], v[120:121], -v[6:7]
	v_mov_b64_e32 v[4:5], v[12:13]
.LBB99_22:
	s_and_saveexec_b64 s[8:9], s[2:3]
	s_cbranch_execz .LBB99_26
; %bb.23:
	v_mov_b32_e32 v7, 0
	v_subrev_u32_e32 v6, 33, v0
	v_add_u32_e32 v7, 0x218, v7
	s_movk_i32 s10, 0x450
	s_mov_b64 s[2:3], 0
.LBB99_24:                              ; =>This Inner Loop Header: Depth=1
	v_add_u32_e32 v12, -8, v7
	scratch_load_dwordx4 v[120:123], v12, off
	v_mov_b32_e32 v12, s10
	ds_read_b128 v[124:127], v12
	v_add_u32_e32 v6, -1, v6
	s_add_i32 s10, s10, 16
	v_cmp_eq_u32_e32 vcc, 0, v6
	v_add_u32_e32 v7, 16, v7
	s_or_b64 s[2:3], vcc, s[2:3]
	s_waitcnt vmcnt(0) lgkmcnt(0)
	v_mul_f64 v[12:13], v[126:127], v[122:123]
	v_mul_f64 v[122:123], v[124:125], v[122:123]
	v_fma_f64 v[12:13], v[124:125], v[120:121], -v[12:13]
	v_fmac_f64_e32 v[122:123], v[126:127], v[120:121]
	v_add_f64 v[2:3], v[2:3], v[12:13]
	v_add_f64 v[4:5], v[4:5], v[122:123]
	s_andn2_b64 exec, exec, s[2:3]
	s_cbranch_execnz .LBB99_24
; %bb.25:
	s_or_b64 exec, exec, s[2:3]
.LBB99_26:
	s_or_b64 exec, exec, s[8:9]
	v_mov_b32_e32 v6, 0
	ds_read_b128 v[120:123], v6 offset:512
	s_waitcnt lgkmcnt(0)
	v_mul_f64 v[6:7], v[4:5], v[122:123]
	v_mul_f64 v[124:125], v[2:3], v[122:123]
	v_fma_f64 v[122:123], v[2:3], v[120:121], -v[6:7]
	v_fmac_f64_e32 v[124:125], v[4:5], v[120:121]
	scratch_store_dwordx4 off, v[122:125], off offset:512
.LBB99_27:
	s_or_b64 exec, exec, s[4:5]
	scratch_load_dwordx4 v[2:5], v88, off
	v_cmp_lt_u32_e64 s[2:3], 31, v0
	s_waitcnt vmcnt(0)
	ds_write_b128 v11, v[2:5]
	s_waitcnt lgkmcnt(0)
	; wave barrier
	s_waitcnt lgkmcnt(0)
	s_and_saveexec_b64 s[4:5], s[2:3]
	s_cbranch_execz .LBB99_35
; %bb.28:
	ds_read_b128 v[2:5], v11
	s_andn2_b64 vcc, exec, s[6:7]
	s_cbranch_vccnz .LBB99_30
; %bb.29:
	scratch_load_dwordx4 v[120:123], v10, off
	s_waitcnt vmcnt(0) lgkmcnt(0)
	v_mul_f64 v[12:13], v[2:3], v[122:123]
	v_mul_f64 v[6:7], v[4:5], v[122:123]
	v_fmac_f64_e32 v[12:13], v[4:5], v[120:121]
	v_fma_f64 v[2:3], v[2:3], v[120:121], -v[6:7]
	v_mov_b64_e32 v[4:5], v[12:13]
.LBB99_30:
	s_and_saveexec_b64 s[8:9], s[0:1]
	s_cbranch_execz .LBB99_34
; %bb.31:
	v_mov_b32_e32 v7, 0
	v_subrev_u32_e32 v6, 32, v0
	v_add_u32_e32 v7, 0x208, v7
	s_movk_i32 s10, 0x440
	s_mov_b64 s[0:1], 0
.LBB99_32:                              ; =>This Inner Loop Header: Depth=1
	v_add_u32_e32 v12, -8, v7
	scratch_load_dwordx4 v[120:123], v12, off
	v_mov_b32_e32 v12, s10
	ds_read_b128 v[124:127], v12
	v_add_u32_e32 v6, -1, v6
	s_add_i32 s10, s10, 16
	v_cmp_eq_u32_e32 vcc, 0, v6
	v_add_u32_e32 v7, 16, v7
	s_or_b64 s[0:1], vcc, s[0:1]
	s_waitcnt vmcnt(0) lgkmcnt(0)
	v_mul_f64 v[12:13], v[126:127], v[122:123]
	v_mul_f64 v[122:123], v[124:125], v[122:123]
	v_fma_f64 v[12:13], v[124:125], v[120:121], -v[12:13]
	v_fmac_f64_e32 v[122:123], v[126:127], v[120:121]
	v_add_f64 v[2:3], v[2:3], v[12:13]
	v_add_f64 v[4:5], v[4:5], v[122:123]
	s_andn2_b64 exec, exec, s[0:1]
	s_cbranch_execnz .LBB99_32
; %bb.33:
	s_or_b64 exec, exec, s[0:1]
.LBB99_34:
	s_or_b64 exec, exec, s[8:9]
	v_mov_b32_e32 v6, 0
	ds_read_b128 v[120:123], v6 offset:496
	s_waitcnt lgkmcnt(0)
	v_mul_f64 v[6:7], v[4:5], v[122:123]
	v_mul_f64 v[124:125], v[2:3], v[122:123]
	v_fma_f64 v[122:123], v[2:3], v[120:121], -v[6:7]
	v_fmac_f64_e32 v[124:125], v[4:5], v[120:121]
	scratch_store_dwordx4 off, v[122:125], off offset:496
.LBB99_35:
	;; [unrolled: 63-line block ×10, first 2 shown]
	s_or_b64 exec, exec, s[4:5]
	scratch_load_dwordx4 v[2:5], v97, off
	v_cmp_lt_u32_e64 s[0:1], 22, v0
	s_waitcnt vmcnt(0)
	ds_write_b128 v11, v[2:5]
	s_waitcnt lgkmcnt(0)
	; wave barrier
	s_waitcnt lgkmcnt(0)
	s_and_saveexec_b64 s[4:5], s[0:1]
	s_cbranch_execz .LBB99_107
; %bb.100:
	ds_read_b128 v[2:5], v11
	s_andn2_b64 vcc, exec, s[6:7]
	s_cbranch_vccnz .LBB99_102
; %bb.101:
	scratch_load_dwordx4 v[120:123], v10, off
	s_waitcnt vmcnt(0) lgkmcnt(0)
	v_mul_f64 v[12:13], v[2:3], v[122:123]
	v_mul_f64 v[6:7], v[4:5], v[122:123]
	v_fmac_f64_e32 v[12:13], v[4:5], v[120:121]
	v_fma_f64 v[2:3], v[2:3], v[120:121], -v[6:7]
	v_mov_b64_e32 v[4:5], v[12:13]
.LBB99_102:
	s_and_saveexec_b64 s[8:9], s[2:3]
	s_cbranch_execz .LBB99_106
; %bb.103:
	v_mov_b32_e32 v7, 0
	v_subrev_u32_e32 v6, 23, v0
	v_add_u32_e32 v7, 0x178, v7
	s_movk_i32 s10, 0x3b0
	s_mov_b64 s[2:3], 0
.LBB99_104:                             ; =>This Inner Loop Header: Depth=1
	v_add_u32_e32 v12, -8, v7
	scratch_load_dwordx4 v[120:123], v12, off
	v_mov_b32_e32 v12, s10
	ds_read_b128 v[124:127], v12
	v_add_u32_e32 v6, -1, v6
	s_add_i32 s10, s10, 16
	v_cmp_eq_u32_e32 vcc, 0, v6
	v_add_u32_e32 v7, 16, v7
	s_or_b64 s[2:3], vcc, s[2:3]
	s_waitcnt vmcnt(0) lgkmcnt(0)
	v_mul_f64 v[12:13], v[126:127], v[122:123]
	v_mul_f64 v[122:123], v[124:125], v[122:123]
	v_fma_f64 v[12:13], v[124:125], v[120:121], -v[12:13]
	v_fmac_f64_e32 v[122:123], v[126:127], v[120:121]
	v_add_f64 v[2:3], v[2:3], v[12:13]
	v_add_f64 v[4:5], v[4:5], v[122:123]
	s_andn2_b64 exec, exec, s[2:3]
	s_cbranch_execnz .LBB99_104
; %bb.105:
	s_or_b64 exec, exec, s[2:3]
.LBB99_106:
	s_or_b64 exec, exec, s[8:9]
	v_mov_b32_e32 v6, 0
	ds_read_b128 v[120:123], v6 offset:352
	s_waitcnt lgkmcnt(0)
	v_mul_f64 v[6:7], v[4:5], v[122:123]
	v_mul_f64 v[124:125], v[2:3], v[122:123]
	v_fma_f64 v[122:123], v[2:3], v[120:121], -v[6:7]
	v_fmac_f64_e32 v[124:125], v[4:5], v[120:121]
	scratch_store_dwordx4 off, v[122:125], off offset:352
.LBB99_107:
	s_or_b64 exec, exec, s[4:5]
	scratch_load_dwordx4 v[2:5], v98, off
	v_cmp_lt_u32_e64 s[2:3], 21, v0
	s_waitcnt vmcnt(0)
	ds_write_b128 v11, v[2:5]
	s_waitcnt lgkmcnt(0)
	; wave barrier
	s_waitcnt lgkmcnt(0)
	s_and_saveexec_b64 s[4:5], s[2:3]
	s_cbranch_execz .LBB99_115
; %bb.108:
	ds_read_b128 v[2:5], v11
	s_andn2_b64 vcc, exec, s[6:7]
	s_cbranch_vccnz .LBB99_110
; %bb.109:
	scratch_load_dwordx4 v[120:123], v10, off
	s_waitcnt vmcnt(0) lgkmcnt(0)
	v_mul_f64 v[12:13], v[2:3], v[122:123]
	v_mul_f64 v[6:7], v[4:5], v[122:123]
	v_fmac_f64_e32 v[12:13], v[4:5], v[120:121]
	v_fma_f64 v[2:3], v[2:3], v[120:121], -v[6:7]
	v_mov_b64_e32 v[4:5], v[12:13]
.LBB99_110:
	s_and_saveexec_b64 s[8:9], s[0:1]
	s_cbranch_execz .LBB99_114
; %bb.111:
	v_mov_b32_e32 v7, 0
	v_subrev_u32_e32 v6, 22, v0
	v_add_u32_e32 v7, 0x168, v7
	s_movk_i32 s10, 0x3a0
	s_mov_b64 s[0:1], 0
.LBB99_112:                             ; =>This Inner Loop Header: Depth=1
	v_add_u32_e32 v12, -8, v7
	scratch_load_dwordx4 v[120:123], v12, off
	v_mov_b32_e32 v12, s10
	ds_read_b128 v[124:127], v12
	v_add_u32_e32 v6, -1, v6
	s_add_i32 s10, s10, 16
	v_cmp_eq_u32_e32 vcc, 0, v6
	v_add_u32_e32 v7, 16, v7
	s_or_b64 s[0:1], vcc, s[0:1]
	s_waitcnt vmcnt(0) lgkmcnt(0)
	v_mul_f64 v[12:13], v[126:127], v[122:123]
	v_mul_f64 v[122:123], v[124:125], v[122:123]
	v_fma_f64 v[12:13], v[124:125], v[120:121], -v[12:13]
	v_fmac_f64_e32 v[122:123], v[126:127], v[120:121]
	v_add_f64 v[2:3], v[2:3], v[12:13]
	v_add_f64 v[4:5], v[4:5], v[122:123]
	s_andn2_b64 exec, exec, s[0:1]
	s_cbranch_execnz .LBB99_112
; %bb.113:
	s_or_b64 exec, exec, s[0:1]
.LBB99_114:
	s_or_b64 exec, exec, s[8:9]
	v_mov_b32_e32 v6, 0
	ds_read_b128 v[120:123], v6 offset:336
	s_waitcnt lgkmcnt(0)
	v_mul_f64 v[6:7], v[4:5], v[122:123]
	v_mul_f64 v[124:125], v[2:3], v[122:123]
	v_fma_f64 v[122:123], v[2:3], v[120:121], -v[6:7]
	v_fmac_f64_e32 v[124:125], v[4:5], v[120:121]
	scratch_store_dwordx4 off, v[122:125], off offset:336
.LBB99_115:
	;; [unrolled: 63-line block ×7, first 2 shown]
	s_or_b64 exec, exec, s[4:5]
	scratch_load_dwordx4 v[2:5], v104, off
	v_cmp_lt_u32_e64 s[2:3], 15, v0
	s_waitcnt vmcnt(0)
	ds_write_b128 v11, v[2:5]
	s_waitcnt lgkmcnt(0)
	; wave barrier
	s_waitcnt lgkmcnt(0)
	s_and_saveexec_b64 s[4:5], s[2:3]
	s_cbranch_execz .LBB99_163
; %bb.156:
	ds_read_b128 v[2:5], v11
	s_andn2_b64 vcc, exec, s[6:7]
	s_cbranch_vccnz .LBB99_158
; %bb.157:
	scratch_load_dwordx4 v[120:123], v10, off
	s_waitcnt vmcnt(0) lgkmcnt(0)
	v_mul_f64 v[12:13], v[2:3], v[122:123]
	v_mul_f64 v[6:7], v[4:5], v[122:123]
	v_fmac_f64_e32 v[12:13], v[4:5], v[120:121]
	v_fma_f64 v[2:3], v[2:3], v[120:121], -v[6:7]
	v_mov_b64_e32 v[4:5], v[12:13]
.LBB99_158:
	s_and_saveexec_b64 s[8:9], s[0:1]
	s_cbranch_execz .LBB99_162
; %bb.159:
	v_mov_b32_e32 v7, 0
	v_add_u32_e32 v6, -16, v0
	v_add_u32_e32 v7, 0x108, v7
	s_movk_i32 s10, 0x340
	s_mov_b64 s[0:1], 0
.LBB99_160:                             ; =>This Inner Loop Header: Depth=1
	v_add_u32_e32 v12, -8, v7
	scratch_load_dwordx4 v[120:123], v12, off
	v_mov_b32_e32 v12, s10
	ds_read_b128 v[124:127], v12
	v_add_u32_e32 v6, -1, v6
	s_add_i32 s10, s10, 16
	v_cmp_eq_u32_e32 vcc, 0, v6
	v_add_u32_e32 v7, 16, v7
	s_or_b64 s[0:1], vcc, s[0:1]
	s_waitcnt vmcnt(0) lgkmcnt(0)
	v_mul_f64 v[12:13], v[126:127], v[122:123]
	v_mul_f64 v[122:123], v[124:125], v[122:123]
	v_fma_f64 v[12:13], v[124:125], v[120:121], -v[12:13]
	v_fmac_f64_e32 v[122:123], v[126:127], v[120:121]
	v_add_f64 v[2:3], v[2:3], v[12:13]
	v_add_f64 v[4:5], v[4:5], v[122:123]
	s_andn2_b64 exec, exec, s[0:1]
	s_cbranch_execnz .LBB99_160
; %bb.161:
	s_or_b64 exec, exec, s[0:1]
.LBB99_162:
	s_or_b64 exec, exec, s[8:9]
	v_mov_b32_e32 v6, 0
	ds_read_b128 v[120:123], v6 offset:240
	s_waitcnt lgkmcnt(0)
	v_mul_f64 v[6:7], v[4:5], v[122:123]
	v_mul_f64 v[124:125], v[2:3], v[122:123]
	v_fma_f64 v[122:123], v[2:3], v[120:121], -v[6:7]
	v_fmac_f64_e32 v[124:125], v[4:5], v[120:121]
	scratch_store_dwordx4 off, v[122:125], off offset:240
.LBB99_163:
	s_or_b64 exec, exec, s[4:5]
	scratch_load_dwordx4 v[2:5], v105, off
	v_cmp_lt_u32_e64 s[0:1], 14, v0
	s_waitcnt vmcnt(0)
	ds_write_b128 v11, v[2:5]
	s_waitcnt lgkmcnt(0)
	; wave barrier
	s_waitcnt lgkmcnt(0)
	s_and_saveexec_b64 s[4:5], s[0:1]
	s_cbranch_execz .LBB99_171
; %bb.164:
	ds_read_b128 v[2:5], v11
	s_andn2_b64 vcc, exec, s[6:7]
	s_cbranch_vccnz .LBB99_166
; %bb.165:
	scratch_load_dwordx4 v[120:123], v10, off
	s_waitcnt vmcnt(0) lgkmcnt(0)
	v_mul_f64 v[12:13], v[2:3], v[122:123]
	v_mul_f64 v[6:7], v[4:5], v[122:123]
	v_fmac_f64_e32 v[12:13], v[4:5], v[120:121]
	v_fma_f64 v[2:3], v[2:3], v[120:121], -v[6:7]
	v_mov_b64_e32 v[4:5], v[12:13]
.LBB99_166:
	s_and_saveexec_b64 s[8:9], s[2:3]
	s_cbranch_execz .LBB99_170
; %bb.167:
	v_mov_b32_e32 v7, 0
	v_add_u32_e32 v6, -15, v0
	v_add_u32_e32 v7, 0xf8, v7
	s_movk_i32 s10, 0x330
	s_mov_b64 s[2:3], 0
.LBB99_168:                             ; =>This Inner Loop Header: Depth=1
	v_add_u32_e32 v12, -8, v7
	scratch_load_dwordx4 v[120:123], v12, off
	v_mov_b32_e32 v12, s10
	ds_read_b128 v[124:127], v12
	v_add_u32_e32 v6, -1, v6
	s_add_i32 s10, s10, 16
	v_cmp_eq_u32_e32 vcc, 0, v6
	v_add_u32_e32 v7, 16, v7
	s_or_b64 s[2:3], vcc, s[2:3]
	s_waitcnt vmcnt(0) lgkmcnt(0)
	v_mul_f64 v[12:13], v[126:127], v[122:123]
	v_mul_f64 v[122:123], v[124:125], v[122:123]
	v_fma_f64 v[12:13], v[124:125], v[120:121], -v[12:13]
	v_fmac_f64_e32 v[122:123], v[126:127], v[120:121]
	v_add_f64 v[2:3], v[2:3], v[12:13]
	v_add_f64 v[4:5], v[4:5], v[122:123]
	s_andn2_b64 exec, exec, s[2:3]
	s_cbranch_execnz .LBB99_168
; %bb.169:
	s_or_b64 exec, exec, s[2:3]
.LBB99_170:
	s_or_b64 exec, exec, s[8:9]
	v_mov_b32_e32 v6, 0
	ds_read_b128 v[120:123], v6 offset:224
	s_waitcnt lgkmcnt(0)
	v_mul_f64 v[6:7], v[4:5], v[122:123]
	v_mul_f64 v[124:125], v[2:3], v[122:123]
	v_fma_f64 v[122:123], v[2:3], v[120:121], -v[6:7]
	v_fmac_f64_e32 v[124:125], v[4:5], v[120:121]
	scratch_store_dwordx4 off, v[122:125], off offset:224
.LBB99_171:
	;; [unrolled: 63-line block ×15, first 2 shown]
	s_or_b64 exec, exec, s[2:3]
	scratch_load_dwordx4 v[2:5], off, off
	v_cmp_ne_u32_e32 vcc, 0, v0
	s_mov_b64 s[2:3], 0
	s_mov_b64 s[4:5], 0
                                        ; implicit-def: $vgpr6_vgpr7
                                        ; implicit-def: $vgpr12
	s_waitcnt vmcnt(0)
	ds_write_b128 v11, v[2:5]
	s_waitcnt lgkmcnt(0)
	; wave barrier
	s_waitcnt lgkmcnt(0)
	s_and_saveexec_b64 s[8:9], vcc
	s_cbranch_execz .LBB99_283
; %bb.276:
	ds_read_b128 v[2:5], v11
	s_andn2_b64 vcc, exec, s[6:7]
	s_cbranch_vccnz .LBB99_278
; %bb.277:
	scratch_load_dwordx4 v[120:123], v10, off
	s_waitcnt vmcnt(0) lgkmcnt(0)
	v_mul_f64 v[12:13], v[2:3], v[122:123]
	v_mul_f64 v[6:7], v[4:5], v[122:123]
	v_fmac_f64_e32 v[12:13], v[4:5], v[120:121]
	v_fma_f64 v[2:3], v[2:3], v[120:121], -v[6:7]
	v_mov_b64_e32 v[4:5], v[12:13]
.LBB99_278:
	s_and_saveexec_b64 s[4:5], s[0:1]
	s_cbranch_execz .LBB99_282
; %bb.279:
	v_mov_b32_e32 v7, 0
	v_add_u32_e32 v6, -1, v0
	v_add_u32_e32 v7, 24, v7
	s_movk_i32 s10, 0x250
	s_mov_b64 s[0:1], 0
.LBB99_280:                             ; =>This Inner Loop Header: Depth=1
	v_add_u32_e32 v12, -8, v7
	scratch_load_dwordx4 v[120:123], v12, off
	v_mov_b32_e32 v12, s10
	ds_read_b128 v[124:127], v12
	v_add_u32_e32 v6, -1, v6
	s_add_i32 s10, s10, 16
	v_cmp_eq_u32_e32 vcc, 0, v6
	v_add_u32_e32 v7, 16, v7
	s_or_b64 s[0:1], vcc, s[0:1]
	s_waitcnt vmcnt(0) lgkmcnt(0)
	v_mul_f64 v[12:13], v[126:127], v[122:123]
	v_mul_f64 v[122:123], v[124:125], v[122:123]
	v_fma_f64 v[12:13], v[124:125], v[120:121], -v[12:13]
	v_fmac_f64_e32 v[122:123], v[126:127], v[120:121]
	v_add_f64 v[2:3], v[2:3], v[12:13]
	v_add_f64 v[4:5], v[4:5], v[122:123]
	s_andn2_b64 exec, exec, s[0:1]
	s_cbranch_execnz .LBB99_280
; %bb.281:
	s_or_b64 exec, exec, s[0:1]
.LBB99_282:
	s_or_b64 exec, exec, s[4:5]
	v_mov_b32_e32 v6, 0
	ds_read_b128 v[120:123], v6
	v_mov_b32_e32 v6, 0
	v_or_b32_e32 v12, 8, v6
	s_mov_b64 s[4:5], exec
	s_waitcnt lgkmcnt(0)
	v_mul_f64 v[124:125], v[4:5], v[122:123]
	v_mul_f64 v[6:7], v[2:3], v[122:123]
	v_fma_f64 v[2:3], v[2:3], v[120:121], -v[124:125]
	v_fmac_f64_e32 v[6:7], v[4:5], v[120:121]
	scratch_store_dwordx2 off, v[2:3], off
.LBB99_283:
	s_or_b64 exec, exec, s[8:9]
	s_and_b64 vcc, exec, s[2:3]
	s_cbranch_vccnz .LBB99_285
	s_branch .LBB99_560
.LBB99_284:
	s_mov_b64 s[4:5], 0
                                        ; implicit-def: $vgpr6_vgpr7
                                        ; implicit-def: $vgpr12
	s_cbranch_execz .LBB99_560
.LBB99_285:
	scratch_load_dwordx4 v[2:5], v114, off
	v_cndmask_b32_e64 v6, 0, 1, s[6:7]
	v_cmp_eq_u32_e64 s[2:3], 0, v0
	v_cmp_ne_u32_e64 s[0:1], 1, v6
	s_waitcnt vmcnt(0)
	ds_write_b128 v11, v[2:5]
	s_waitcnt lgkmcnt(0)
	; wave barrier
	s_waitcnt lgkmcnt(0)
	s_and_saveexec_b64 s[6:7], s[2:3]
	s_cbranch_execz .LBB99_289
; %bb.286:
	ds_read_b128 v[2:5], v11
	s_and_b64 vcc, exec, s[0:1]
	s_cbranch_vccnz .LBB99_288
; %bb.287:
	scratch_load_dwordx4 v[120:123], v10, off
	s_waitcnt vmcnt(0) lgkmcnt(0)
	v_mul_f64 v[12:13], v[2:3], v[122:123]
	v_mul_f64 v[6:7], v[4:5], v[122:123]
	v_fmac_f64_e32 v[12:13], v[4:5], v[120:121]
	v_fma_f64 v[2:3], v[2:3], v[120:121], -v[6:7]
	v_mov_b64_e32 v[4:5], v[12:13]
.LBB99_288:
	v_mov_b32_e32 v6, 0
	ds_read_b128 v[120:123], v6 offset:16
	s_waitcnt lgkmcnt(0)
	v_mul_f64 v[6:7], v[4:5], v[122:123]
	v_mul_f64 v[124:125], v[2:3], v[122:123]
	v_fma_f64 v[122:123], v[2:3], v[120:121], -v[6:7]
	v_fmac_f64_e32 v[124:125], v[4:5], v[120:121]
	scratch_store_dwordx4 off, v[122:125], off offset:16
.LBB99_289:
	s_or_b64 exec, exec, s[6:7]
	scratch_load_dwordx4 v[2:5], v117, off
	v_cmp_gt_u32_e32 vcc, 2, v0
	s_waitcnt vmcnt(0)
	ds_write_b128 v11, v[2:5]
	s_waitcnt lgkmcnt(0)
	; wave barrier
	s_waitcnt lgkmcnt(0)
	s_and_saveexec_b64 s[6:7], vcc
	s_cbranch_execz .LBB99_295
; %bb.290:
	ds_read_b128 v[2:5], v11
	s_and_b64 vcc, exec, s[0:1]
	s_cbranch_vccnz .LBB99_292
; %bb.291:
	scratch_load_dwordx4 v[120:123], v10, off
	s_waitcnt vmcnt(0) lgkmcnt(0)
	v_mul_f64 v[12:13], v[2:3], v[122:123]
	v_mul_f64 v[6:7], v[4:5], v[122:123]
	v_fmac_f64_e32 v[12:13], v[4:5], v[120:121]
	v_fma_f64 v[2:3], v[2:3], v[120:121], -v[6:7]
	v_mov_b64_e32 v[4:5], v[12:13]
.LBB99_292:
	s_and_saveexec_b64 s[8:9], s[2:3]
	s_cbranch_execz .LBB99_294
; %bb.293:
	scratch_load_dwordx4 v[120:123], v10, off offset:16
	ds_read_b128 v[124:127], v11 offset:16
	s_waitcnt vmcnt(0) lgkmcnt(0)
	v_mul_f64 v[6:7], v[126:127], v[122:123]
	v_mul_f64 v[12:13], v[124:125], v[122:123]
	v_fma_f64 v[6:7], v[124:125], v[120:121], -v[6:7]
	v_fmac_f64_e32 v[12:13], v[126:127], v[120:121]
	v_add_f64 v[2:3], v[2:3], v[6:7]
	v_add_f64 v[4:5], v[4:5], v[12:13]
.LBB99_294:
	s_or_b64 exec, exec, s[8:9]
	v_mov_b32_e32 v6, 0
	ds_read_b128 v[120:123], v6 offset:32
	s_waitcnt lgkmcnt(0)
	v_mul_f64 v[6:7], v[4:5], v[122:123]
	v_mul_f64 v[124:125], v[2:3], v[122:123]
	v_fma_f64 v[122:123], v[2:3], v[120:121], -v[6:7]
	v_fmac_f64_e32 v[124:125], v[4:5], v[120:121]
	scratch_store_dwordx4 off, v[122:125], off offset:32
.LBB99_295:
	s_or_b64 exec, exec, s[6:7]
	scratch_load_dwordx4 v[2:5], v116, off
	v_cmp_gt_u32_e32 vcc, 3, v0
	s_waitcnt vmcnt(0)
	ds_write_b128 v11, v[2:5]
	s_waitcnt lgkmcnt(0)
	; wave barrier
	s_waitcnt lgkmcnt(0)
	s_and_saveexec_b64 s[6:7], vcc
	s_cbranch_execz .LBB99_303
; %bb.296:
	ds_read_b128 v[2:5], v11
	s_and_b64 vcc, exec, s[0:1]
	s_cbranch_vccnz .LBB99_298
; %bb.297:
	scratch_load_dwordx4 v[120:123], v10, off
	s_waitcnt vmcnt(0) lgkmcnt(0)
	v_mul_f64 v[12:13], v[2:3], v[122:123]
	v_mul_f64 v[6:7], v[4:5], v[122:123]
	v_fmac_f64_e32 v[12:13], v[4:5], v[120:121]
	v_fma_f64 v[2:3], v[2:3], v[120:121], -v[6:7]
	v_mov_b64_e32 v[4:5], v[12:13]
.LBB99_298:
	v_cmp_ne_u32_e32 vcc, 2, v0
	s_and_saveexec_b64 s[8:9], vcc
	s_cbranch_execz .LBB99_302
; %bb.299:
	scratch_load_dwordx4 v[120:123], v10, off offset:16
	ds_read_b128 v[124:127], v11 offset:16
	s_waitcnt vmcnt(0) lgkmcnt(0)
	v_mul_f64 v[6:7], v[126:127], v[122:123]
	v_mul_f64 v[12:13], v[124:125], v[122:123]
	v_fma_f64 v[6:7], v[124:125], v[120:121], -v[6:7]
	v_fmac_f64_e32 v[12:13], v[126:127], v[120:121]
	v_add_f64 v[2:3], v[2:3], v[6:7]
	v_add_f64 v[4:5], v[4:5], v[12:13]
	s_and_saveexec_b64 s[10:11], s[2:3]
	s_cbranch_execz .LBB99_301
; %bb.300:
	scratch_load_dwordx4 v[120:123], off, off offset:32
	v_mov_b32_e32 v6, 0
	ds_read_b128 v[124:127], v6 offset:608
	s_waitcnt vmcnt(0) lgkmcnt(0)
	v_mul_f64 v[6:7], v[124:125], v[122:123]
	v_mul_f64 v[12:13], v[126:127], v[122:123]
	v_fmac_f64_e32 v[6:7], v[126:127], v[120:121]
	v_fma_f64 v[12:13], v[124:125], v[120:121], -v[12:13]
	v_add_f64 v[4:5], v[4:5], v[6:7]
	v_add_f64 v[2:3], v[2:3], v[12:13]
.LBB99_301:
	s_or_b64 exec, exec, s[10:11]
.LBB99_302:
	s_or_b64 exec, exec, s[8:9]
	v_mov_b32_e32 v6, 0
	ds_read_b128 v[120:123], v6 offset:48
	s_waitcnt lgkmcnt(0)
	v_mul_f64 v[6:7], v[4:5], v[122:123]
	v_mul_f64 v[124:125], v[2:3], v[122:123]
	v_fma_f64 v[122:123], v[2:3], v[120:121], -v[6:7]
	v_fmac_f64_e32 v[124:125], v[4:5], v[120:121]
	scratch_store_dwordx4 off, v[122:125], off offset:48
.LBB99_303:
	s_or_b64 exec, exec, s[6:7]
	scratch_load_dwordx4 v[2:5], v118, off
	v_cmp_gt_u32_e32 vcc, 4, v0
	s_waitcnt vmcnt(0)
	ds_write_b128 v11, v[2:5]
	s_waitcnt lgkmcnt(0)
	; wave barrier
	s_waitcnt lgkmcnt(0)
	s_and_saveexec_b64 s[2:3], vcc
	s_cbranch_execz .LBB99_311
; %bb.304:
	ds_read_b128 v[2:5], v11
	s_and_b64 vcc, exec, s[0:1]
	s_cbranch_vccnz .LBB99_306
; %bb.305:
	scratch_load_dwordx4 v[120:123], v10, off
	s_waitcnt vmcnt(0) lgkmcnt(0)
	v_mul_f64 v[12:13], v[2:3], v[122:123]
	v_mul_f64 v[6:7], v[4:5], v[122:123]
	v_fmac_f64_e32 v[12:13], v[4:5], v[120:121]
	v_fma_f64 v[2:3], v[2:3], v[120:121], -v[6:7]
	v_mov_b64_e32 v[4:5], v[12:13]
.LBB99_306:
	v_cmp_ne_u32_e32 vcc, 3, v0
	s_and_saveexec_b64 s[6:7], vcc
	s_cbranch_execz .LBB99_310
; %bb.307:
	v_mov_b32_e32 v7, 0
	v_add_u32_e32 v6, 0x250, v86
	v_add3_u32 v7, v86, v7, 24
	s_mov_b64 s[8:9], 0
	v_mov_b32_e32 v12, v0
.LBB99_308:                             ; =>This Inner Loop Header: Depth=1
	v_add_u32_e32 v13, -8, v7
	scratch_load_dwordx4 v[120:123], v13, off
	ds_read_b128 v[124:127], v6
	v_add_u32_e32 v12, 1, v12
	v_cmp_lt_u32_e32 vcc, 2, v12
	v_add_u32_e32 v6, 16, v6
	v_add_u32_e32 v7, 16, v7
	s_or_b64 s[8:9], vcc, s[8:9]
	s_waitcnt vmcnt(0) lgkmcnt(0)
	v_mul_f64 v[128:129], v[126:127], v[122:123]
	v_mul_f64 v[122:123], v[124:125], v[122:123]
	v_fma_f64 v[124:125], v[124:125], v[120:121], -v[128:129]
	v_fmac_f64_e32 v[122:123], v[126:127], v[120:121]
	v_add_f64 v[2:3], v[2:3], v[124:125]
	v_add_f64 v[4:5], v[4:5], v[122:123]
	s_andn2_b64 exec, exec, s[8:9]
	s_cbranch_execnz .LBB99_308
; %bb.309:
	s_or_b64 exec, exec, s[8:9]
.LBB99_310:
	s_or_b64 exec, exec, s[6:7]
	v_mov_b32_e32 v6, 0
	ds_read_b128 v[120:123], v6 offset:64
	s_waitcnt lgkmcnt(0)
	v_mul_f64 v[6:7], v[4:5], v[122:123]
	v_mul_f64 v[124:125], v[2:3], v[122:123]
	v_fma_f64 v[122:123], v[2:3], v[120:121], -v[6:7]
	v_fmac_f64_e32 v[124:125], v[4:5], v[120:121]
	scratch_store_dwordx4 off, v[122:125], off offset:64
.LBB99_311:
	s_or_b64 exec, exec, s[2:3]
	scratch_load_dwordx4 v[2:5], v115, off
	v_cmp_gt_u32_e32 vcc, 5, v0
	s_waitcnt vmcnt(0)
	ds_write_b128 v11, v[2:5]
	s_waitcnt lgkmcnt(0)
	; wave barrier
	s_waitcnt lgkmcnt(0)
	s_and_saveexec_b64 s[2:3], vcc
	s_cbranch_execz .LBB99_319
; %bb.312:
	ds_read_b128 v[2:5], v11
	s_and_b64 vcc, exec, s[0:1]
	s_cbranch_vccnz .LBB99_314
; %bb.313:
	scratch_load_dwordx4 v[120:123], v10, off
	s_waitcnt vmcnt(0) lgkmcnt(0)
	v_mul_f64 v[12:13], v[2:3], v[122:123]
	v_mul_f64 v[6:7], v[4:5], v[122:123]
	v_fmac_f64_e32 v[12:13], v[4:5], v[120:121]
	v_fma_f64 v[2:3], v[2:3], v[120:121], -v[6:7]
	v_mov_b64_e32 v[4:5], v[12:13]
.LBB99_314:
	v_cmp_ne_u32_e32 vcc, 4, v0
	s_and_saveexec_b64 s[6:7], vcc
	s_cbranch_execz .LBB99_318
; %bb.315:
	v_mov_b32_e32 v7, 0
	v_add_u32_e32 v6, 0x250, v86
	v_add3_u32 v7, v86, v7, 24
	s_mov_b64 s[8:9], 0
	v_mov_b32_e32 v12, v0
.LBB99_316:                             ; =>This Inner Loop Header: Depth=1
	v_add_u32_e32 v13, -8, v7
	scratch_load_dwordx4 v[120:123], v13, off
	ds_read_b128 v[124:127], v6
	v_add_u32_e32 v12, 1, v12
	v_cmp_lt_u32_e32 vcc, 3, v12
	v_add_u32_e32 v6, 16, v6
	v_add_u32_e32 v7, 16, v7
	s_or_b64 s[8:9], vcc, s[8:9]
	s_waitcnt vmcnt(0) lgkmcnt(0)
	v_mul_f64 v[128:129], v[126:127], v[122:123]
	v_mul_f64 v[122:123], v[124:125], v[122:123]
	v_fma_f64 v[124:125], v[124:125], v[120:121], -v[128:129]
	v_fmac_f64_e32 v[122:123], v[126:127], v[120:121]
	v_add_f64 v[2:3], v[2:3], v[124:125]
	v_add_f64 v[4:5], v[4:5], v[122:123]
	s_andn2_b64 exec, exec, s[8:9]
	s_cbranch_execnz .LBB99_316
; %bb.317:
	s_or_b64 exec, exec, s[8:9]
.LBB99_318:
	s_or_b64 exec, exec, s[6:7]
	v_mov_b32_e32 v6, 0
	ds_read_b128 v[120:123], v6 offset:80
	s_waitcnt lgkmcnt(0)
	v_mul_f64 v[6:7], v[4:5], v[122:123]
	v_mul_f64 v[124:125], v[2:3], v[122:123]
	v_fma_f64 v[122:123], v[2:3], v[120:121], -v[6:7]
	v_fmac_f64_e32 v[124:125], v[4:5], v[120:121]
	scratch_store_dwordx4 off, v[122:125], off offset:80
.LBB99_319:
	;; [unrolled: 63-line block ×30, first 2 shown]
	s_or_b64 exec, exec, s[2:3]
	scratch_load_dwordx4 v[2:5], v8, off
	v_cmp_gt_u32_e64 s[2:3], 34, v0
	s_waitcnt vmcnt(0)
	ds_write_b128 v11, v[2:5]
	s_waitcnt lgkmcnt(0)
	; wave barrier
	s_waitcnt lgkmcnt(0)
	s_and_saveexec_b64 s[6:7], s[2:3]
	s_cbranch_execz .LBB99_551
; %bb.544:
	ds_read_b128 v[2:5], v11
	s_and_b64 vcc, exec, s[0:1]
	s_cbranch_vccnz .LBB99_546
; %bb.545:
	scratch_load_dwordx4 v[120:123], v10, off
	s_waitcnt vmcnt(0) lgkmcnt(0)
	v_mul_f64 v[12:13], v[2:3], v[122:123]
	v_mul_f64 v[6:7], v[4:5], v[122:123]
	v_fmac_f64_e32 v[12:13], v[4:5], v[120:121]
	v_fma_f64 v[2:3], v[2:3], v[120:121], -v[6:7]
	v_mov_b64_e32 v[4:5], v[12:13]
.LBB99_546:
	v_cmp_ne_u32_e32 vcc, 33, v0
	s_and_saveexec_b64 s[8:9], vcc
	s_cbranch_execz .LBB99_550
; %bb.547:
	v_mov_b32_e32 v7, 0
	v_add_u32_e32 v6, 0x250, v86
	v_add3_u32 v7, v86, v7, 24
	s_mov_b64 s[10:11], 0
	v_mov_b32_e32 v12, v0
.LBB99_548:                             ; =>This Inner Loop Header: Depth=1
	v_add_u32_e32 v13, -8, v7
	scratch_load_dwordx4 v[120:123], v13, off
	ds_read_b128 v[124:127], v6
	v_add_u32_e32 v12, 1, v12
	v_cmp_lt_u32_e32 vcc, 32, v12
	v_add_u32_e32 v6, 16, v6
	v_add_u32_e32 v7, 16, v7
	s_or_b64 s[10:11], vcc, s[10:11]
	s_waitcnt vmcnt(0) lgkmcnt(0)
	v_mul_f64 v[128:129], v[126:127], v[122:123]
	v_mul_f64 v[122:123], v[124:125], v[122:123]
	v_fma_f64 v[124:125], v[124:125], v[120:121], -v[128:129]
	v_fmac_f64_e32 v[122:123], v[126:127], v[120:121]
	v_add_f64 v[2:3], v[2:3], v[124:125]
	v_add_f64 v[4:5], v[4:5], v[122:123]
	s_andn2_b64 exec, exec, s[10:11]
	s_cbranch_execnz .LBB99_548
; %bb.549:
	s_or_b64 exec, exec, s[10:11]
.LBB99_550:
	s_or_b64 exec, exec, s[8:9]
	v_mov_b32_e32 v6, 0
	ds_read_b128 v[120:123], v6 offset:544
	s_waitcnt lgkmcnt(0)
	v_mul_f64 v[6:7], v[4:5], v[122:123]
	v_mul_f64 v[124:125], v[2:3], v[122:123]
	v_fma_f64 v[122:123], v[2:3], v[120:121], -v[6:7]
	v_fmac_f64_e32 v[124:125], v[4:5], v[120:121]
	scratch_store_dwordx4 off, v[122:125], off offset:544
.LBB99_551:
	s_or_b64 exec, exec, s[6:7]
	scratch_load_dwordx4 v[2:5], v1, off
	v_cmp_ne_u32_e32 vcc, 35, v0
                                        ; implicit-def: $vgpr6_vgpr7
                                        ; implicit-def: $vgpr12
	s_waitcnt vmcnt(0)
	ds_write_b128 v11, v[2:5]
	s_waitcnt lgkmcnt(0)
	; wave barrier
	s_waitcnt lgkmcnt(0)
	s_and_saveexec_b64 s[6:7], vcc
	s_cbranch_execz .LBB99_559
; %bb.552:
	ds_read_b128 v[2:5], v11
	s_and_b64 vcc, exec, s[0:1]
	s_cbranch_vccnz .LBB99_554
; %bb.553:
	scratch_load_dwordx4 v[10:13], v10, off
	s_waitcnt vmcnt(0) lgkmcnt(0)
	v_mul_f64 v[6:7], v[4:5], v[12:13]
	v_mul_f64 v[12:13], v[2:3], v[12:13]
	v_fmac_f64_e32 v[12:13], v[4:5], v[10:11]
	v_fma_f64 v[2:3], v[2:3], v[10:11], -v[6:7]
	v_mov_b64_e32 v[4:5], v[12:13]
.LBB99_554:
	s_and_saveexec_b64 s[0:1], s[2:3]
	s_cbranch_execz .LBB99_558
; %bb.555:
	v_mov_b32_e32 v7, 0
	v_add_u32_e32 v6, 0x250, v86
	v_add3_u32 v7, v86, v7, 24
	s_mov_b64 s[2:3], 0
.LBB99_556:                             ; =>This Inner Loop Header: Depth=1
	v_add_u32_e32 v10, -8, v7
	scratch_load_dwordx4 v[10:13], v10, off
	ds_read_b128 v[120:123], v6
	v_add_u32_e32 v0, 1, v0
	v_cmp_lt_u32_e32 vcc, 33, v0
	v_add_u32_e32 v6, 16, v6
	v_add_u32_e32 v7, 16, v7
	s_or_b64 s[2:3], vcc, s[2:3]
	s_waitcnt vmcnt(0) lgkmcnt(0)
	v_mul_f64 v[124:125], v[122:123], v[12:13]
	v_mul_f64 v[12:13], v[120:121], v[12:13]
	v_fma_f64 v[120:121], v[120:121], v[10:11], -v[124:125]
	v_fmac_f64_e32 v[12:13], v[122:123], v[10:11]
	v_add_f64 v[2:3], v[2:3], v[120:121]
	v_add_f64 v[4:5], v[4:5], v[12:13]
	s_andn2_b64 exec, exec, s[2:3]
	s_cbranch_execnz .LBB99_556
; %bb.557:
	s_or_b64 exec, exec, s[2:3]
.LBB99_558:
	s_or_b64 exec, exec, s[0:1]
	v_mov_b32_e32 v0, 0
	ds_read_b128 v[120:123], v0 offset:560
	v_mov_b32_e32 v0, 0
	v_add_u32_e32 v12, 0x238, v0
	s_or_b64 s[4:5], s[4:5], exec
	s_waitcnt lgkmcnt(0)
	v_mul_f64 v[10:11], v[4:5], v[122:123]
	v_mul_f64 v[6:7], v[2:3], v[122:123]
	v_fma_f64 v[2:3], v[2:3], v[120:121], -v[10:11]
	v_fmac_f64_e32 v[6:7], v[4:5], v[120:121]
	scratch_store_dwordx2 off, v[2:3], off offset:560
.LBB99_559:
	s_or_b64 exec, exec, s[6:7]
.LBB99_560:
	s_and_saveexec_b64 s[0:1], s[4:5]
	s_cbranch_execz .LBB99_562
; %bb.561:
	scratch_store_dwordx2 v12, v[6:7], off
.LBB99_562:
	s_or_b64 exec, exec, s[0:1]
	scratch_load_dwordx4 v[2:5], off, off
	scratch_load_dwordx4 v[10:13], v114, off
	scratch_load_dwordx4 v[120:123], v117, off
	;; [unrolled: 1-line block ×4, first 2 shown]
                                        ; kill: killed $vgpr117
                                        ; kill: killed $vgpr118
                                        ; kill: killed $vgpr114
                                        ; kill: killed $vgpr116
	s_nop 0
	scratch_load_dwordx4 v[114:117], v115, off
	s_nop 0
	scratch_load_dwordx4 v[132:135], v113, off
	scratch_load_dwordx4 v[136:139], v112, off
	scratch_load_dwordx4 v[140:143], v111, off
	s_nop 0
	scratch_load_dwordx4 v[110:113], v110, off
	s_nop 0
	scratch_load_dwordx4 v[144:147], v109, off
	scratch_load_dwordx4 v[148:151], v108, off
	scratch_load_dwordx4 v[152:155], v107, off
	;; [unrolled: 6-line block ×3, first 2 shown]
	s_nop 0
	scratch_load_dwordx4 v[102:105], v102, off
	s_waitcnt vmcnt(17)
	global_store_dwordx4 v[40:41], v[2:5], off
	scratch_load_dwordx4 v[2:5], v101, off
	s_nop 0
	scratch_load_dwordx4 v[168:171], v100, off
	s_waitcnt vmcnt(19)
	global_store_dwordx4 v[36:37], v[10:13], off
	scratch_load_dwordx4 v[10:13], v99, off
	;; [unrolled: 5-line block ×9, first 2 shown]
	s_nop 0
	scratch_load_dwordx4 v[138:141], v1, off
	s_waitcnt vmcnt(35)
	global_store_dwordx4 v[16:17], v[110:113], off
	s_waitcnt vmcnt(35)
	global_store_dwordx4 v[20:21], v[144:147], off
	;; [unrolled: 2-line block ×27, first 2 shown]
.LBB99_563:
	s_endpgm
	.section	.rodata,"a",@progbits
	.p2align	6, 0x0
	.amdhsa_kernel _ZN9rocsolver6v33100L18trti2_kernel_smallILi36E19rocblas_complex_numIdEPKPS3_EEv13rocblas_fill_17rocblas_diagonal_T1_iil
		.amdhsa_group_segment_fixed_size 1152
		.amdhsa_private_segment_fixed_size 592
		.amdhsa_kernarg_size 32
		.amdhsa_user_sgpr_count 2
		.amdhsa_user_sgpr_dispatch_ptr 0
		.amdhsa_user_sgpr_queue_ptr 0
		.amdhsa_user_sgpr_kernarg_segment_ptr 1
		.amdhsa_user_sgpr_dispatch_id 0
		.amdhsa_user_sgpr_kernarg_preload_length 0
		.amdhsa_user_sgpr_kernarg_preload_offset 0
		.amdhsa_user_sgpr_private_segment_size 0
		.amdhsa_uses_dynamic_stack 0
		.amdhsa_enable_private_segment 1
		.amdhsa_system_sgpr_workgroup_id_x 1
		.amdhsa_system_sgpr_workgroup_id_y 0
		.amdhsa_system_sgpr_workgroup_id_z 0
		.amdhsa_system_sgpr_workgroup_info 0
		.amdhsa_system_vgpr_workitem_id 0
		.amdhsa_next_free_vgpr 176
		.amdhsa_next_free_sgpr 12
		.amdhsa_accum_offset 176
		.amdhsa_reserve_vcc 1
		.amdhsa_float_round_mode_32 0
		.amdhsa_float_round_mode_16_64 0
		.amdhsa_float_denorm_mode_32 3
		.amdhsa_float_denorm_mode_16_64 3
		.amdhsa_dx10_clamp 1
		.amdhsa_ieee_mode 1
		.amdhsa_fp16_overflow 0
		.amdhsa_tg_split 0
		.amdhsa_exception_fp_ieee_invalid_op 0
		.amdhsa_exception_fp_denorm_src 0
		.amdhsa_exception_fp_ieee_div_zero 0
		.amdhsa_exception_fp_ieee_overflow 0
		.amdhsa_exception_fp_ieee_underflow 0
		.amdhsa_exception_fp_ieee_inexact 0
		.amdhsa_exception_int_div_zero 0
	.end_amdhsa_kernel
	.section	.text._ZN9rocsolver6v33100L18trti2_kernel_smallILi36E19rocblas_complex_numIdEPKPS3_EEv13rocblas_fill_17rocblas_diagonal_T1_iil,"axG",@progbits,_ZN9rocsolver6v33100L18trti2_kernel_smallILi36E19rocblas_complex_numIdEPKPS3_EEv13rocblas_fill_17rocblas_diagonal_T1_iil,comdat
.Lfunc_end99:
	.size	_ZN9rocsolver6v33100L18trti2_kernel_smallILi36E19rocblas_complex_numIdEPKPS3_EEv13rocblas_fill_17rocblas_diagonal_T1_iil, .Lfunc_end99-_ZN9rocsolver6v33100L18trti2_kernel_smallILi36E19rocblas_complex_numIdEPKPS3_EEv13rocblas_fill_17rocblas_diagonal_T1_iil
                                        ; -- End function
	.section	.AMDGPU.csdata,"",@progbits
; Kernel info:
; codeLenInByte = 23664
; NumSgprs: 18
; NumVgprs: 176
; NumAgprs: 0
; TotalNumVgprs: 176
; ScratchSize: 592
; MemoryBound: 0
; FloatMode: 240
; IeeeMode: 1
; LDSByteSize: 1152 bytes/workgroup (compile time only)
; SGPRBlocks: 2
; VGPRBlocks: 21
; NumSGPRsForWavesPerEU: 18
; NumVGPRsForWavesPerEU: 176
; AccumOffset: 176
; Occupancy: 2
; WaveLimiterHint : 1
; COMPUTE_PGM_RSRC2:SCRATCH_EN: 1
; COMPUTE_PGM_RSRC2:USER_SGPR: 2
; COMPUTE_PGM_RSRC2:TRAP_HANDLER: 0
; COMPUTE_PGM_RSRC2:TGID_X_EN: 1
; COMPUTE_PGM_RSRC2:TGID_Y_EN: 0
; COMPUTE_PGM_RSRC2:TGID_Z_EN: 0
; COMPUTE_PGM_RSRC2:TIDIG_COMP_CNT: 0
; COMPUTE_PGM_RSRC3_GFX90A:ACCUM_OFFSET: 43
; COMPUTE_PGM_RSRC3_GFX90A:TG_SPLIT: 0
	.section	.text._ZN9rocsolver6v33100L18trti2_kernel_smallILi37E19rocblas_complex_numIdEPKPS3_EEv13rocblas_fill_17rocblas_diagonal_T1_iil,"axG",@progbits,_ZN9rocsolver6v33100L18trti2_kernel_smallILi37E19rocblas_complex_numIdEPKPS3_EEv13rocblas_fill_17rocblas_diagonal_T1_iil,comdat
	.globl	_ZN9rocsolver6v33100L18trti2_kernel_smallILi37E19rocblas_complex_numIdEPKPS3_EEv13rocblas_fill_17rocblas_diagonal_T1_iil ; -- Begin function _ZN9rocsolver6v33100L18trti2_kernel_smallILi37E19rocblas_complex_numIdEPKPS3_EEv13rocblas_fill_17rocblas_diagonal_T1_iil
	.p2align	8
	.type	_ZN9rocsolver6v33100L18trti2_kernel_smallILi37E19rocblas_complex_numIdEPKPS3_EEv13rocblas_fill_17rocblas_diagonal_T1_iil,@function
_ZN9rocsolver6v33100L18trti2_kernel_smallILi37E19rocblas_complex_numIdEPKPS3_EEv13rocblas_fill_17rocblas_diagonal_T1_iil: ; @_ZN9rocsolver6v33100L18trti2_kernel_smallILi37E19rocblas_complex_numIdEPKPS3_EEv13rocblas_fill_17rocblas_diagonal_T1_iil
; %bb.0:
	v_cmp_gt_u32_e32 vcc, 37, v0
	s_and_saveexec_b64 s[4:5], vcc
	s_cbranch_execz .LBB100_579
; %bb.1:
	s_load_dwordx2 s[8:9], s[0:1], 0x10
	s_load_dwordx4 s[4:7], s[0:1], 0x0
	s_ashr_i32 s3, s2, 31
	s_lshl_b64 s[0:1], s[2:3], 3
	v_lshlrev_b32_e32 v56, 4, v0
	s_waitcnt lgkmcnt(0)
	s_ashr_i32 s3, s8, 31
	s_add_u32 s0, s6, s0
	s_addc_u32 s1, s7, s1
	s_load_dwordx2 s[0:1], s[0:1], 0x0
	s_mov_b32 s2, s8
	s_lshl_b64 s[2:3], s[2:3], 4
	v_mov_b32_e32 v57, 0
	v_mov_b32_e32 v1, 0
	s_waitcnt lgkmcnt(0)
	s_add_u32 s0, s0, s2
	s_addc_u32 s1, s1, s3
	v_lshl_add_u64 v[14:15], s[0:1], 0, v[56:57]
	s_ashr_i32 s3, s9, 31
	s_mov_b32 s2, s9
	v_lshl_add_u64 v[16:17], s[2:3], 4, v[14:15]
	s_add_i32 s2, s9, s9
	v_add_u32_e32 v20, s2, v0
	v_add_u32_e32 v22, s9, v20
	;; [unrolled: 1-line block ×6, first 2 shown]
	v_ashrrev_i32_e32 v21, 31, v20
	v_ashrrev_i32_e32 v23, 31, v22
	;; [unrolled: 1-line block ×6, first 2 shown]
	v_lshl_add_u64 v[18:19], v[20:21], 4, s[0:1]
	v_lshl_add_u64 v[20:21], v[22:23], 4, s[0:1]
	;; [unrolled: 1-line block ×6, first 2 shown]
	v_add_u32_e32 v30, s9, v30
	v_add_u32_e32 v32, s9, v30
	;; [unrolled: 1-line block ×6, first 2 shown]
	v_ashrrev_i32_e32 v43, 31, v42
	v_ashrrev_i32_e32 v33, 31, v32
	;; [unrolled: 1-line block ×3, first 2 shown]
	v_lshl_add_u64 v[40:41], v[42:43], 4, s[0:1]
	v_add_u32_e32 v42, s9, v42
	v_ashrrev_i32_e32 v31, 31, v30
	v_lshl_add_u64 v[32:33], v[32:33], 4, s[0:1]
	v_ashrrev_i32_e32 v35, 31, v34
	v_lshl_add_u64 v[36:37], v[36:37], 4, s[0:1]
	v_ashrrev_i32_e32 v39, 31, v38
	v_ashrrev_i32_e32 v43, 31, v42
	global_load_dwordx4 v[2:5], v56, s[0:1]
	global_load_dwordx4 v[6:9], v[16:17], off
	global_load_dwordx4 v[10:13], v[18:19], off
	;; [unrolled: 1-line block ×6, first 2 shown]
	v_lshl_add_u64 v[30:31], v[30:31], 4, s[0:1]
	global_load_dwordx4 v[74:77], v[28:29], off
	global_load_dwordx4 v[78:81], v[30:31], off
	v_lshl_add_u64 v[34:35], v[34:35], 4, s[0:1]
	global_load_dwordx4 v[82:85], v[32:33], off
	global_load_dwordx4 v[86:89], v[34:35], off
	;; [unrolled: 3-line block ×3, first 2 shown]
	v_add_u32_e32 v46, s9, v42
	v_lshl_add_u64 v[42:43], v[42:43], 4, s[0:1]
	global_load_dwordx4 v[98:101], v[40:41], off
	global_load_dwordx4 v[102:105], v[42:43], off
	v_ashrrev_i32_e32 v47, 31, v46
	v_lshl_add_u64 v[44:45], v[46:47], 4, s[0:1]
	global_load_dwordx4 v[106:109], v[44:45], off
	v_add_u32_e32 v46, s9, v46
	v_add_u32_e32 v48, s9, v46
	;; [unrolled: 1-line block ×3, first 2 shown]
	v_ashrrev_i32_e32 v47, 31, v46
	v_ashrrev_i32_e32 v49, 31, v48
	v_add_u32_e32 v52, s9, v50
	v_lshl_add_u64 v[46:47], v[46:47], 4, s[0:1]
	global_load_dwordx4 v[110:113], v[46:47], off
	v_lshl_add_u64 v[48:49], v[48:49], 4, s[0:1]
	v_ashrrev_i32_e32 v51, 31, v50
	v_add_u32_e32 v122, s9, v52
	v_lshl_add_u64 v[50:51], v[50:51], 4, s[0:1]
	global_load_dwordx4 v[114:117], v[48:49], off
	global_load_dwordx4 v[118:121], v[50:51], off
	v_ashrrev_i32_e32 v53, 31, v52
	v_lshl_add_u64 v[52:53], v[52:53], 4, s[0:1]
	v_ashrrev_i32_e32 v123, 31, v122
	v_lshl_add_u64 v[54:55], v[122:123], 4, s[0:1]
	s_cmpk_lg_i32 s5, 0x84
	s_cselect_b64 s[6:7], -1, 0
	s_cmpk_eq_i32 s5, 0x84
	s_waitcnt vmcnt(18)
	scratch_store_dwordx4 off, v[2:5], off
	s_waitcnt vmcnt(18)
	scratch_store_dwordx4 off, v[6:9], off offset:16
	s_waitcnt vmcnt(18)
	scratch_store_dwordx4 off, v[10:13], off offset:32
	s_waitcnt vmcnt(18)
	scratch_store_dwordx4 off, v[58:61], off offset:48
	s_waitcnt vmcnt(18)
	scratch_store_dwordx4 off, v[62:65], off offset:64
	s_waitcnt vmcnt(18)
	scratch_store_dwordx4 off, v[66:69], off offset:80
	s_waitcnt vmcnt(18)
	scratch_store_dwordx4 off, v[70:73], off offset:96
	s_waitcnt vmcnt(18)
	scratch_store_dwordx4 off, v[74:77], off offset:112
	s_waitcnt vmcnt(18)
	scratch_store_dwordx4 off, v[78:81], off offset:128
	s_waitcnt vmcnt(18)
	scratch_store_dwordx4 off, v[82:85], off offset:144
	s_waitcnt vmcnt(18)
	scratch_store_dwordx4 off, v[86:89], off offset:160
	s_waitcnt vmcnt(18)
	scratch_store_dwordx4 off, v[90:93], off offset:176
	s_waitcnt vmcnt(18)
	scratch_store_dwordx4 off, v[94:97], off offset:192
	s_waitcnt vmcnt(18)
	scratch_store_dwordx4 off, v[98:101], off offset:208
	s_waitcnt vmcnt(18)
	scratch_store_dwordx4 off, v[102:105], off offset:224
	s_waitcnt vmcnt(18)
	scratch_store_dwordx4 off, v[106:109], off offset:240
	v_add_u32_e32 v10, s9, v122
	v_add_u32_e32 v62, s9, v10
	v_add_u32_e32 v64, s9, v62
	v_add_u32_e32 v66, s9, v64
	v_add_u32_e32 v68, s9, v66
	v_add_u32_e32 v70, s9, v68
	v_add_u32_e32 v72, s9, v70
	v_add_u32_e32 v74, s9, v72
	v_add_u32_e32 v76, s9, v74
	v_add_u32_e32 v78, s9, v76
	v_add_u32_e32 v80, s9, v78
	v_add_u32_e32 v82, s9, v80
	v_add_u32_e32 v84, s9, v82
	v_add_u32_e32 v86, s9, v84
	v_add_u32_e32 v88, s9, v86
	v_ashrrev_i32_e32 v63, 31, v62
	v_ashrrev_i32_e32 v65, 31, v64
	v_ashrrev_i32_e32 v67, 31, v66
	v_ashrrev_i32_e32 v69, 31, v68
	v_ashrrev_i32_e32 v71, 31, v70
	v_ashrrev_i32_e32 v73, 31, v72
	v_ashrrev_i32_e32 v75, 31, v74
	v_ashrrev_i32_e32 v77, 31, v76
	v_ashrrev_i32_e32 v79, 31, v78
	v_ashrrev_i32_e32 v81, 31, v80
	v_ashrrev_i32_e32 v83, 31, v82
	v_ashrrev_i32_e32 v85, 31, v84
	v_ashrrev_i32_e32 v87, 31, v86
	v_ashrrev_i32_e32 v89, 31, v88
	v_ashrrev_i32_e32 v11, 31, v10
	v_lshl_add_u64 v[60:61], v[62:63], 4, s[0:1]
	v_lshl_add_u64 v[62:63], v[64:65], 4, s[0:1]
	;; [unrolled: 1-line block ×14, first 2 shown]
	v_add_u32_e32 v88, s9, v88
	v_lshl_add_u64 v[58:59], v[10:11], 4, s[0:1]
	v_ashrrev_i32_e32 v89, 31, v88
	global_load_dwordx4 v[2:5], v[52:53], off
	global_load_dwordx4 v[6:9], v[54:55], off
	;; [unrolled: 1-line block ×16, first 2 shown]
	v_lshl_add_u64 v[88:89], v[88:89], 4, s[0:1]
	global_load_dwordx4 v[154:157], v[86:87], off
	global_load_dwordx4 v[158:161], v[88:89], off
	s_waitcnt vmcnt(36)
	scratch_store_dwordx4 off, v[110:113], off offset:256
	s_waitcnt vmcnt(36)
	scratch_store_dwordx4 off, v[114:117], off offset:272
	;; [unrolled: 2-line block ×21, first 2 shown]
	s_cbranch_scc1 .LBB100_7
; %bb.2:
	scratch_load_dwordx4 v[6:9], v56, off
                                        ; implicit-def: $vgpr10_vgpr11
	s_waitcnt vmcnt(0)
	v_xor_b32_e32 v3, 0x80000000, v7
	v_cmp_gt_f64_e32 vcc, 0, v[6:7]
	v_xor_b32_e32 v4, 0x80000000, v9
	v_mov_b32_e32 v2, v6
	v_cndmask_b32_e32 v3, v7, v3, vcc
	v_cmp_gt_f64_e32 vcc, 0, v[8:9]
	s_nop 1
	v_cndmask_b32_e32 v5, v9, v4, vcc
	v_mov_b32_e32 v4, v8
	v_cmp_ngt_f64_e32 vcc, v[2:3], v[4:5]
                                        ; implicit-def: $vgpr2_vgpr3
	s_and_saveexec_b64 s[0:1], vcc
	s_xor_b64 s[0:1], exec, s[0:1]
	s_cbranch_execz .LBB100_4
; %bb.3:
	v_div_scale_f64 v[2:3], s[2:3], v[8:9], v[8:9], v[6:7]
	v_rcp_f64_e32 v[4:5], v[2:3]
	v_div_scale_f64 v[10:11], vcc, v[6:7], v[8:9], v[6:7]
	v_fma_f64 v[12:13], -v[2:3], v[4:5], 1.0
	v_fmac_f64_e32 v[4:5], v[4:5], v[12:13]
	v_fma_f64 v[12:13], -v[2:3], v[4:5], 1.0
	v_fmac_f64_e32 v[4:5], v[4:5], v[12:13]
	v_mul_f64 v[12:13], v[10:11], v[4:5]
	v_fma_f64 v[2:3], -v[2:3], v[12:13], v[10:11]
	v_div_fmas_f64 v[2:3], v[2:3], v[4:5], v[12:13]
	v_div_fixup_f64 v[2:3], v[2:3], v[8:9], v[6:7]
	v_fmac_f64_e32 v[8:9], v[6:7], v[2:3]
	v_div_scale_f64 v[4:5], s[2:3], v[8:9], v[8:9], 1.0
	v_rcp_f64_e32 v[6:7], v[4:5]
	s_nop 0
	v_fma_f64 v[10:11], -v[4:5], v[6:7], 1.0
	v_fmac_f64_e32 v[6:7], v[6:7], v[10:11]
	v_fma_f64 v[10:11], -v[4:5], v[6:7], 1.0
	v_fmac_f64_e32 v[6:7], v[6:7], v[10:11]
	v_div_scale_f64 v[10:11], vcc, 1.0, v[8:9], 1.0
	v_mul_f64 v[12:13], v[10:11], v[6:7]
	v_fma_f64 v[4:5], -v[4:5], v[12:13], v[10:11]
	s_nop 1
	v_div_fmas_f64 v[4:5], v[4:5], v[6:7], v[12:13]
	v_div_fixup_f64 v[4:5], v[4:5], v[8:9], 1.0
	v_mul_f64 v[2:3], v[2:3], v[4:5]
	v_xor_b32_e32 v5, 0x80000000, v5
	v_xor_b32_e32 v11, 0x80000000, v3
	v_mov_b32_e32 v10, v2
                                        ; implicit-def: $vgpr6_vgpr7
.LBB100_4:
	s_or_saveexec_b64 s[0:1], s[0:1]
	v_add_u32_e32 v12, 0, v56
	s_xor_b64 exec, exec, s[0:1]
	s_cbranch_execz .LBB100_6
; %bb.5:
	v_div_scale_f64 v[2:3], s[2:3], v[6:7], v[6:7], v[8:9]
	v_rcp_f64_e32 v[4:5], v[2:3]
	v_div_scale_f64 v[10:11], vcc, v[8:9], v[6:7], v[8:9]
	v_fma_f64 v[90:91], -v[2:3], v[4:5], 1.0
	v_fmac_f64_e32 v[4:5], v[4:5], v[90:91]
	v_fma_f64 v[90:91], -v[2:3], v[4:5], 1.0
	v_fmac_f64_e32 v[4:5], v[4:5], v[90:91]
	v_mul_f64 v[90:91], v[10:11], v[4:5]
	v_fma_f64 v[2:3], -v[2:3], v[90:91], v[10:11]
	v_div_fmas_f64 v[2:3], v[2:3], v[4:5], v[90:91]
	v_div_fixup_f64 v[4:5], v[2:3], v[6:7], v[8:9]
	v_fmac_f64_e32 v[6:7], v[8:9], v[4:5]
	v_div_scale_f64 v[2:3], s[2:3], v[6:7], v[6:7], 1.0
	v_rcp_f64_e32 v[8:9], v[2:3]
	s_nop 0
	v_fma_f64 v[10:11], -v[2:3], v[8:9], 1.0
	v_fmac_f64_e32 v[8:9], v[8:9], v[10:11]
	v_fma_f64 v[10:11], -v[2:3], v[8:9], 1.0
	v_fmac_f64_e32 v[8:9], v[8:9], v[10:11]
	v_div_scale_f64 v[10:11], vcc, 1.0, v[6:7], 1.0
	v_mul_f64 v[90:91], v[10:11], v[8:9]
	v_fma_f64 v[2:3], -v[2:3], v[90:91], v[10:11]
	s_nop 1
	v_div_fmas_f64 v[2:3], v[2:3], v[8:9], v[90:91]
	v_div_fixup_f64 v[2:3], v[2:3], v[6:7], 1.0
	v_xor_b32_e32 v11, 0x80000000, v3
	v_mov_b32_e32 v10, v2
	v_mul_f64 v[4:5], v[4:5], -v[2:3]
.LBB100_6:
	s_or_b64 exec, exec, s[0:1]
	scratch_store_dwordx4 v12, v[2:5], off
	s_nop 1
	v_xor_b32_e32 v5, 0x80000000, v5
	s_branch .LBB100_8
.LBB100_7:
	v_mov_b64_e32 v[4:5], 0
	v_mov_b64_e32 v[10:11], -1.0
.LBB100_8:
	v_mov_b32_e32 v12, v4
	v_mov_b32_e32 v13, v5
	v_add_u32_e32 v118, 16, v1
	v_add_u32_e32 v120, 32, v1
	;; [unrolled: 1-line block ×36, first 2 shown]
	ds_write_b128 v56, v[10:13]
	s_cmpk_eq_i32 s4, 0x79
	v_add_u32_e32 v11, 0x250, v56
	v_add_u32_e32 v10, 0, v56
	s_cbranch_scc1 .LBB100_292
; %bb.9:
	scratch_load_dwordx4 v[2:5], v8, off
	v_cmp_eq_u32_e64 s[0:1], 36, v0
	s_waitcnt vmcnt(0)
	ds_write_b128 v11, v[2:5]
	s_waitcnt lgkmcnt(0)
	; wave barrier
	s_waitcnt lgkmcnt(0)
	s_and_saveexec_b64 s[2:3], s[0:1]
	s_cbranch_execz .LBB100_13
; %bb.10:
	ds_read_b128 v[2:5], v11
	s_andn2_b64 vcc, exec, s[6:7]
	s_cbranch_vccnz .LBB100_12
; %bb.11:
	scratch_load_dwordx4 v[122:125], v10, off
	s_waitcnt vmcnt(0) lgkmcnt(0)
	v_mul_f64 v[12:13], v[2:3], v[124:125]
	v_mul_f64 v[6:7], v[4:5], v[124:125]
	v_fmac_f64_e32 v[12:13], v[4:5], v[122:123]
	v_fma_f64 v[2:3], v[2:3], v[122:123], -v[6:7]
	v_mov_b64_e32 v[4:5], v[12:13]
.LBB100_12:
	v_mov_b32_e32 v6, 0
	ds_read_b128 v[122:125], v6 offset:560
	s_waitcnt lgkmcnt(0)
	v_mul_f64 v[6:7], v[4:5], v[124:125]
	v_mul_f64 v[126:127], v[2:3], v[124:125]
	v_fma_f64 v[124:125], v[2:3], v[122:123], -v[6:7]
	v_fmac_f64_e32 v[126:127], v[4:5], v[122:123]
	scratch_store_dwordx4 off, v[124:127], off offset:560
.LBB100_13:
	s_or_b64 exec, exec, s[2:3]
	scratch_load_dwordx4 v[2:5], v9, off
	v_cmp_lt_u32_e64 s[2:3], 34, v0
	s_waitcnt vmcnt(0)
	ds_write_b128 v11, v[2:5]
	s_waitcnt lgkmcnt(0)
	; wave barrier
	s_waitcnt lgkmcnt(0)
	s_and_saveexec_b64 s[4:5], s[2:3]
	s_cbranch_execz .LBB100_19
; %bb.14:
	ds_read_b128 v[2:5], v11
	s_andn2_b64 vcc, exec, s[6:7]
	s_cbranch_vccnz .LBB100_16
; %bb.15:
	scratch_load_dwordx4 v[122:125], v10, off
	s_waitcnt vmcnt(0) lgkmcnt(0)
	v_mul_f64 v[12:13], v[2:3], v[124:125]
	v_mul_f64 v[6:7], v[4:5], v[124:125]
	v_fmac_f64_e32 v[12:13], v[4:5], v[122:123]
	v_fma_f64 v[2:3], v[2:3], v[122:123], -v[6:7]
	v_mov_b64_e32 v[4:5], v[12:13]
.LBB100_16:
	s_and_saveexec_b64 s[8:9], s[0:1]
	s_cbranch_execz .LBB100_18
; %bb.17:
	scratch_load_dwordx4 v[122:125], off, off offset:560
	v_mov_b32_e32 v6, 0
	ds_read_b128 v[126:129], v6 offset:1152
	s_waitcnt vmcnt(0) lgkmcnt(0)
	v_mul_f64 v[6:7], v[126:127], v[124:125]
	v_mul_f64 v[12:13], v[128:129], v[124:125]
	v_fmac_f64_e32 v[6:7], v[128:129], v[122:123]
	v_fma_f64 v[12:13], v[126:127], v[122:123], -v[12:13]
	v_add_f64 v[4:5], v[4:5], v[6:7]
	v_add_f64 v[2:3], v[2:3], v[12:13]
.LBB100_18:
	s_or_b64 exec, exec, s[8:9]
	v_mov_b32_e32 v6, 0
	ds_read_b128 v[122:125], v6 offset:544
	s_waitcnt lgkmcnt(0)
	v_mul_f64 v[6:7], v[4:5], v[124:125]
	v_mul_f64 v[126:127], v[2:3], v[124:125]
	v_fma_f64 v[124:125], v[2:3], v[122:123], -v[6:7]
	v_fmac_f64_e32 v[126:127], v[4:5], v[122:123]
	scratch_store_dwordx4 off, v[124:127], off offset:544
.LBB100_19:
	s_or_b64 exec, exec, s[4:5]
	scratch_load_dwordx4 v[2:5], v57, off
	v_cmp_lt_u32_e64 s[0:1], 33, v0
	s_waitcnt vmcnt(0)
	ds_write_b128 v11, v[2:5]
	s_waitcnt lgkmcnt(0)
	; wave barrier
	s_waitcnt lgkmcnt(0)
	s_and_saveexec_b64 s[4:5], s[0:1]
	s_cbranch_execz .LBB100_27
; %bb.20:
	ds_read_b128 v[2:5], v11
	s_andn2_b64 vcc, exec, s[6:7]
	s_cbranch_vccnz .LBB100_22
; %bb.21:
	scratch_load_dwordx4 v[122:125], v10, off
	s_waitcnt vmcnt(0) lgkmcnt(0)
	v_mul_f64 v[12:13], v[2:3], v[124:125]
	v_mul_f64 v[6:7], v[4:5], v[124:125]
	v_fmac_f64_e32 v[12:13], v[4:5], v[122:123]
	v_fma_f64 v[2:3], v[2:3], v[122:123], -v[6:7]
	v_mov_b64_e32 v[4:5], v[12:13]
.LBB100_22:
	s_and_saveexec_b64 s[8:9], s[2:3]
	s_cbranch_execz .LBB100_26
; %bb.23:
	v_mov_b32_e32 v7, 0
	v_subrev_u32_e32 v6, 34, v0
	v_add_u32_e32 v7, 0x228, v7
	s_movk_i32 s10, 0x470
	s_mov_b64 s[2:3], 0
.LBB100_24:                             ; =>This Inner Loop Header: Depth=1
	v_add_u32_e32 v12, -8, v7
	scratch_load_dwordx4 v[122:125], v12, off
	v_mov_b32_e32 v12, s10
	ds_read_b128 v[126:129], v12
	v_add_u32_e32 v6, -1, v6
	s_add_i32 s10, s10, 16
	v_cmp_eq_u32_e32 vcc, 0, v6
	v_add_u32_e32 v7, 16, v7
	s_or_b64 s[2:3], vcc, s[2:3]
	s_waitcnt vmcnt(0) lgkmcnt(0)
	v_mul_f64 v[12:13], v[128:129], v[124:125]
	v_mul_f64 v[124:125], v[126:127], v[124:125]
	v_fma_f64 v[12:13], v[126:127], v[122:123], -v[12:13]
	v_fmac_f64_e32 v[124:125], v[128:129], v[122:123]
	v_add_f64 v[2:3], v[2:3], v[12:13]
	v_add_f64 v[4:5], v[4:5], v[124:125]
	s_andn2_b64 exec, exec, s[2:3]
	s_cbranch_execnz .LBB100_24
; %bb.25:
	s_or_b64 exec, exec, s[2:3]
.LBB100_26:
	s_or_b64 exec, exec, s[8:9]
	v_mov_b32_e32 v6, 0
	ds_read_b128 v[122:125], v6 offset:528
	s_waitcnt lgkmcnt(0)
	v_mul_f64 v[6:7], v[4:5], v[124:125]
	v_mul_f64 v[126:127], v[2:3], v[124:125]
	v_fma_f64 v[124:125], v[2:3], v[122:123], -v[6:7]
	v_fmac_f64_e32 v[126:127], v[4:5], v[122:123]
	scratch_store_dwordx4 off, v[124:127], off offset:528
.LBB100_27:
	s_or_b64 exec, exec, s[4:5]
	scratch_load_dwordx4 v[2:5], v90, off
	v_cmp_lt_u32_e64 s[2:3], 32, v0
	s_waitcnt vmcnt(0)
	ds_write_b128 v11, v[2:5]
	s_waitcnt lgkmcnt(0)
	; wave barrier
	s_waitcnt lgkmcnt(0)
	s_and_saveexec_b64 s[4:5], s[2:3]
	s_cbranch_execz .LBB100_35
; %bb.28:
	ds_read_b128 v[2:5], v11
	s_andn2_b64 vcc, exec, s[6:7]
	s_cbranch_vccnz .LBB100_30
; %bb.29:
	scratch_load_dwordx4 v[122:125], v10, off
	s_waitcnt vmcnt(0) lgkmcnt(0)
	v_mul_f64 v[12:13], v[2:3], v[124:125]
	v_mul_f64 v[6:7], v[4:5], v[124:125]
	v_fmac_f64_e32 v[12:13], v[4:5], v[122:123]
	v_fma_f64 v[2:3], v[2:3], v[122:123], -v[6:7]
	v_mov_b64_e32 v[4:5], v[12:13]
.LBB100_30:
	s_and_saveexec_b64 s[8:9], s[0:1]
	s_cbranch_execz .LBB100_34
; %bb.31:
	v_mov_b32_e32 v7, 0
	v_subrev_u32_e32 v6, 33, v0
	v_add_u32_e32 v7, 0x218, v7
	s_movk_i32 s10, 0x460
	s_mov_b64 s[0:1], 0
.LBB100_32:                             ; =>This Inner Loop Header: Depth=1
	v_add_u32_e32 v12, -8, v7
	scratch_load_dwordx4 v[122:125], v12, off
	v_mov_b32_e32 v12, s10
	ds_read_b128 v[126:129], v12
	v_add_u32_e32 v6, -1, v6
	s_add_i32 s10, s10, 16
	v_cmp_eq_u32_e32 vcc, 0, v6
	v_add_u32_e32 v7, 16, v7
	s_or_b64 s[0:1], vcc, s[0:1]
	s_waitcnt vmcnt(0) lgkmcnt(0)
	v_mul_f64 v[12:13], v[128:129], v[124:125]
	v_mul_f64 v[124:125], v[126:127], v[124:125]
	v_fma_f64 v[12:13], v[126:127], v[122:123], -v[12:13]
	v_fmac_f64_e32 v[124:125], v[128:129], v[122:123]
	v_add_f64 v[2:3], v[2:3], v[12:13]
	v_add_f64 v[4:5], v[4:5], v[124:125]
	s_andn2_b64 exec, exec, s[0:1]
	s_cbranch_execnz .LBB100_32
; %bb.33:
	s_or_b64 exec, exec, s[0:1]
.LBB100_34:
	s_or_b64 exec, exec, s[8:9]
	v_mov_b32_e32 v6, 0
	ds_read_b128 v[122:125], v6 offset:512
	s_waitcnt lgkmcnt(0)
	v_mul_f64 v[6:7], v[4:5], v[124:125]
	v_mul_f64 v[126:127], v[2:3], v[124:125]
	v_fma_f64 v[124:125], v[2:3], v[122:123], -v[6:7]
	v_fmac_f64_e32 v[126:127], v[4:5], v[122:123]
	scratch_store_dwordx4 off, v[124:127], off offset:512
.LBB100_35:
	;; [unrolled: 63-line block ×10, first 2 shown]
	s_or_b64 exec, exec, s[4:5]
	scratch_load_dwordx4 v[2:5], v99, off
	v_cmp_lt_u32_e64 s[0:1], 23, v0
	s_waitcnt vmcnt(0)
	ds_write_b128 v11, v[2:5]
	s_waitcnt lgkmcnt(0)
	; wave barrier
	s_waitcnt lgkmcnt(0)
	s_and_saveexec_b64 s[4:5], s[0:1]
	s_cbranch_execz .LBB100_107
; %bb.100:
	ds_read_b128 v[2:5], v11
	s_andn2_b64 vcc, exec, s[6:7]
	s_cbranch_vccnz .LBB100_102
; %bb.101:
	scratch_load_dwordx4 v[122:125], v10, off
	s_waitcnt vmcnt(0) lgkmcnt(0)
	v_mul_f64 v[12:13], v[2:3], v[124:125]
	v_mul_f64 v[6:7], v[4:5], v[124:125]
	v_fmac_f64_e32 v[12:13], v[4:5], v[122:123]
	v_fma_f64 v[2:3], v[2:3], v[122:123], -v[6:7]
	v_mov_b64_e32 v[4:5], v[12:13]
.LBB100_102:
	s_and_saveexec_b64 s[8:9], s[2:3]
	s_cbranch_execz .LBB100_106
; %bb.103:
	v_mov_b32_e32 v7, 0
	v_subrev_u32_e32 v6, 24, v0
	v_add_u32_e32 v7, 0x188, v7
	s_movk_i32 s10, 0x3d0
	s_mov_b64 s[2:3], 0
.LBB100_104:                            ; =>This Inner Loop Header: Depth=1
	v_add_u32_e32 v12, -8, v7
	scratch_load_dwordx4 v[122:125], v12, off
	v_mov_b32_e32 v12, s10
	ds_read_b128 v[126:129], v12
	v_add_u32_e32 v6, -1, v6
	s_add_i32 s10, s10, 16
	v_cmp_eq_u32_e32 vcc, 0, v6
	v_add_u32_e32 v7, 16, v7
	s_or_b64 s[2:3], vcc, s[2:3]
	s_waitcnt vmcnt(0) lgkmcnt(0)
	v_mul_f64 v[12:13], v[128:129], v[124:125]
	v_mul_f64 v[124:125], v[126:127], v[124:125]
	v_fma_f64 v[12:13], v[126:127], v[122:123], -v[12:13]
	v_fmac_f64_e32 v[124:125], v[128:129], v[122:123]
	v_add_f64 v[2:3], v[2:3], v[12:13]
	v_add_f64 v[4:5], v[4:5], v[124:125]
	s_andn2_b64 exec, exec, s[2:3]
	s_cbranch_execnz .LBB100_104
; %bb.105:
	s_or_b64 exec, exec, s[2:3]
.LBB100_106:
	s_or_b64 exec, exec, s[8:9]
	v_mov_b32_e32 v6, 0
	ds_read_b128 v[122:125], v6 offset:368
	s_waitcnt lgkmcnt(0)
	v_mul_f64 v[6:7], v[4:5], v[124:125]
	v_mul_f64 v[126:127], v[2:3], v[124:125]
	v_fma_f64 v[124:125], v[2:3], v[122:123], -v[6:7]
	v_fmac_f64_e32 v[126:127], v[4:5], v[122:123]
	scratch_store_dwordx4 off, v[124:127], off offset:368
.LBB100_107:
	s_or_b64 exec, exec, s[4:5]
	scratch_load_dwordx4 v[2:5], v100, off
	v_cmp_lt_u32_e64 s[2:3], 22, v0
	s_waitcnt vmcnt(0)
	ds_write_b128 v11, v[2:5]
	s_waitcnt lgkmcnt(0)
	; wave barrier
	s_waitcnt lgkmcnt(0)
	s_and_saveexec_b64 s[4:5], s[2:3]
	s_cbranch_execz .LBB100_115
; %bb.108:
	ds_read_b128 v[2:5], v11
	s_andn2_b64 vcc, exec, s[6:7]
	s_cbranch_vccnz .LBB100_110
; %bb.109:
	scratch_load_dwordx4 v[122:125], v10, off
	s_waitcnt vmcnt(0) lgkmcnt(0)
	v_mul_f64 v[12:13], v[2:3], v[124:125]
	v_mul_f64 v[6:7], v[4:5], v[124:125]
	v_fmac_f64_e32 v[12:13], v[4:5], v[122:123]
	v_fma_f64 v[2:3], v[2:3], v[122:123], -v[6:7]
	v_mov_b64_e32 v[4:5], v[12:13]
.LBB100_110:
	s_and_saveexec_b64 s[8:9], s[0:1]
	s_cbranch_execz .LBB100_114
; %bb.111:
	v_mov_b32_e32 v7, 0
	v_subrev_u32_e32 v6, 23, v0
	v_add_u32_e32 v7, 0x178, v7
	s_movk_i32 s10, 0x3c0
	s_mov_b64 s[0:1], 0
.LBB100_112:                            ; =>This Inner Loop Header: Depth=1
	v_add_u32_e32 v12, -8, v7
	scratch_load_dwordx4 v[122:125], v12, off
	v_mov_b32_e32 v12, s10
	ds_read_b128 v[126:129], v12
	v_add_u32_e32 v6, -1, v6
	s_add_i32 s10, s10, 16
	v_cmp_eq_u32_e32 vcc, 0, v6
	v_add_u32_e32 v7, 16, v7
	s_or_b64 s[0:1], vcc, s[0:1]
	s_waitcnt vmcnt(0) lgkmcnt(0)
	v_mul_f64 v[12:13], v[128:129], v[124:125]
	v_mul_f64 v[124:125], v[126:127], v[124:125]
	v_fma_f64 v[12:13], v[126:127], v[122:123], -v[12:13]
	v_fmac_f64_e32 v[124:125], v[128:129], v[122:123]
	v_add_f64 v[2:3], v[2:3], v[12:13]
	v_add_f64 v[4:5], v[4:5], v[124:125]
	s_andn2_b64 exec, exec, s[0:1]
	s_cbranch_execnz .LBB100_112
; %bb.113:
	s_or_b64 exec, exec, s[0:1]
.LBB100_114:
	s_or_b64 exec, exec, s[8:9]
	v_mov_b32_e32 v6, 0
	ds_read_b128 v[122:125], v6 offset:352
	s_waitcnt lgkmcnt(0)
	v_mul_f64 v[6:7], v[4:5], v[124:125]
	v_mul_f64 v[126:127], v[2:3], v[124:125]
	v_fma_f64 v[124:125], v[2:3], v[122:123], -v[6:7]
	v_fmac_f64_e32 v[126:127], v[4:5], v[122:123]
	scratch_store_dwordx4 off, v[124:127], off offset:352
.LBB100_115:
	;; [unrolled: 63-line block ×8, first 2 shown]
	s_or_b64 exec, exec, s[4:5]
	scratch_load_dwordx4 v[2:5], v107, off
	v_cmp_lt_u32_e64 s[0:1], 15, v0
	s_waitcnt vmcnt(0)
	ds_write_b128 v11, v[2:5]
	s_waitcnt lgkmcnt(0)
	; wave barrier
	s_waitcnt lgkmcnt(0)
	s_and_saveexec_b64 s[4:5], s[0:1]
	s_cbranch_execz .LBB100_171
; %bb.164:
	ds_read_b128 v[2:5], v11
	s_andn2_b64 vcc, exec, s[6:7]
	s_cbranch_vccnz .LBB100_166
; %bb.165:
	scratch_load_dwordx4 v[122:125], v10, off
	s_waitcnt vmcnt(0) lgkmcnt(0)
	v_mul_f64 v[12:13], v[2:3], v[124:125]
	v_mul_f64 v[6:7], v[4:5], v[124:125]
	v_fmac_f64_e32 v[12:13], v[4:5], v[122:123]
	v_fma_f64 v[2:3], v[2:3], v[122:123], -v[6:7]
	v_mov_b64_e32 v[4:5], v[12:13]
.LBB100_166:
	s_and_saveexec_b64 s[8:9], s[2:3]
	s_cbranch_execz .LBB100_170
; %bb.167:
	v_mov_b32_e32 v7, 0
	v_add_u32_e32 v6, -16, v0
	v_add_u32_e32 v7, 0x108, v7
	s_movk_i32 s10, 0x350
	s_mov_b64 s[2:3], 0
.LBB100_168:                            ; =>This Inner Loop Header: Depth=1
	v_add_u32_e32 v12, -8, v7
	scratch_load_dwordx4 v[122:125], v12, off
	v_mov_b32_e32 v12, s10
	ds_read_b128 v[126:129], v12
	v_add_u32_e32 v6, -1, v6
	s_add_i32 s10, s10, 16
	v_cmp_eq_u32_e32 vcc, 0, v6
	v_add_u32_e32 v7, 16, v7
	s_or_b64 s[2:3], vcc, s[2:3]
	s_waitcnt vmcnt(0) lgkmcnt(0)
	v_mul_f64 v[12:13], v[128:129], v[124:125]
	v_mul_f64 v[124:125], v[126:127], v[124:125]
	v_fma_f64 v[12:13], v[126:127], v[122:123], -v[12:13]
	v_fmac_f64_e32 v[124:125], v[128:129], v[122:123]
	v_add_f64 v[2:3], v[2:3], v[12:13]
	v_add_f64 v[4:5], v[4:5], v[124:125]
	s_andn2_b64 exec, exec, s[2:3]
	s_cbranch_execnz .LBB100_168
; %bb.169:
	s_or_b64 exec, exec, s[2:3]
.LBB100_170:
	s_or_b64 exec, exec, s[8:9]
	v_mov_b32_e32 v6, 0
	ds_read_b128 v[122:125], v6 offset:240
	s_waitcnt lgkmcnt(0)
	v_mul_f64 v[6:7], v[4:5], v[124:125]
	v_mul_f64 v[126:127], v[2:3], v[124:125]
	v_fma_f64 v[124:125], v[2:3], v[122:123], -v[6:7]
	v_fmac_f64_e32 v[126:127], v[4:5], v[122:123]
	scratch_store_dwordx4 off, v[124:127], off offset:240
.LBB100_171:
	s_or_b64 exec, exec, s[4:5]
	scratch_load_dwordx4 v[2:5], v108, off
	v_cmp_lt_u32_e64 s[2:3], 14, v0
	s_waitcnt vmcnt(0)
	ds_write_b128 v11, v[2:5]
	s_waitcnt lgkmcnt(0)
	; wave barrier
	s_waitcnt lgkmcnt(0)
	s_and_saveexec_b64 s[4:5], s[2:3]
	s_cbranch_execz .LBB100_179
; %bb.172:
	ds_read_b128 v[2:5], v11
	s_andn2_b64 vcc, exec, s[6:7]
	s_cbranch_vccnz .LBB100_174
; %bb.173:
	scratch_load_dwordx4 v[122:125], v10, off
	s_waitcnt vmcnt(0) lgkmcnt(0)
	v_mul_f64 v[12:13], v[2:3], v[124:125]
	v_mul_f64 v[6:7], v[4:5], v[124:125]
	v_fmac_f64_e32 v[12:13], v[4:5], v[122:123]
	v_fma_f64 v[2:3], v[2:3], v[122:123], -v[6:7]
	v_mov_b64_e32 v[4:5], v[12:13]
.LBB100_174:
	s_and_saveexec_b64 s[8:9], s[0:1]
	s_cbranch_execz .LBB100_178
; %bb.175:
	v_mov_b32_e32 v7, 0
	v_add_u32_e32 v6, -15, v0
	v_add_u32_e32 v7, 0xf8, v7
	s_movk_i32 s10, 0x340
	s_mov_b64 s[0:1], 0
.LBB100_176:                            ; =>This Inner Loop Header: Depth=1
	v_add_u32_e32 v12, -8, v7
	scratch_load_dwordx4 v[122:125], v12, off
	v_mov_b32_e32 v12, s10
	ds_read_b128 v[126:129], v12
	v_add_u32_e32 v6, -1, v6
	s_add_i32 s10, s10, 16
	v_cmp_eq_u32_e32 vcc, 0, v6
	v_add_u32_e32 v7, 16, v7
	s_or_b64 s[0:1], vcc, s[0:1]
	s_waitcnt vmcnt(0) lgkmcnt(0)
	v_mul_f64 v[12:13], v[128:129], v[124:125]
	v_mul_f64 v[124:125], v[126:127], v[124:125]
	v_fma_f64 v[12:13], v[126:127], v[122:123], -v[12:13]
	v_fmac_f64_e32 v[124:125], v[128:129], v[122:123]
	v_add_f64 v[2:3], v[2:3], v[12:13]
	v_add_f64 v[4:5], v[4:5], v[124:125]
	s_andn2_b64 exec, exec, s[0:1]
	s_cbranch_execnz .LBB100_176
; %bb.177:
	s_or_b64 exec, exec, s[0:1]
.LBB100_178:
	s_or_b64 exec, exec, s[8:9]
	v_mov_b32_e32 v6, 0
	ds_read_b128 v[122:125], v6 offset:224
	s_waitcnt lgkmcnt(0)
	v_mul_f64 v[6:7], v[4:5], v[124:125]
	v_mul_f64 v[126:127], v[2:3], v[124:125]
	v_fma_f64 v[124:125], v[2:3], v[122:123], -v[6:7]
	v_fmac_f64_e32 v[126:127], v[4:5], v[122:123]
	scratch_store_dwordx4 off, v[124:127], off offset:224
.LBB100_179:
	;; [unrolled: 63-line block ×15, first 2 shown]
	s_or_b64 exec, exec, s[4:5]
	scratch_load_dwordx4 v[2:5], off, off
	v_cmp_ne_u32_e32 vcc, 0, v0
	s_mov_b64 s[2:3], 0
	s_mov_b64 s[4:5], 0
                                        ; implicit-def: $vgpr6_vgpr7
                                        ; implicit-def: $vgpr12
	s_waitcnt vmcnt(0)
	ds_write_b128 v11, v[2:5]
	s_waitcnt lgkmcnt(0)
	; wave barrier
	s_waitcnt lgkmcnt(0)
	s_and_saveexec_b64 s[8:9], vcc
	s_cbranch_execz .LBB100_291
; %bb.284:
	ds_read_b128 v[2:5], v11
	s_andn2_b64 vcc, exec, s[6:7]
	s_cbranch_vccnz .LBB100_286
; %bb.285:
	scratch_load_dwordx4 v[122:125], v10, off
	s_waitcnt vmcnt(0) lgkmcnt(0)
	v_mul_f64 v[12:13], v[2:3], v[124:125]
	v_mul_f64 v[6:7], v[4:5], v[124:125]
	v_fmac_f64_e32 v[12:13], v[4:5], v[122:123]
	v_fma_f64 v[2:3], v[2:3], v[122:123], -v[6:7]
	v_mov_b64_e32 v[4:5], v[12:13]
.LBB100_286:
	s_and_saveexec_b64 s[4:5], s[0:1]
	s_cbranch_execz .LBB100_290
; %bb.287:
	v_mov_b32_e32 v7, 0
	v_add_u32_e32 v6, -1, v0
	v_add_u32_e32 v7, 24, v7
	s_movk_i32 s10, 0x260
	s_mov_b64 s[0:1], 0
.LBB100_288:                            ; =>This Inner Loop Header: Depth=1
	v_add_u32_e32 v12, -8, v7
	scratch_load_dwordx4 v[122:125], v12, off
	v_mov_b32_e32 v12, s10
	ds_read_b128 v[126:129], v12
	v_add_u32_e32 v6, -1, v6
	s_add_i32 s10, s10, 16
	v_cmp_eq_u32_e32 vcc, 0, v6
	v_add_u32_e32 v7, 16, v7
	s_or_b64 s[0:1], vcc, s[0:1]
	s_waitcnt vmcnt(0) lgkmcnt(0)
	v_mul_f64 v[12:13], v[128:129], v[124:125]
	v_mul_f64 v[124:125], v[126:127], v[124:125]
	v_fma_f64 v[12:13], v[126:127], v[122:123], -v[12:13]
	v_fmac_f64_e32 v[124:125], v[128:129], v[122:123]
	v_add_f64 v[2:3], v[2:3], v[12:13]
	v_add_f64 v[4:5], v[4:5], v[124:125]
	s_andn2_b64 exec, exec, s[0:1]
	s_cbranch_execnz .LBB100_288
; %bb.289:
	s_or_b64 exec, exec, s[0:1]
.LBB100_290:
	s_or_b64 exec, exec, s[4:5]
	v_mov_b32_e32 v6, 0
	ds_read_b128 v[122:125], v6
	v_mov_b32_e32 v6, 0
	v_or_b32_e32 v12, 8, v6
	s_mov_b64 s[4:5], exec
	s_waitcnt lgkmcnt(0)
	v_mul_f64 v[126:127], v[4:5], v[124:125]
	v_mul_f64 v[6:7], v[2:3], v[124:125]
	v_fma_f64 v[2:3], v[2:3], v[122:123], -v[126:127]
	v_fmac_f64_e32 v[6:7], v[4:5], v[122:123]
	scratch_store_dwordx2 off, v[2:3], off
.LBB100_291:
	s_or_b64 exec, exec, s[8:9]
	s_and_b64 vcc, exec, s[2:3]
	s_cbranch_vccnz .LBB100_293
	s_branch .LBB100_576
.LBB100_292:
	s_mov_b64 s[4:5], 0
                                        ; implicit-def: $vgpr6_vgpr7
                                        ; implicit-def: $vgpr12
	s_cbranch_execz .LBB100_576
.LBB100_293:
	scratch_load_dwordx4 v[2:5], v118, off
	v_cndmask_b32_e64 v6, 0, 1, s[6:7]
	v_cmp_eq_u32_e64 s[2:3], 0, v0
	v_cmp_ne_u32_e64 s[0:1], 1, v6
	s_waitcnt vmcnt(0)
	ds_write_b128 v11, v[2:5]
	s_waitcnt lgkmcnt(0)
	; wave barrier
	s_waitcnt lgkmcnt(0)
	s_and_saveexec_b64 s[6:7], s[2:3]
	s_cbranch_execz .LBB100_297
; %bb.294:
	ds_read_b128 v[2:5], v11
	s_and_b64 vcc, exec, s[0:1]
	s_cbranch_vccnz .LBB100_296
; %bb.295:
	scratch_load_dwordx4 v[122:125], v10, off
	s_waitcnt vmcnt(0) lgkmcnt(0)
	v_mul_f64 v[12:13], v[2:3], v[124:125]
	v_mul_f64 v[6:7], v[4:5], v[124:125]
	v_fmac_f64_e32 v[12:13], v[4:5], v[122:123]
	v_fma_f64 v[2:3], v[2:3], v[122:123], -v[6:7]
	v_mov_b64_e32 v[4:5], v[12:13]
.LBB100_296:
	v_mov_b32_e32 v6, 0
	ds_read_b128 v[122:125], v6 offset:16
	s_waitcnt lgkmcnt(0)
	v_mul_f64 v[6:7], v[4:5], v[124:125]
	v_mul_f64 v[126:127], v[2:3], v[124:125]
	v_fma_f64 v[124:125], v[2:3], v[122:123], -v[6:7]
	v_fmac_f64_e32 v[126:127], v[4:5], v[122:123]
	scratch_store_dwordx4 off, v[124:127], off offset:16
.LBB100_297:
	s_or_b64 exec, exec, s[6:7]
	scratch_load_dwordx4 v[2:5], v120, off
	v_cmp_gt_u32_e32 vcc, 2, v0
	s_waitcnt vmcnt(0)
	ds_write_b128 v11, v[2:5]
	s_waitcnt lgkmcnt(0)
	; wave barrier
	s_waitcnt lgkmcnt(0)
	s_and_saveexec_b64 s[6:7], vcc
	s_cbranch_execz .LBB100_303
; %bb.298:
	ds_read_b128 v[2:5], v11
	s_and_b64 vcc, exec, s[0:1]
	s_cbranch_vccnz .LBB100_300
; %bb.299:
	scratch_load_dwordx4 v[122:125], v10, off
	s_waitcnt vmcnt(0) lgkmcnt(0)
	v_mul_f64 v[12:13], v[2:3], v[124:125]
	v_mul_f64 v[6:7], v[4:5], v[124:125]
	v_fmac_f64_e32 v[12:13], v[4:5], v[122:123]
	v_fma_f64 v[2:3], v[2:3], v[122:123], -v[6:7]
	v_mov_b64_e32 v[4:5], v[12:13]
.LBB100_300:
	s_and_saveexec_b64 s[8:9], s[2:3]
	s_cbranch_execz .LBB100_302
; %bb.301:
	scratch_load_dwordx4 v[122:125], v10, off offset:16
	ds_read_b128 v[126:129], v11 offset:16
	s_waitcnt vmcnt(0) lgkmcnt(0)
	v_mul_f64 v[6:7], v[128:129], v[124:125]
	v_mul_f64 v[12:13], v[126:127], v[124:125]
	v_fma_f64 v[6:7], v[126:127], v[122:123], -v[6:7]
	v_fmac_f64_e32 v[12:13], v[128:129], v[122:123]
	v_add_f64 v[2:3], v[2:3], v[6:7]
	v_add_f64 v[4:5], v[4:5], v[12:13]
.LBB100_302:
	s_or_b64 exec, exec, s[8:9]
	v_mov_b32_e32 v6, 0
	ds_read_b128 v[122:125], v6 offset:32
	s_waitcnt lgkmcnt(0)
	v_mul_f64 v[6:7], v[4:5], v[124:125]
	v_mul_f64 v[126:127], v[2:3], v[124:125]
	v_fma_f64 v[124:125], v[2:3], v[122:123], -v[6:7]
	v_fmac_f64_e32 v[126:127], v[4:5], v[122:123]
	scratch_store_dwordx4 off, v[124:127], off offset:32
.LBB100_303:
	s_or_b64 exec, exec, s[6:7]
	scratch_load_dwordx4 v[2:5], v121, off
	v_cmp_gt_u32_e32 vcc, 3, v0
	s_waitcnt vmcnt(0)
	ds_write_b128 v11, v[2:5]
	s_waitcnt lgkmcnt(0)
	; wave barrier
	s_waitcnt lgkmcnt(0)
	s_and_saveexec_b64 s[6:7], vcc
	s_cbranch_execz .LBB100_311
; %bb.304:
	ds_read_b128 v[2:5], v11
	s_and_b64 vcc, exec, s[0:1]
	s_cbranch_vccnz .LBB100_306
; %bb.305:
	scratch_load_dwordx4 v[122:125], v10, off
	s_waitcnt vmcnt(0) lgkmcnt(0)
	v_mul_f64 v[12:13], v[2:3], v[124:125]
	v_mul_f64 v[6:7], v[4:5], v[124:125]
	v_fmac_f64_e32 v[12:13], v[4:5], v[122:123]
	v_fma_f64 v[2:3], v[2:3], v[122:123], -v[6:7]
	v_mov_b64_e32 v[4:5], v[12:13]
.LBB100_306:
	v_cmp_ne_u32_e32 vcc, 2, v0
	s_and_saveexec_b64 s[8:9], vcc
	s_cbranch_execz .LBB100_310
; %bb.307:
	scratch_load_dwordx4 v[122:125], v10, off offset:16
	ds_read_b128 v[126:129], v11 offset:16
	s_waitcnt vmcnt(0) lgkmcnt(0)
	v_mul_f64 v[6:7], v[128:129], v[124:125]
	v_mul_f64 v[12:13], v[126:127], v[124:125]
	v_fma_f64 v[6:7], v[126:127], v[122:123], -v[6:7]
	v_fmac_f64_e32 v[12:13], v[128:129], v[122:123]
	v_add_f64 v[2:3], v[2:3], v[6:7]
	v_add_f64 v[4:5], v[4:5], v[12:13]
	s_and_saveexec_b64 s[10:11], s[2:3]
	s_cbranch_execz .LBB100_309
; %bb.308:
	scratch_load_dwordx4 v[122:125], off, off offset:32
	v_mov_b32_e32 v6, 0
	ds_read_b128 v[126:129], v6 offset:624
	s_waitcnt vmcnt(0) lgkmcnt(0)
	v_mul_f64 v[6:7], v[126:127], v[124:125]
	v_mul_f64 v[12:13], v[128:129], v[124:125]
	v_fmac_f64_e32 v[6:7], v[128:129], v[122:123]
	v_fma_f64 v[12:13], v[126:127], v[122:123], -v[12:13]
	v_add_f64 v[4:5], v[4:5], v[6:7]
	v_add_f64 v[2:3], v[2:3], v[12:13]
.LBB100_309:
	s_or_b64 exec, exec, s[10:11]
.LBB100_310:
	s_or_b64 exec, exec, s[8:9]
	v_mov_b32_e32 v6, 0
	ds_read_b128 v[122:125], v6 offset:48
	s_waitcnt lgkmcnt(0)
	v_mul_f64 v[6:7], v[4:5], v[124:125]
	v_mul_f64 v[126:127], v[2:3], v[124:125]
	v_fma_f64 v[124:125], v[2:3], v[122:123], -v[6:7]
	v_fmac_f64_e32 v[126:127], v[4:5], v[122:123]
	scratch_store_dwordx4 off, v[124:127], off offset:48
.LBB100_311:
	s_or_b64 exec, exec, s[6:7]
	scratch_load_dwordx4 v[2:5], v119, off
	v_cmp_gt_u32_e32 vcc, 4, v0
	s_waitcnt vmcnt(0)
	ds_write_b128 v11, v[2:5]
	s_waitcnt lgkmcnt(0)
	; wave barrier
	s_waitcnt lgkmcnt(0)
	s_and_saveexec_b64 s[2:3], vcc
	s_cbranch_execz .LBB100_319
; %bb.312:
	ds_read_b128 v[2:5], v11
	s_and_b64 vcc, exec, s[0:1]
	s_cbranch_vccnz .LBB100_314
; %bb.313:
	scratch_load_dwordx4 v[122:125], v10, off
	s_waitcnt vmcnt(0) lgkmcnt(0)
	v_mul_f64 v[12:13], v[2:3], v[124:125]
	v_mul_f64 v[6:7], v[4:5], v[124:125]
	v_fmac_f64_e32 v[12:13], v[4:5], v[122:123]
	v_fma_f64 v[2:3], v[2:3], v[122:123], -v[6:7]
	v_mov_b64_e32 v[4:5], v[12:13]
.LBB100_314:
	v_cmp_ne_u32_e32 vcc, 3, v0
	s_and_saveexec_b64 s[6:7], vcc
	s_cbranch_execz .LBB100_318
; %bb.315:
	v_mov_b32_e32 v7, 0
	v_add_u32_e32 v6, 0x260, v56
	v_add3_u32 v7, v56, v7, 24
	s_mov_b64 s[8:9], 0
	v_mov_b32_e32 v12, v0
.LBB100_316:                            ; =>This Inner Loop Header: Depth=1
	v_add_u32_e32 v13, -8, v7
	scratch_load_dwordx4 v[122:125], v13, off
	ds_read_b128 v[126:129], v6
	v_add_u32_e32 v12, 1, v12
	v_cmp_lt_u32_e32 vcc, 2, v12
	v_add_u32_e32 v6, 16, v6
	v_add_u32_e32 v7, 16, v7
	s_or_b64 s[8:9], vcc, s[8:9]
	s_waitcnt vmcnt(0) lgkmcnt(0)
	v_mul_f64 v[130:131], v[128:129], v[124:125]
	v_mul_f64 v[124:125], v[126:127], v[124:125]
	v_fma_f64 v[126:127], v[126:127], v[122:123], -v[130:131]
	v_fmac_f64_e32 v[124:125], v[128:129], v[122:123]
	v_add_f64 v[2:3], v[2:3], v[126:127]
	v_add_f64 v[4:5], v[4:5], v[124:125]
	s_andn2_b64 exec, exec, s[8:9]
	s_cbranch_execnz .LBB100_316
; %bb.317:
	s_or_b64 exec, exec, s[8:9]
.LBB100_318:
	s_or_b64 exec, exec, s[6:7]
	v_mov_b32_e32 v6, 0
	ds_read_b128 v[122:125], v6 offset:64
	s_waitcnt lgkmcnt(0)
	v_mul_f64 v[6:7], v[4:5], v[124:125]
	v_mul_f64 v[126:127], v[2:3], v[124:125]
	v_fma_f64 v[124:125], v[2:3], v[122:123], -v[6:7]
	v_fmac_f64_e32 v[126:127], v[4:5], v[122:123]
	scratch_store_dwordx4 off, v[124:127], off offset:64
.LBB100_319:
	s_or_b64 exec, exec, s[2:3]
	scratch_load_dwordx4 v[2:5], v117, off
	v_cmp_gt_u32_e32 vcc, 5, v0
	s_waitcnt vmcnt(0)
	ds_write_b128 v11, v[2:5]
	s_waitcnt lgkmcnt(0)
	; wave barrier
	s_waitcnt lgkmcnt(0)
	s_and_saveexec_b64 s[2:3], vcc
	s_cbranch_execz .LBB100_327
; %bb.320:
	ds_read_b128 v[2:5], v11
	s_and_b64 vcc, exec, s[0:1]
	s_cbranch_vccnz .LBB100_322
; %bb.321:
	scratch_load_dwordx4 v[122:125], v10, off
	s_waitcnt vmcnt(0) lgkmcnt(0)
	v_mul_f64 v[12:13], v[2:3], v[124:125]
	v_mul_f64 v[6:7], v[4:5], v[124:125]
	v_fmac_f64_e32 v[12:13], v[4:5], v[122:123]
	v_fma_f64 v[2:3], v[2:3], v[122:123], -v[6:7]
	v_mov_b64_e32 v[4:5], v[12:13]
.LBB100_322:
	v_cmp_ne_u32_e32 vcc, 4, v0
	s_and_saveexec_b64 s[6:7], vcc
	s_cbranch_execz .LBB100_326
; %bb.323:
	v_mov_b32_e32 v7, 0
	v_add_u32_e32 v6, 0x260, v56
	v_add3_u32 v7, v56, v7, 24
	s_mov_b64 s[8:9], 0
	v_mov_b32_e32 v12, v0
.LBB100_324:                            ; =>This Inner Loop Header: Depth=1
	v_add_u32_e32 v13, -8, v7
	scratch_load_dwordx4 v[122:125], v13, off
	ds_read_b128 v[126:129], v6
	v_add_u32_e32 v12, 1, v12
	v_cmp_lt_u32_e32 vcc, 3, v12
	v_add_u32_e32 v6, 16, v6
	v_add_u32_e32 v7, 16, v7
	s_or_b64 s[8:9], vcc, s[8:9]
	s_waitcnt vmcnt(0) lgkmcnt(0)
	v_mul_f64 v[130:131], v[128:129], v[124:125]
	v_mul_f64 v[124:125], v[126:127], v[124:125]
	v_fma_f64 v[126:127], v[126:127], v[122:123], -v[130:131]
	v_fmac_f64_e32 v[124:125], v[128:129], v[122:123]
	v_add_f64 v[2:3], v[2:3], v[126:127]
	v_add_f64 v[4:5], v[4:5], v[124:125]
	s_andn2_b64 exec, exec, s[8:9]
	s_cbranch_execnz .LBB100_324
; %bb.325:
	s_or_b64 exec, exec, s[8:9]
.LBB100_326:
	s_or_b64 exec, exec, s[6:7]
	v_mov_b32_e32 v6, 0
	ds_read_b128 v[122:125], v6 offset:80
	s_waitcnt lgkmcnt(0)
	v_mul_f64 v[6:7], v[4:5], v[124:125]
	v_mul_f64 v[126:127], v[2:3], v[124:125]
	v_fma_f64 v[124:125], v[2:3], v[122:123], -v[6:7]
	v_fmac_f64_e32 v[126:127], v[4:5], v[122:123]
	scratch_store_dwordx4 off, v[124:127], off offset:80
.LBB100_327:
	;; [unrolled: 63-line block ×31, first 2 shown]
	s_or_b64 exec, exec, s[2:3]
	scratch_load_dwordx4 v[2:5], v8, off
	v_cmp_gt_u32_e64 s[2:3], 35, v0
	s_waitcnt vmcnt(0)
	ds_write_b128 v11, v[2:5]
	s_waitcnt lgkmcnt(0)
	; wave barrier
	s_waitcnt lgkmcnt(0)
	s_and_saveexec_b64 s[6:7], s[2:3]
	s_cbranch_execz .LBB100_567
; %bb.560:
	ds_read_b128 v[2:5], v11
	s_and_b64 vcc, exec, s[0:1]
	s_cbranch_vccnz .LBB100_562
; %bb.561:
	scratch_load_dwordx4 v[122:125], v10, off
	s_waitcnt vmcnt(0) lgkmcnt(0)
	v_mul_f64 v[12:13], v[2:3], v[124:125]
	v_mul_f64 v[6:7], v[4:5], v[124:125]
	v_fmac_f64_e32 v[12:13], v[4:5], v[122:123]
	v_fma_f64 v[2:3], v[2:3], v[122:123], -v[6:7]
	v_mov_b64_e32 v[4:5], v[12:13]
.LBB100_562:
	v_cmp_ne_u32_e32 vcc, 34, v0
	s_and_saveexec_b64 s[8:9], vcc
	s_cbranch_execz .LBB100_566
; %bb.563:
	v_mov_b32_e32 v7, 0
	v_add_u32_e32 v6, 0x260, v56
	v_add3_u32 v7, v56, v7, 24
	s_mov_b64 s[10:11], 0
	v_mov_b32_e32 v12, v0
.LBB100_564:                            ; =>This Inner Loop Header: Depth=1
	v_add_u32_e32 v13, -8, v7
	scratch_load_dwordx4 v[122:125], v13, off
	ds_read_b128 v[126:129], v6
	v_add_u32_e32 v12, 1, v12
	v_cmp_lt_u32_e32 vcc, 33, v12
	v_add_u32_e32 v6, 16, v6
	v_add_u32_e32 v7, 16, v7
	s_or_b64 s[10:11], vcc, s[10:11]
	s_waitcnt vmcnt(0) lgkmcnt(0)
	v_mul_f64 v[130:131], v[128:129], v[124:125]
	v_mul_f64 v[124:125], v[126:127], v[124:125]
	v_fma_f64 v[126:127], v[126:127], v[122:123], -v[130:131]
	v_fmac_f64_e32 v[124:125], v[128:129], v[122:123]
	v_add_f64 v[2:3], v[2:3], v[126:127]
	v_add_f64 v[4:5], v[4:5], v[124:125]
	s_andn2_b64 exec, exec, s[10:11]
	s_cbranch_execnz .LBB100_564
; %bb.565:
	s_or_b64 exec, exec, s[10:11]
.LBB100_566:
	s_or_b64 exec, exec, s[8:9]
	v_mov_b32_e32 v6, 0
	ds_read_b128 v[122:125], v6 offset:560
	s_waitcnt lgkmcnt(0)
	v_mul_f64 v[6:7], v[4:5], v[124:125]
	v_mul_f64 v[126:127], v[2:3], v[124:125]
	v_fma_f64 v[124:125], v[2:3], v[122:123], -v[6:7]
	v_fmac_f64_e32 v[126:127], v[4:5], v[122:123]
	scratch_store_dwordx4 off, v[124:127], off offset:560
.LBB100_567:
	s_or_b64 exec, exec, s[6:7]
	scratch_load_dwordx4 v[2:5], v1, off
	v_cmp_ne_u32_e32 vcc, 36, v0
                                        ; implicit-def: $vgpr6_vgpr7
                                        ; implicit-def: $vgpr12
	s_waitcnt vmcnt(0)
	ds_write_b128 v11, v[2:5]
	s_waitcnt lgkmcnt(0)
	; wave barrier
	s_waitcnt lgkmcnt(0)
	s_and_saveexec_b64 s[6:7], vcc
	s_cbranch_execz .LBB100_575
; %bb.568:
	ds_read_b128 v[2:5], v11
	s_and_b64 vcc, exec, s[0:1]
	s_cbranch_vccnz .LBB100_570
; %bb.569:
	scratch_load_dwordx4 v[10:13], v10, off
	s_waitcnt vmcnt(0) lgkmcnt(0)
	v_mul_f64 v[6:7], v[4:5], v[12:13]
	v_mul_f64 v[12:13], v[2:3], v[12:13]
	v_fmac_f64_e32 v[12:13], v[4:5], v[10:11]
	v_fma_f64 v[2:3], v[2:3], v[10:11], -v[6:7]
	v_mov_b64_e32 v[4:5], v[12:13]
.LBB100_570:
	s_and_saveexec_b64 s[0:1], s[2:3]
	s_cbranch_execz .LBB100_574
; %bb.571:
	v_mov_b32_e32 v7, 0
	v_add_u32_e32 v6, 0x260, v56
	v_add3_u32 v7, v56, v7, 24
	s_mov_b64 s[2:3], 0
.LBB100_572:                            ; =>This Inner Loop Header: Depth=1
	v_add_u32_e32 v10, -8, v7
	scratch_load_dwordx4 v[10:13], v10, off
	ds_read_b128 v[122:125], v6
	v_add_u32_e32 v0, 1, v0
	v_cmp_lt_u32_e32 vcc, 34, v0
	v_add_u32_e32 v6, 16, v6
	v_add_u32_e32 v7, 16, v7
	s_or_b64 s[2:3], vcc, s[2:3]
	s_waitcnt vmcnt(0) lgkmcnt(0)
	v_mul_f64 v[126:127], v[124:125], v[12:13]
	v_mul_f64 v[12:13], v[122:123], v[12:13]
	v_fma_f64 v[122:123], v[122:123], v[10:11], -v[126:127]
	v_fmac_f64_e32 v[12:13], v[124:125], v[10:11]
	v_add_f64 v[2:3], v[2:3], v[122:123]
	v_add_f64 v[4:5], v[4:5], v[12:13]
	s_andn2_b64 exec, exec, s[2:3]
	s_cbranch_execnz .LBB100_572
; %bb.573:
	s_or_b64 exec, exec, s[2:3]
.LBB100_574:
	s_or_b64 exec, exec, s[0:1]
	v_mov_b32_e32 v0, 0
	ds_read_b128 v[122:125], v0 offset:576
	v_mov_b32_e32 v0, 0
	v_add_u32_e32 v12, 0x248, v0
	s_or_b64 s[4:5], s[4:5], exec
	s_waitcnt lgkmcnt(0)
	v_mul_f64 v[10:11], v[4:5], v[124:125]
	v_mul_f64 v[6:7], v[2:3], v[124:125]
	v_fma_f64 v[2:3], v[2:3], v[122:123], -v[10:11]
	v_fmac_f64_e32 v[6:7], v[4:5], v[122:123]
	scratch_store_dwordx2 off, v[2:3], off offset:576
.LBB100_575:
	s_or_b64 exec, exec, s[6:7]
.LBB100_576:
	s_and_saveexec_b64 s[0:1], s[4:5]
	s_cbranch_execz .LBB100_578
; %bb.577:
	scratch_store_dwordx2 v12, v[6:7], off
.LBB100_578:
	s_or_b64 exec, exec, s[0:1]
	scratch_load_dwordx4 v[2:5], off, off
	scratch_load_dwordx4 v[10:13], v118, off
	scratch_load_dwordx4 v[122:125], v120, off
	;; [unrolled: 1-line block ×3, first 2 shown]
                                        ; kill: killed $vgpr121
                                        ; kill: killed $vgpr120
                                        ; kill: killed $vgpr118
	s_nop 0
	scratch_load_dwordx4 v[118:121], v119, off
	s_nop 0
	scratch_load_dwordx4 v[130:133], v117, off
	scratch_load_dwordx4 v[134:137], v116, off
	scratch_load_dwordx4 v[138:141], v115, off
	s_nop 0
	scratch_load_dwordx4 v[114:117], v114, off
	s_nop 0
	scratch_load_dwordx4 v[142:145], v113, off
	scratch_load_dwordx4 v[146:149], v112, off
	scratch_load_dwordx4 v[150:153], v111, off
	s_nop 0
	scratch_load_dwordx4 v[110:113], v110, off
	s_nop 0
	scratch_load_dwordx4 v[154:157], v109, off
	scratch_load_dwordx4 v[158:161], v108, off
	scratch_load_dwordx4 v[162:165], v107, off
	s_nop 0
	scratch_load_dwordx4 v[106:109], v106, off
	s_waitcnt vmcnt(16)
	global_store_dwordx4 v[14:15], v[2:5], off
	scratch_load_dwordx4 v[2:5], v105, off
	s_nop 0
	scratch_load_dwordx4 v[166:169], v104, off
	s_waitcnt vmcnt(18)
	global_store_dwordx4 v[16:17], v[10:13], off
	scratch_load_dwordx4 v[10:13], v103, off
	;; [unrolled: 5-line block ×10, first 2 shown]
	s_nop 0
	scratch_load_dwordx4 v[30:33], v1, off
	s_waitcnt vmcnt(36)
	global_store_dwordx4 v[34:35], v[146:149], off
	s_waitcnt vmcnt(36)
	global_store_dwordx4 v[36:37], v[150:153], off
	;; [unrolled: 2-line block ×27, first 2 shown]
.LBB100_579:
	s_endpgm
	.section	.rodata,"a",@progbits
	.p2align	6, 0x0
	.amdhsa_kernel _ZN9rocsolver6v33100L18trti2_kernel_smallILi37E19rocblas_complex_numIdEPKPS3_EEv13rocblas_fill_17rocblas_diagonal_T1_iil
		.amdhsa_group_segment_fixed_size 1184
		.amdhsa_private_segment_fixed_size 608
		.amdhsa_kernarg_size 32
		.amdhsa_user_sgpr_count 2
		.amdhsa_user_sgpr_dispatch_ptr 0
		.amdhsa_user_sgpr_queue_ptr 0
		.amdhsa_user_sgpr_kernarg_segment_ptr 1
		.amdhsa_user_sgpr_dispatch_id 0
		.amdhsa_user_sgpr_kernarg_preload_length 0
		.amdhsa_user_sgpr_kernarg_preload_offset 0
		.amdhsa_user_sgpr_private_segment_size 0
		.amdhsa_uses_dynamic_stack 0
		.amdhsa_enable_private_segment 1
		.amdhsa_system_sgpr_workgroup_id_x 1
		.amdhsa_system_sgpr_workgroup_id_y 0
		.amdhsa_system_sgpr_workgroup_id_z 0
		.amdhsa_system_sgpr_workgroup_info 0
		.amdhsa_system_vgpr_workitem_id 0
		.amdhsa_next_free_vgpr 170
		.amdhsa_next_free_sgpr 12
		.amdhsa_accum_offset 172
		.amdhsa_reserve_vcc 1
		.amdhsa_float_round_mode_32 0
		.amdhsa_float_round_mode_16_64 0
		.amdhsa_float_denorm_mode_32 3
		.amdhsa_float_denorm_mode_16_64 3
		.amdhsa_dx10_clamp 1
		.amdhsa_ieee_mode 1
		.amdhsa_fp16_overflow 0
		.amdhsa_tg_split 0
		.amdhsa_exception_fp_ieee_invalid_op 0
		.amdhsa_exception_fp_denorm_src 0
		.amdhsa_exception_fp_ieee_div_zero 0
		.amdhsa_exception_fp_ieee_overflow 0
		.amdhsa_exception_fp_ieee_underflow 0
		.amdhsa_exception_fp_ieee_inexact 0
		.amdhsa_exception_int_div_zero 0
	.end_amdhsa_kernel
	.section	.text._ZN9rocsolver6v33100L18trti2_kernel_smallILi37E19rocblas_complex_numIdEPKPS3_EEv13rocblas_fill_17rocblas_diagonal_T1_iil,"axG",@progbits,_ZN9rocsolver6v33100L18trti2_kernel_smallILi37E19rocblas_complex_numIdEPKPS3_EEv13rocblas_fill_17rocblas_diagonal_T1_iil,comdat
.Lfunc_end100:
	.size	_ZN9rocsolver6v33100L18trti2_kernel_smallILi37E19rocblas_complex_numIdEPKPS3_EEv13rocblas_fill_17rocblas_diagonal_T1_iil, .Lfunc_end100-_ZN9rocsolver6v33100L18trti2_kernel_smallILi37E19rocblas_complex_numIdEPKPS3_EEv13rocblas_fill_17rocblas_diagonal_T1_iil
                                        ; -- End function
	.section	.AMDGPU.csdata,"",@progbits
; Kernel info:
; codeLenInByte = 24336
; NumSgprs: 18
; NumVgprs: 170
; NumAgprs: 0
; TotalNumVgprs: 170
; ScratchSize: 608
; MemoryBound: 0
; FloatMode: 240
; IeeeMode: 1
; LDSByteSize: 1184 bytes/workgroup (compile time only)
; SGPRBlocks: 2
; VGPRBlocks: 21
; NumSGPRsForWavesPerEU: 18
; NumVGPRsForWavesPerEU: 170
; AccumOffset: 172
; Occupancy: 2
; WaveLimiterHint : 1
; COMPUTE_PGM_RSRC2:SCRATCH_EN: 1
; COMPUTE_PGM_RSRC2:USER_SGPR: 2
; COMPUTE_PGM_RSRC2:TRAP_HANDLER: 0
; COMPUTE_PGM_RSRC2:TGID_X_EN: 1
; COMPUTE_PGM_RSRC2:TGID_Y_EN: 0
; COMPUTE_PGM_RSRC2:TGID_Z_EN: 0
; COMPUTE_PGM_RSRC2:TIDIG_COMP_CNT: 0
; COMPUTE_PGM_RSRC3_GFX90A:ACCUM_OFFSET: 42
; COMPUTE_PGM_RSRC3_GFX90A:TG_SPLIT: 0
	.section	.text._ZN9rocsolver6v33100L18trti2_kernel_smallILi38E19rocblas_complex_numIdEPKPS3_EEv13rocblas_fill_17rocblas_diagonal_T1_iil,"axG",@progbits,_ZN9rocsolver6v33100L18trti2_kernel_smallILi38E19rocblas_complex_numIdEPKPS3_EEv13rocblas_fill_17rocblas_diagonal_T1_iil,comdat
	.globl	_ZN9rocsolver6v33100L18trti2_kernel_smallILi38E19rocblas_complex_numIdEPKPS3_EEv13rocblas_fill_17rocblas_diagonal_T1_iil ; -- Begin function _ZN9rocsolver6v33100L18trti2_kernel_smallILi38E19rocblas_complex_numIdEPKPS3_EEv13rocblas_fill_17rocblas_diagonal_T1_iil
	.p2align	8
	.type	_ZN9rocsolver6v33100L18trti2_kernel_smallILi38E19rocblas_complex_numIdEPKPS3_EEv13rocblas_fill_17rocblas_diagonal_T1_iil,@function
_ZN9rocsolver6v33100L18trti2_kernel_smallILi38E19rocblas_complex_numIdEPKPS3_EEv13rocblas_fill_17rocblas_diagonal_T1_iil: ; @_ZN9rocsolver6v33100L18trti2_kernel_smallILi38E19rocblas_complex_numIdEPKPS3_EEv13rocblas_fill_17rocblas_diagonal_T1_iil
; %bb.0:
	v_cmp_gt_u32_e32 vcc, 38, v0
	s_and_saveexec_b64 s[4:5], vcc
	s_cbranch_execz .LBB101_595
; %bb.1:
	s_load_dwordx2 s[8:9], s[0:1], 0x10
	s_load_dwordx4 s[4:7], s[0:1], 0x0
	s_ashr_i32 s3, s2, 31
	s_lshl_b64 s[2:3], s[2:3], 3
	v_lshlrev_b32_e32 v90, 4, v0
	s_waitcnt lgkmcnt(0)
	s_ashr_i32 s1, s8, 31
	s_add_u32 s2, s6, s2
	s_addc_u32 s3, s7, s3
	s_load_dwordx2 s[2:3], s[2:3], 0x0
	s_mov_b32 s0, s8
	s_lshl_b64 s[0:1], s[0:1], 4
	v_mov_b32_e32 v91, 0
	v_mov_b32_e32 v1, 0
	s_waitcnt lgkmcnt(0)
	s_add_u32 s0, s2, s0
	s_addc_u32 s1, s3, s1
	s_add_i32 s2, s9, s9
	v_add_u32_e32 v6, s2, v0
	v_add_u32_e32 v14, s9, v6
	;; [unrolled: 1-line block ×15, first 2 shown]
	s_mov_b32 s2, s9
	s_ashr_i32 s3, s9, 31
	v_lshl_add_u64 v[46:47], s[0:1], 0, v[90:91]
	v_ashrrev_i32_e32 v15, 31, v14
	v_ashrrev_i32_e32 v17, 31, v16
	;; [unrolled: 1-line block ×11, first 2 shown]
	v_lshl_add_u64 v[40:41], s[2:3], 4, v[46:47]
	v_lshl_add_u64 v[38:39], v[14:15], 4, s[0:1]
	;; [unrolled: 1-line block ×4, first 2 shown]
	v_ashrrev_i32_e32 v21, 31, v20
	v_lshl_add_u64 v[26:27], v[22:23], 4, s[0:1]
	v_lshl_add_u64 v[18:19], v[34:35], 4, s[0:1]
	;; [unrolled: 1-line block ×5, first 2 shown]
	v_ashrrev_i32_e32 v49, 31, v48
	v_lshl_add_u64 v[34:35], v[92:93], 4, s[0:1]
	v_ashrrev_i32_e32 v95, 31, v94
	v_lshl_add_u64 v[42:43], v[100:101], 4, s[0:1]
	v_ashrrev_i32_e32 v109, 31, v108
	global_load_dwordx4 v[2:5], v90, s[0:1]
	v_lshl_add_u64 v[28:29], v[6:7], 4, s[0:1]
	global_load_dwordx4 v[6:9], v[40:41], off
	global_load_dwordx4 v[10:13], v[28:29], off
	;; [unrolled: 1-line block ×4, first 2 shown]
	v_lshl_add_u64 v[24:25], v[20:21], 4, s[0:1]
	global_load_dwordx4 v[58:61], v[32:33], off
	global_load_dwordx4 v[62:65], v[24:25], off
	;; [unrolled: 1-line block ×6, first 2 shown]
	v_lshl_add_u64 v[20:21], v[48:49], 4, s[0:1]
	global_load_dwordx4 v[82:85], v[16:17], off
	global_load_dwordx4 v[86:89], v[20:21], off
	v_lshl_add_u64 v[36:37], v[94:95], 4, s[0:1]
	global_load_dwordx4 v[92:95], v[34:35], off
	global_load_dwordx4 v[96:99], v[36:37], off
	;; [unrolled: 3-line block ×3, first 2 shown]
	v_add_u32_e32 v112, s9, v108
	v_add_u32_e32 v114, s9, v112
	;; [unrolled: 1-line block ×21, first 2 shown]
	v_ashrrev_i32_e32 v49, 31, v48
	v_lshl_add_u64 v[48:49], v[48:49], 4, s[0:1]
	v_ashrrev_i32_e32 v113, 31, v112
	v_ashrrev_i32_e32 v117, 31, v116
	;; [unrolled: 1-line block ×10, first 2 shown]
	global_load_dwordx4 v[108:111], v[48:49], off
	v_ashrrev_i32_e32 v115, 31, v114
	v_ashrrev_i32_e32 v119, 31, v118
	;; [unrolled: 1-line block ×3, first 2 shown]
	s_waitcnt vmcnt(17)
	scratch_store_dwordx4 off, v[2:5], off
	s_waitcnt vmcnt(17)
	scratch_store_dwordx4 off, v[6:9], off offset:16
	s_waitcnt vmcnt(17)
	scratch_store_dwordx4 off, v[10:13], off offset:32
	;; [unrolled: 2-line block ×16, first 2 shown]
	v_lshl_add_u64 v[50:51], v[112:113], 4, s[0:1]
	v_lshl_add_u64 v[54:55], v[116:117], 4, s[0:1]
	;; [unrolled: 1-line block ×4, first 2 shown]
	v_ashrrev_i32_e32 v127, 31, v126
	v_lshl_add_u64 v[66:67], v[128:129], 4, s[0:1]
	v_ashrrev_i32_e32 v131, 31, v130
	v_lshl_add_u64 v[70:71], v[132:133], 4, s[0:1]
	;; [unrolled: 2-line block ×7, first 2 shown]
	global_load_dwordx4 v[2:5], v[50:51], off
	global_load_dwordx4 v[6:9], v[52:53], off
	v_lshl_add_u64 v[56:57], v[118:119], 4, s[0:1]
	global_load_dwordx4 v[10:13], v[54:55], off
	global_load_dwordx4 v[92:95], v[56:57], off
	v_lshl_add_u64 v[60:61], v[122:123], 4, s[0:1]
	;; [unrolled: 3-line block ×9, first 2 shown]
	global_load_dwordx4 v[156:159], v[86:87], off
	global_load_dwordx4 v[160:163], v[88:89], off
	s_cmpk_lg_i32 s5, 0x84
	s_cselect_b64 s[6:7], -1, 0
	s_cmpk_eq_i32 s5, 0x84
	s_waitcnt vmcnt(19)
	scratch_store_dwordx4 off, v[2:5], off offset:272
	s_waitcnt vmcnt(19)
	scratch_store_dwordx4 off, v[6:9], off offset:288
	;; [unrolled: 2-line block ×20, first 2 shown]
	scratch_store_dwordx4 off, v[108:111], off offset:592
	s_cbranch_scc1 .LBB101_7
; %bb.2:
	scratch_load_dwordx4 v[6:9], v90, off
                                        ; implicit-def: $vgpr10_vgpr11
	s_waitcnt vmcnt(0)
	v_xor_b32_e32 v3, 0x80000000, v7
	v_cmp_gt_f64_e32 vcc, 0, v[6:7]
	v_xor_b32_e32 v4, 0x80000000, v9
	v_mov_b32_e32 v2, v6
	v_cndmask_b32_e32 v3, v7, v3, vcc
	v_cmp_gt_f64_e32 vcc, 0, v[8:9]
	s_nop 1
	v_cndmask_b32_e32 v5, v9, v4, vcc
	v_mov_b32_e32 v4, v8
	v_cmp_ngt_f64_e32 vcc, v[2:3], v[4:5]
                                        ; implicit-def: $vgpr2_vgpr3
	s_and_saveexec_b64 s[0:1], vcc
	s_xor_b64 s[0:1], exec, s[0:1]
	s_cbranch_execz .LBB101_4
; %bb.3:
	v_div_scale_f64 v[2:3], s[2:3], v[8:9], v[8:9], v[6:7]
	v_rcp_f64_e32 v[4:5], v[2:3]
	v_div_scale_f64 v[10:11], vcc, v[6:7], v[8:9], v[6:7]
	v_fma_f64 v[12:13], -v[2:3], v[4:5], 1.0
	v_fmac_f64_e32 v[4:5], v[4:5], v[12:13]
	v_fma_f64 v[12:13], -v[2:3], v[4:5], 1.0
	v_fmac_f64_e32 v[4:5], v[4:5], v[12:13]
	v_mul_f64 v[12:13], v[10:11], v[4:5]
	v_fma_f64 v[2:3], -v[2:3], v[12:13], v[10:11]
	v_div_fmas_f64 v[2:3], v[2:3], v[4:5], v[12:13]
	v_div_fixup_f64 v[2:3], v[2:3], v[8:9], v[6:7]
	v_fmac_f64_e32 v[8:9], v[6:7], v[2:3]
	v_div_scale_f64 v[4:5], s[2:3], v[8:9], v[8:9], 1.0
	v_rcp_f64_e32 v[6:7], v[4:5]
	s_nop 0
	v_fma_f64 v[10:11], -v[4:5], v[6:7], 1.0
	v_fmac_f64_e32 v[6:7], v[6:7], v[10:11]
	v_fma_f64 v[10:11], -v[4:5], v[6:7], 1.0
	v_fmac_f64_e32 v[6:7], v[6:7], v[10:11]
	v_div_scale_f64 v[10:11], vcc, 1.0, v[8:9], 1.0
	v_mul_f64 v[12:13], v[10:11], v[6:7]
	v_fma_f64 v[4:5], -v[4:5], v[12:13], v[10:11]
	s_nop 1
	v_div_fmas_f64 v[4:5], v[4:5], v[6:7], v[12:13]
	v_div_fixup_f64 v[4:5], v[4:5], v[8:9], 1.0
	v_mul_f64 v[2:3], v[2:3], v[4:5]
	v_xor_b32_e32 v5, 0x80000000, v5
	v_xor_b32_e32 v11, 0x80000000, v3
	v_mov_b32_e32 v10, v2
                                        ; implicit-def: $vgpr6_vgpr7
.LBB101_4:
	s_or_saveexec_b64 s[0:1], s[0:1]
	v_add_u32_e32 v12, 0, v90
	s_xor_b64 exec, exec, s[0:1]
	s_cbranch_execz .LBB101_6
; %bb.5:
	v_div_scale_f64 v[2:3], s[2:3], v[6:7], v[6:7], v[8:9]
	v_rcp_f64_e32 v[4:5], v[2:3]
	v_div_scale_f64 v[10:11], vcc, v[8:9], v[6:7], v[8:9]
	v_fma_f64 v[92:93], -v[2:3], v[4:5], 1.0
	v_fmac_f64_e32 v[4:5], v[4:5], v[92:93]
	v_fma_f64 v[92:93], -v[2:3], v[4:5], 1.0
	v_fmac_f64_e32 v[4:5], v[4:5], v[92:93]
	v_mul_f64 v[92:93], v[10:11], v[4:5]
	v_fma_f64 v[2:3], -v[2:3], v[92:93], v[10:11]
	v_div_fmas_f64 v[2:3], v[2:3], v[4:5], v[92:93]
	v_div_fixup_f64 v[4:5], v[2:3], v[6:7], v[8:9]
	v_fmac_f64_e32 v[6:7], v[8:9], v[4:5]
	v_div_scale_f64 v[2:3], s[2:3], v[6:7], v[6:7], 1.0
	v_rcp_f64_e32 v[8:9], v[2:3]
	s_nop 0
	v_fma_f64 v[10:11], -v[2:3], v[8:9], 1.0
	v_fmac_f64_e32 v[8:9], v[8:9], v[10:11]
	v_fma_f64 v[10:11], -v[2:3], v[8:9], 1.0
	v_fmac_f64_e32 v[8:9], v[8:9], v[10:11]
	v_div_scale_f64 v[10:11], vcc, 1.0, v[6:7], 1.0
	v_mul_f64 v[92:93], v[10:11], v[8:9]
	v_fma_f64 v[2:3], -v[2:3], v[92:93], v[10:11]
	s_nop 1
	v_div_fmas_f64 v[2:3], v[2:3], v[8:9], v[92:93]
	v_div_fixup_f64 v[2:3], v[2:3], v[6:7], 1.0
	v_xor_b32_e32 v11, 0x80000000, v3
	v_mov_b32_e32 v10, v2
	v_mul_f64 v[4:5], v[4:5], -v[2:3]
.LBB101_6:
	s_or_b64 exec, exec, s[0:1]
	scratch_store_dwordx4 v12, v[2:5], off
	s_nop 1
	v_xor_b32_e32 v5, 0x80000000, v5
	s_branch .LBB101_8
.LBB101_7:
	v_mov_b64_e32 v[4:5], 0
	v_mov_b64_e32 v[10:11], -1.0
.LBB101_8:
	v_mov_b32_e32 v12, v4
	v_mov_b32_e32 v13, v5
	v_add_u32_e32 v124, 16, v1
	v_add_u32_e32 v123, 32, v1
	v_add_u32_e32 v122, 48, v1
	v_add_u32_e32 v121, 64, v1
	v_add_u32_e32 v120, 0x50, v1
	v_add_u32_e32 v119, 0x60, v1
	v_add_u32_e32 v118, 0x70, v1
	v_add_u32_e32 v117, 0x80, v1
	v_add_u32_e32 v116, 0x90, v1
	v_add_u32_e32 v115, 0xa0, v1
	v_add_u32_e32 v114, 0xb0, v1
	v_add_u32_e32 v113, 0xc0, v1
	v_add_u32_e32 v112, 0xd0, v1
	v_add_u32_e32 v111, 0xe0, v1
	v_add_u32_e32 v110, 0xf0, v1
	v_add_u32_e32 v109, 0x100, v1
	v_add_u32_e32 v108, 0x110, v1
	v_add_u32_e32 v107, 0x120, v1
	v_add_u32_e32 v106, 0x130, v1
	v_add_u32_e32 v105, 0x140, v1
	v_add_u32_e32 v104, 0x150, v1
	v_add_u32_e32 v103, 0x160, v1
	v_add_u32_e32 v102, 0x170, v1
	v_add_u32_e32 v101, 0x180, v1
	v_add_u32_e32 v100, 0x190, v1
	v_add_u32_e32 v99, 0x1a0, v1
	v_add_u32_e32 v98, 0x1b0, v1
	v_add_u32_e32 v97, 0x1c0, v1
	v_add_u32_e32 v96, 0x1d0, v1
	v_add_u32_e32 v95, 0x1e0, v1
	v_add_u32_e32 v94, 0x1f0, v1
	v_add_u32_e32 v93, 0x200, v1
	v_add_u32_e32 v92, 0x210, v1
	v_add_u32_e32 v91, 0x220, v1
	v_add_u32_e32 v9, 0x230, v1
	v_add_u32_e32 v8, 0x240, v1
	v_add_u32_e32 v1, 0x250, v1
	ds_write_b128 v90, v[10:13]
	s_cmpk_eq_i32 s4, 0x79
	v_add_u32_e32 v11, 0x260, v90
	v_add_u32_e32 v10, 0, v90
	s_cbranch_scc1 .LBB101_300
; %bb.9:
	scratch_load_dwordx4 v[2:5], v8, off
	v_cmp_eq_u32_e64 s[0:1], 37, v0
	s_waitcnt vmcnt(0)
	ds_write_b128 v11, v[2:5]
	s_waitcnt lgkmcnt(0)
	; wave barrier
	s_waitcnt lgkmcnt(0)
	s_and_saveexec_b64 s[2:3], s[0:1]
	s_cbranch_execz .LBB101_13
; %bb.10:
	ds_read_b128 v[2:5], v11
	s_andn2_b64 vcc, exec, s[6:7]
	s_cbranch_vccnz .LBB101_12
; %bb.11:
	scratch_load_dwordx4 v[126:129], v10, off
	s_waitcnt vmcnt(0) lgkmcnt(0)
	v_mul_f64 v[12:13], v[2:3], v[128:129]
	v_mul_f64 v[6:7], v[4:5], v[128:129]
	v_fmac_f64_e32 v[12:13], v[4:5], v[126:127]
	v_fma_f64 v[2:3], v[2:3], v[126:127], -v[6:7]
	v_mov_b64_e32 v[4:5], v[12:13]
.LBB101_12:
	v_mov_b32_e32 v6, 0
	ds_read_b128 v[126:129], v6 offset:576
	s_waitcnt lgkmcnt(0)
	v_mul_f64 v[6:7], v[4:5], v[128:129]
	v_mul_f64 v[130:131], v[2:3], v[128:129]
	v_fma_f64 v[128:129], v[2:3], v[126:127], -v[6:7]
	v_fmac_f64_e32 v[130:131], v[4:5], v[126:127]
	scratch_store_dwordx4 off, v[128:131], off offset:576
.LBB101_13:
	s_or_b64 exec, exec, s[2:3]
	scratch_load_dwordx4 v[2:5], v9, off
	v_cmp_lt_u32_e64 s[2:3], 35, v0
	s_waitcnt vmcnt(0)
	ds_write_b128 v11, v[2:5]
	s_waitcnt lgkmcnt(0)
	; wave barrier
	s_waitcnt lgkmcnt(0)
	s_and_saveexec_b64 s[4:5], s[2:3]
	s_cbranch_execz .LBB101_19
; %bb.14:
	ds_read_b128 v[2:5], v11
	s_andn2_b64 vcc, exec, s[6:7]
	s_cbranch_vccnz .LBB101_16
; %bb.15:
	scratch_load_dwordx4 v[126:129], v10, off
	s_waitcnt vmcnt(0) lgkmcnt(0)
	v_mul_f64 v[12:13], v[2:3], v[128:129]
	v_mul_f64 v[6:7], v[4:5], v[128:129]
	v_fmac_f64_e32 v[12:13], v[4:5], v[126:127]
	v_fma_f64 v[2:3], v[2:3], v[126:127], -v[6:7]
	v_mov_b64_e32 v[4:5], v[12:13]
.LBB101_16:
	s_and_saveexec_b64 s[8:9], s[0:1]
	s_cbranch_execz .LBB101_18
; %bb.17:
	scratch_load_dwordx4 v[126:129], off, off offset:576
	v_mov_b32_e32 v6, 0
	ds_read_b128 v[130:133], v6 offset:1184
	s_waitcnt vmcnt(0) lgkmcnt(0)
	v_mul_f64 v[6:7], v[130:131], v[128:129]
	v_mul_f64 v[12:13], v[132:133], v[128:129]
	v_fmac_f64_e32 v[6:7], v[132:133], v[126:127]
	v_fma_f64 v[12:13], v[130:131], v[126:127], -v[12:13]
	v_add_f64 v[4:5], v[4:5], v[6:7]
	v_add_f64 v[2:3], v[2:3], v[12:13]
.LBB101_18:
	s_or_b64 exec, exec, s[8:9]
	v_mov_b32_e32 v6, 0
	ds_read_b128 v[126:129], v6 offset:560
	s_waitcnt lgkmcnt(0)
	v_mul_f64 v[6:7], v[4:5], v[128:129]
	v_mul_f64 v[130:131], v[2:3], v[128:129]
	v_fma_f64 v[128:129], v[2:3], v[126:127], -v[6:7]
	v_fmac_f64_e32 v[130:131], v[4:5], v[126:127]
	scratch_store_dwordx4 off, v[128:131], off offset:560
.LBB101_19:
	s_or_b64 exec, exec, s[4:5]
	scratch_load_dwordx4 v[2:5], v91, off
	v_cmp_lt_u32_e64 s[0:1], 34, v0
	s_waitcnt vmcnt(0)
	ds_write_b128 v11, v[2:5]
	s_waitcnt lgkmcnt(0)
	; wave barrier
	s_waitcnt lgkmcnt(0)
	s_and_saveexec_b64 s[4:5], s[0:1]
	s_cbranch_execz .LBB101_27
; %bb.20:
	ds_read_b128 v[2:5], v11
	s_andn2_b64 vcc, exec, s[6:7]
	s_cbranch_vccnz .LBB101_22
; %bb.21:
	scratch_load_dwordx4 v[126:129], v10, off
	s_waitcnt vmcnt(0) lgkmcnt(0)
	v_mul_f64 v[12:13], v[2:3], v[128:129]
	v_mul_f64 v[6:7], v[4:5], v[128:129]
	v_fmac_f64_e32 v[12:13], v[4:5], v[126:127]
	v_fma_f64 v[2:3], v[2:3], v[126:127], -v[6:7]
	v_mov_b64_e32 v[4:5], v[12:13]
.LBB101_22:
	s_and_saveexec_b64 s[8:9], s[2:3]
	s_cbranch_execz .LBB101_26
; %bb.23:
	v_mov_b32_e32 v7, 0
	v_subrev_u32_e32 v6, 35, v0
	v_add_u32_e32 v7, 0x238, v7
	s_movk_i32 s10, 0x490
	s_mov_b64 s[2:3], 0
.LBB101_24:                             ; =>This Inner Loop Header: Depth=1
	v_add_u32_e32 v12, -8, v7
	scratch_load_dwordx4 v[126:129], v12, off
	v_mov_b32_e32 v12, s10
	ds_read_b128 v[130:133], v12
	v_add_u32_e32 v6, -1, v6
	s_add_i32 s10, s10, 16
	v_cmp_eq_u32_e32 vcc, 0, v6
	v_add_u32_e32 v7, 16, v7
	s_or_b64 s[2:3], vcc, s[2:3]
	s_waitcnt vmcnt(0) lgkmcnt(0)
	v_mul_f64 v[12:13], v[132:133], v[128:129]
	v_mul_f64 v[128:129], v[130:131], v[128:129]
	v_fma_f64 v[12:13], v[130:131], v[126:127], -v[12:13]
	v_fmac_f64_e32 v[128:129], v[132:133], v[126:127]
	v_add_f64 v[2:3], v[2:3], v[12:13]
	v_add_f64 v[4:5], v[4:5], v[128:129]
	s_andn2_b64 exec, exec, s[2:3]
	s_cbranch_execnz .LBB101_24
; %bb.25:
	s_or_b64 exec, exec, s[2:3]
.LBB101_26:
	s_or_b64 exec, exec, s[8:9]
	v_mov_b32_e32 v6, 0
	ds_read_b128 v[126:129], v6 offset:544
	s_waitcnt lgkmcnt(0)
	v_mul_f64 v[6:7], v[4:5], v[128:129]
	v_mul_f64 v[130:131], v[2:3], v[128:129]
	v_fma_f64 v[128:129], v[2:3], v[126:127], -v[6:7]
	v_fmac_f64_e32 v[130:131], v[4:5], v[126:127]
	scratch_store_dwordx4 off, v[128:131], off offset:544
.LBB101_27:
	s_or_b64 exec, exec, s[4:5]
	scratch_load_dwordx4 v[2:5], v92, off
	v_cmp_lt_u32_e64 s[2:3], 33, v0
	s_waitcnt vmcnt(0)
	ds_write_b128 v11, v[2:5]
	s_waitcnt lgkmcnt(0)
	; wave barrier
	s_waitcnt lgkmcnt(0)
	s_and_saveexec_b64 s[4:5], s[2:3]
	s_cbranch_execz .LBB101_35
; %bb.28:
	ds_read_b128 v[2:5], v11
	s_andn2_b64 vcc, exec, s[6:7]
	s_cbranch_vccnz .LBB101_30
; %bb.29:
	scratch_load_dwordx4 v[126:129], v10, off
	s_waitcnt vmcnt(0) lgkmcnt(0)
	v_mul_f64 v[12:13], v[2:3], v[128:129]
	v_mul_f64 v[6:7], v[4:5], v[128:129]
	v_fmac_f64_e32 v[12:13], v[4:5], v[126:127]
	v_fma_f64 v[2:3], v[2:3], v[126:127], -v[6:7]
	v_mov_b64_e32 v[4:5], v[12:13]
.LBB101_30:
	s_and_saveexec_b64 s[8:9], s[0:1]
	s_cbranch_execz .LBB101_34
; %bb.31:
	v_mov_b32_e32 v7, 0
	v_subrev_u32_e32 v6, 34, v0
	v_add_u32_e32 v7, 0x228, v7
	s_movk_i32 s10, 0x480
	s_mov_b64 s[0:1], 0
.LBB101_32:                             ; =>This Inner Loop Header: Depth=1
	v_add_u32_e32 v12, -8, v7
	scratch_load_dwordx4 v[126:129], v12, off
	v_mov_b32_e32 v12, s10
	ds_read_b128 v[130:133], v12
	v_add_u32_e32 v6, -1, v6
	s_add_i32 s10, s10, 16
	v_cmp_eq_u32_e32 vcc, 0, v6
	v_add_u32_e32 v7, 16, v7
	s_or_b64 s[0:1], vcc, s[0:1]
	s_waitcnt vmcnt(0) lgkmcnt(0)
	v_mul_f64 v[12:13], v[132:133], v[128:129]
	v_mul_f64 v[128:129], v[130:131], v[128:129]
	v_fma_f64 v[12:13], v[130:131], v[126:127], -v[12:13]
	v_fmac_f64_e32 v[128:129], v[132:133], v[126:127]
	v_add_f64 v[2:3], v[2:3], v[12:13]
	v_add_f64 v[4:5], v[4:5], v[128:129]
	s_andn2_b64 exec, exec, s[0:1]
	s_cbranch_execnz .LBB101_32
; %bb.33:
	s_or_b64 exec, exec, s[0:1]
.LBB101_34:
	s_or_b64 exec, exec, s[8:9]
	v_mov_b32_e32 v6, 0
	ds_read_b128 v[126:129], v6 offset:528
	s_waitcnt lgkmcnt(0)
	v_mul_f64 v[6:7], v[4:5], v[128:129]
	v_mul_f64 v[130:131], v[2:3], v[128:129]
	v_fma_f64 v[128:129], v[2:3], v[126:127], -v[6:7]
	v_fmac_f64_e32 v[130:131], v[4:5], v[126:127]
	scratch_store_dwordx4 off, v[128:131], off offset:528
.LBB101_35:
	;; [unrolled: 63-line block ×10, first 2 shown]
	s_or_b64 exec, exec, s[4:5]
	scratch_load_dwordx4 v[2:5], v101, off
	v_cmp_lt_u32_e64 s[0:1], 24, v0
	s_waitcnt vmcnt(0)
	ds_write_b128 v11, v[2:5]
	s_waitcnt lgkmcnt(0)
	; wave barrier
	s_waitcnt lgkmcnt(0)
	s_and_saveexec_b64 s[4:5], s[0:1]
	s_cbranch_execz .LBB101_107
; %bb.100:
	ds_read_b128 v[2:5], v11
	s_andn2_b64 vcc, exec, s[6:7]
	s_cbranch_vccnz .LBB101_102
; %bb.101:
	scratch_load_dwordx4 v[126:129], v10, off
	s_waitcnt vmcnt(0) lgkmcnt(0)
	v_mul_f64 v[12:13], v[2:3], v[128:129]
	v_mul_f64 v[6:7], v[4:5], v[128:129]
	v_fmac_f64_e32 v[12:13], v[4:5], v[126:127]
	v_fma_f64 v[2:3], v[2:3], v[126:127], -v[6:7]
	v_mov_b64_e32 v[4:5], v[12:13]
.LBB101_102:
	s_and_saveexec_b64 s[8:9], s[2:3]
	s_cbranch_execz .LBB101_106
; %bb.103:
	v_mov_b32_e32 v7, 0
	v_subrev_u32_e32 v6, 25, v0
	v_add_u32_e32 v7, 0x198, v7
	s_movk_i32 s10, 0x3f0
	s_mov_b64 s[2:3], 0
.LBB101_104:                            ; =>This Inner Loop Header: Depth=1
	v_add_u32_e32 v12, -8, v7
	scratch_load_dwordx4 v[126:129], v12, off
	v_mov_b32_e32 v12, s10
	ds_read_b128 v[130:133], v12
	v_add_u32_e32 v6, -1, v6
	s_add_i32 s10, s10, 16
	v_cmp_eq_u32_e32 vcc, 0, v6
	v_add_u32_e32 v7, 16, v7
	s_or_b64 s[2:3], vcc, s[2:3]
	s_waitcnt vmcnt(0) lgkmcnt(0)
	v_mul_f64 v[12:13], v[132:133], v[128:129]
	v_mul_f64 v[128:129], v[130:131], v[128:129]
	v_fma_f64 v[12:13], v[130:131], v[126:127], -v[12:13]
	v_fmac_f64_e32 v[128:129], v[132:133], v[126:127]
	v_add_f64 v[2:3], v[2:3], v[12:13]
	v_add_f64 v[4:5], v[4:5], v[128:129]
	s_andn2_b64 exec, exec, s[2:3]
	s_cbranch_execnz .LBB101_104
; %bb.105:
	s_or_b64 exec, exec, s[2:3]
.LBB101_106:
	s_or_b64 exec, exec, s[8:9]
	v_mov_b32_e32 v6, 0
	ds_read_b128 v[126:129], v6 offset:384
	s_waitcnt lgkmcnt(0)
	v_mul_f64 v[6:7], v[4:5], v[128:129]
	v_mul_f64 v[130:131], v[2:3], v[128:129]
	v_fma_f64 v[128:129], v[2:3], v[126:127], -v[6:7]
	v_fmac_f64_e32 v[130:131], v[4:5], v[126:127]
	scratch_store_dwordx4 off, v[128:131], off offset:384
.LBB101_107:
	s_or_b64 exec, exec, s[4:5]
	scratch_load_dwordx4 v[2:5], v102, off
	v_cmp_lt_u32_e64 s[2:3], 23, v0
	s_waitcnt vmcnt(0)
	ds_write_b128 v11, v[2:5]
	s_waitcnt lgkmcnt(0)
	; wave barrier
	s_waitcnt lgkmcnt(0)
	s_and_saveexec_b64 s[4:5], s[2:3]
	s_cbranch_execz .LBB101_115
; %bb.108:
	ds_read_b128 v[2:5], v11
	s_andn2_b64 vcc, exec, s[6:7]
	s_cbranch_vccnz .LBB101_110
; %bb.109:
	scratch_load_dwordx4 v[126:129], v10, off
	s_waitcnt vmcnt(0) lgkmcnt(0)
	v_mul_f64 v[12:13], v[2:3], v[128:129]
	v_mul_f64 v[6:7], v[4:5], v[128:129]
	v_fmac_f64_e32 v[12:13], v[4:5], v[126:127]
	v_fma_f64 v[2:3], v[2:3], v[126:127], -v[6:7]
	v_mov_b64_e32 v[4:5], v[12:13]
.LBB101_110:
	s_and_saveexec_b64 s[8:9], s[0:1]
	s_cbranch_execz .LBB101_114
; %bb.111:
	v_mov_b32_e32 v7, 0
	v_subrev_u32_e32 v6, 24, v0
	v_add_u32_e32 v7, 0x188, v7
	s_movk_i32 s10, 0x3e0
	s_mov_b64 s[0:1], 0
.LBB101_112:                            ; =>This Inner Loop Header: Depth=1
	v_add_u32_e32 v12, -8, v7
	scratch_load_dwordx4 v[126:129], v12, off
	v_mov_b32_e32 v12, s10
	ds_read_b128 v[130:133], v12
	v_add_u32_e32 v6, -1, v6
	s_add_i32 s10, s10, 16
	v_cmp_eq_u32_e32 vcc, 0, v6
	v_add_u32_e32 v7, 16, v7
	s_or_b64 s[0:1], vcc, s[0:1]
	s_waitcnt vmcnt(0) lgkmcnt(0)
	v_mul_f64 v[12:13], v[132:133], v[128:129]
	v_mul_f64 v[128:129], v[130:131], v[128:129]
	v_fma_f64 v[12:13], v[130:131], v[126:127], -v[12:13]
	v_fmac_f64_e32 v[128:129], v[132:133], v[126:127]
	v_add_f64 v[2:3], v[2:3], v[12:13]
	v_add_f64 v[4:5], v[4:5], v[128:129]
	s_andn2_b64 exec, exec, s[0:1]
	s_cbranch_execnz .LBB101_112
; %bb.113:
	s_or_b64 exec, exec, s[0:1]
.LBB101_114:
	s_or_b64 exec, exec, s[8:9]
	v_mov_b32_e32 v6, 0
	ds_read_b128 v[126:129], v6 offset:368
	s_waitcnt lgkmcnt(0)
	v_mul_f64 v[6:7], v[4:5], v[128:129]
	v_mul_f64 v[130:131], v[2:3], v[128:129]
	v_fma_f64 v[128:129], v[2:3], v[126:127], -v[6:7]
	v_fmac_f64_e32 v[130:131], v[4:5], v[126:127]
	scratch_store_dwordx4 off, v[128:131], off offset:368
.LBB101_115:
	;; [unrolled: 63-line block ×9, first 2 shown]
	s_or_b64 exec, exec, s[4:5]
	scratch_load_dwordx4 v[2:5], v110, off
	v_cmp_lt_u32_e64 s[2:3], 15, v0
	s_waitcnt vmcnt(0)
	ds_write_b128 v11, v[2:5]
	s_waitcnt lgkmcnt(0)
	; wave barrier
	s_waitcnt lgkmcnt(0)
	s_and_saveexec_b64 s[4:5], s[2:3]
	s_cbranch_execz .LBB101_179
; %bb.172:
	ds_read_b128 v[2:5], v11
	s_andn2_b64 vcc, exec, s[6:7]
	s_cbranch_vccnz .LBB101_174
; %bb.173:
	scratch_load_dwordx4 v[126:129], v10, off
	s_waitcnt vmcnt(0) lgkmcnt(0)
	v_mul_f64 v[12:13], v[2:3], v[128:129]
	v_mul_f64 v[6:7], v[4:5], v[128:129]
	v_fmac_f64_e32 v[12:13], v[4:5], v[126:127]
	v_fma_f64 v[2:3], v[2:3], v[126:127], -v[6:7]
	v_mov_b64_e32 v[4:5], v[12:13]
.LBB101_174:
	s_and_saveexec_b64 s[8:9], s[0:1]
	s_cbranch_execz .LBB101_178
; %bb.175:
	v_mov_b32_e32 v7, 0
	v_add_u32_e32 v6, -16, v0
	v_add_u32_e32 v7, 0x108, v7
	s_movk_i32 s10, 0x360
	s_mov_b64 s[0:1], 0
.LBB101_176:                            ; =>This Inner Loop Header: Depth=1
	v_add_u32_e32 v12, -8, v7
	scratch_load_dwordx4 v[126:129], v12, off
	v_mov_b32_e32 v12, s10
	ds_read_b128 v[130:133], v12
	v_add_u32_e32 v6, -1, v6
	s_add_i32 s10, s10, 16
	v_cmp_eq_u32_e32 vcc, 0, v6
	v_add_u32_e32 v7, 16, v7
	s_or_b64 s[0:1], vcc, s[0:1]
	s_waitcnt vmcnt(0) lgkmcnt(0)
	v_mul_f64 v[12:13], v[132:133], v[128:129]
	v_mul_f64 v[128:129], v[130:131], v[128:129]
	v_fma_f64 v[12:13], v[130:131], v[126:127], -v[12:13]
	v_fmac_f64_e32 v[128:129], v[132:133], v[126:127]
	v_add_f64 v[2:3], v[2:3], v[12:13]
	v_add_f64 v[4:5], v[4:5], v[128:129]
	s_andn2_b64 exec, exec, s[0:1]
	s_cbranch_execnz .LBB101_176
; %bb.177:
	s_or_b64 exec, exec, s[0:1]
.LBB101_178:
	s_or_b64 exec, exec, s[8:9]
	v_mov_b32_e32 v6, 0
	ds_read_b128 v[126:129], v6 offset:240
	s_waitcnt lgkmcnt(0)
	v_mul_f64 v[6:7], v[4:5], v[128:129]
	v_mul_f64 v[130:131], v[2:3], v[128:129]
	v_fma_f64 v[128:129], v[2:3], v[126:127], -v[6:7]
	v_fmac_f64_e32 v[130:131], v[4:5], v[126:127]
	scratch_store_dwordx4 off, v[128:131], off offset:240
.LBB101_179:
	s_or_b64 exec, exec, s[4:5]
	scratch_load_dwordx4 v[2:5], v111, off
	v_cmp_lt_u32_e64 s[0:1], 14, v0
	s_waitcnt vmcnt(0)
	ds_write_b128 v11, v[2:5]
	s_waitcnt lgkmcnt(0)
	; wave barrier
	s_waitcnt lgkmcnt(0)
	s_and_saveexec_b64 s[4:5], s[0:1]
	s_cbranch_execz .LBB101_187
; %bb.180:
	ds_read_b128 v[2:5], v11
	s_andn2_b64 vcc, exec, s[6:7]
	s_cbranch_vccnz .LBB101_182
; %bb.181:
	scratch_load_dwordx4 v[126:129], v10, off
	s_waitcnt vmcnt(0) lgkmcnt(0)
	v_mul_f64 v[12:13], v[2:3], v[128:129]
	v_mul_f64 v[6:7], v[4:5], v[128:129]
	v_fmac_f64_e32 v[12:13], v[4:5], v[126:127]
	v_fma_f64 v[2:3], v[2:3], v[126:127], -v[6:7]
	v_mov_b64_e32 v[4:5], v[12:13]
.LBB101_182:
	s_and_saveexec_b64 s[8:9], s[2:3]
	s_cbranch_execz .LBB101_186
; %bb.183:
	v_mov_b32_e32 v7, 0
	v_add_u32_e32 v6, -15, v0
	v_add_u32_e32 v7, 0xf8, v7
	s_movk_i32 s10, 0x350
	s_mov_b64 s[2:3], 0
.LBB101_184:                            ; =>This Inner Loop Header: Depth=1
	v_add_u32_e32 v12, -8, v7
	scratch_load_dwordx4 v[126:129], v12, off
	v_mov_b32_e32 v12, s10
	ds_read_b128 v[130:133], v12
	v_add_u32_e32 v6, -1, v6
	s_add_i32 s10, s10, 16
	v_cmp_eq_u32_e32 vcc, 0, v6
	v_add_u32_e32 v7, 16, v7
	s_or_b64 s[2:3], vcc, s[2:3]
	s_waitcnt vmcnt(0) lgkmcnt(0)
	v_mul_f64 v[12:13], v[132:133], v[128:129]
	v_mul_f64 v[128:129], v[130:131], v[128:129]
	v_fma_f64 v[12:13], v[130:131], v[126:127], -v[12:13]
	v_fmac_f64_e32 v[128:129], v[132:133], v[126:127]
	v_add_f64 v[2:3], v[2:3], v[12:13]
	v_add_f64 v[4:5], v[4:5], v[128:129]
	s_andn2_b64 exec, exec, s[2:3]
	s_cbranch_execnz .LBB101_184
; %bb.185:
	s_or_b64 exec, exec, s[2:3]
.LBB101_186:
	s_or_b64 exec, exec, s[8:9]
	v_mov_b32_e32 v6, 0
	ds_read_b128 v[126:129], v6 offset:224
	s_waitcnt lgkmcnt(0)
	v_mul_f64 v[6:7], v[4:5], v[128:129]
	v_mul_f64 v[130:131], v[2:3], v[128:129]
	v_fma_f64 v[128:129], v[2:3], v[126:127], -v[6:7]
	v_fmac_f64_e32 v[130:131], v[4:5], v[126:127]
	scratch_store_dwordx4 off, v[128:131], off offset:224
.LBB101_187:
	;; [unrolled: 63-line block ×15, first 2 shown]
	s_or_b64 exec, exec, s[2:3]
	scratch_load_dwordx4 v[2:5], off, off
	v_cmp_ne_u32_e32 vcc, 0, v0
	s_mov_b64 s[2:3], 0
	s_mov_b64 s[4:5], 0
                                        ; implicit-def: $vgpr6_vgpr7
                                        ; implicit-def: $vgpr12
	s_waitcnt vmcnt(0)
	ds_write_b128 v11, v[2:5]
	s_waitcnt lgkmcnt(0)
	; wave barrier
	s_waitcnt lgkmcnt(0)
	s_and_saveexec_b64 s[8:9], vcc
	s_cbranch_execz .LBB101_299
; %bb.292:
	ds_read_b128 v[2:5], v11
	s_andn2_b64 vcc, exec, s[6:7]
	s_cbranch_vccnz .LBB101_294
; %bb.293:
	scratch_load_dwordx4 v[126:129], v10, off
	s_waitcnt vmcnt(0) lgkmcnt(0)
	v_mul_f64 v[12:13], v[2:3], v[128:129]
	v_mul_f64 v[6:7], v[4:5], v[128:129]
	v_fmac_f64_e32 v[12:13], v[4:5], v[126:127]
	v_fma_f64 v[2:3], v[2:3], v[126:127], -v[6:7]
	v_mov_b64_e32 v[4:5], v[12:13]
.LBB101_294:
	s_and_saveexec_b64 s[4:5], s[0:1]
	s_cbranch_execz .LBB101_298
; %bb.295:
	v_mov_b32_e32 v7, 0
	v_add_u32_e32 v6, -1, v0
	v_add_u32_e32 v7, 24, v7
	s_movk_i32 s10, 0x270
	s_mov_b64 s[0:1], 0
.LBB101_296:                            ; =>This Inner Loop Header: Depth=1
	v_add_u32_e32 v12, -8, v7
	scratch_load_dwordx4 v[126:129], v12, off
	v_mov_b32_e32 v12, s10
	ds_read_b128 v[130:133], v12
	v_add_u32_e32 v6, -1, v6
	s_add_i32 s10, s10, 16
	v_cmp_eq_u32_e32 vcc, 0, v6
	v_add_u32_e32 v7, 16, v7
	s_or_b64 s[0:1], vcc, s[0:1]
	s_waitcnt vmcnt(0) lgkmcnt(0)
	v_mul_f64 v[12:13], v[132:133], v[128:129]
	v_mul_f64 v[128:129], v[130:131], v[128:129]
	v_fma_f64 v[12:13], v[130:131], v[126:127], -v[12:13]
	v_fmac_f64_e32 v[128:129], v[132:133], v[126:127]
	v_add_f64 v[2:3], v[2:3], v[12:13]
	v_add_f64 v[4:5], v[4:5], v[128:129]
	s_andn2_b64 exec, exec, s[0:1]
	s_cbranch_execnz .LBB101_296
; %bb.297:
	s_or_b64 exec, exec, s[0:1]
.LBB101_298:
	s_or_b64 exec, exec, s[4:5]
	v_mov_b32_e32 v6, 0
	ds_read_b128 v[126:129], v6
	v_mov_b32_e32 v6, 0
	v_or_b32_e32 v12, 8, v6
	s_mov_b64 s[4:5], exec
	s_waitcnt lgkmcnt(0)
	v_mul_f64 v[130:131], v[4:5], v[128:129]
	v_mul_f64 v[6:7], v[2:3], v[128:129]
	v_fma_f64 v[2:3], v[2:3], v[126:127], -v[130:131]
	v_fmac_f64_e32 v[6:7], v[4:5], v[126:127]
	scratch_store_dwordx2 off, v[2:3], off
.LBB101_299:
	s_or_b64 exec, exec, s[8:9]
	s_and_b64 vcc, exec, s[2:3]
	s_cbranch_vccnz .LBB101_301
	s_branch .LBB101_592
.LBB101_300:
	s_mov_b64 s[4:5], 0
                                        ; implicit-def: $vgpr6_vgpr7
                                        ; implicit-def: $vgpr12
	s_cbranch_execz .LBB101_592
.LBB101_301:
	scratch_load_dwordx4 v[2:5], v124, off
	v_cndmask_b32_e64 v6, 0, 1, s[6:7]
	v_cmp_eq_u32_e64 s[2:3], 0, v0
	v_cmp_ne_u32_e64 s[0:1], 1, v6
	s_waitcnt vmcnt(0)
	ds_write_b128 v11, v[2:5]
	s_waitcnt lgkmcnt(0)
	; wave barrier
	s_waitcnt lgkmcnt(0)
	s_and_saveexec_b64 s[6:7], s[2:3]
	s_cbranch_execz .LBB101_305
; %bb.302:
	ds_read_b128 v[2:5], v11
	s_and_b64 vcc, exec, s[0:1]
	s_cbranch_vccnz .LBB101_304
; %bb.303:
	scratch_load_dwordx4 v[126:129], v10, off
	s_waitcnt vmcnt(0) lgkmcnt(0)
	v_mul_f64 v[12:13], v[2:3], v[128:129]
	v_mul_f64 v[6:7], v[4:5], v[128:129]
	v_fmac_f64_e32 v[12:13], v[4:5], v[126:127]
	v_fma_f64 v[2:3], v[2:3], v[126:127], -v[6:7]
	v_mov_b64_e32 v[4:5], v[12:13]
.LBB101_304:
	v_mov_b32_e32 v6, 0
	ds_read_b128 v[126:129], v6 offset:16
	s_waitcnt lgkmcnt(0)
	v_mul_f64 v[6:7], v[4:5], v[128:129]
	v_mul_f64 v[130:131], v[2:3], v[128:129]
	v_fma_f64 v[128:129], v[2:3], v[126:127], -v[6:7]
	v_fmac_f64_e32 v[130:131], v[4:5], v[126:127]
	scratch_store_dwordx4 off, v[128:131], off offset:16
.LBB101_305:
	s_or_b64 exec, exec, s[6:7]
	scratch_load_dwordx4 v[2:5], v123, off
	v_cmp_gt_u32_e32 vcc, 2, v0
	s_waitcnt vmcnt(0)
	ds_write_b128 v11, v[2:5]
	s_waitcnt lgkmcnt(0)
	; wave barrier
	s_waitcnt lgkmcnt(0)
	s_and_saveexec_b64 s[6:7], vcc
	s_cbranch_execz .LBB101_311
; %bb.306:
	ds_read_b128 v[2:5], v11
	s_and_b64 vcc, exec, s[0:1]
	s_cbranch_vccnz .LBB101_308
; %bb.307:
	scratch_load_dwordx4 v[126:129], v10, off
	s_waitcnt vmcnt(0) lgkmcnt(0)
	v_mul_f64 v[12:13], v[2:3], v[128:129]
	v_mul_f64 v[6:7], v[4:5], v[128:129]
	v_fmac_f64_e32 v[12:13], v[4:5], v[126:127]
	v_fma_f64 v[2:3], v[2:3], v[126:127], -v[6:7]
	v_mov_b64_e32 v[4:5], v[12:13]
.LBB101_308:
	s_and_saveexec_b64 s[8:9], s[2:3]
	s_cbranch_execz .LBB101_310
; %bb.309:
	scratch_load_dwordx4 v[126:129], v10, off offset:16
	ds_read_b128 v[130:133], v11 offset:16
	s_waitcnt vmcnt(0) lgkmcnt(0)
	v_mul_f64 v[6:7], v[132:133], v[128:129]
	v_mul_f64 v[12:13], v[130:131], v[128:129]
	v_fma_f64 v[6:7], v[130:131], v[126:127], -v[6:7]
	v_fmac_f64_e32 v[12:13], v[132:133], v[126:127]
	v_add_f64 v[2:3], v[2:3], v[6:7]
	v_add_f64 v[4:5], v[4:5], v[12:13]
.LBB101_310:
	s_or_b64 exec, exec, s[8:9]
	v_mov_b32_e32 v6, 0
	ds_read_b128 v[126:129], v6 offset:32
	s_waitcnt lgkmcnt(0)
	v_mul_f64 v[6:7], v[4:5], v[128:129]
	v_mul_f64 v[130:131], v[2:3], v[128:129]
	v_fma_f64 v[128:129], v[2:3], v[126:127], -v[6:7]
	v_fmac_f64_e32 v[130:131], v[4:5], v[126:127]
	scratch_store_dwordx4 off, v[128:131], off offset:32
.LBB101_311:
	s_or_b64 exec, exec, s[6:7]
	scratch_load_dwordx4 v[2:5], v122, off
	v_cmp_gt_u32_e32 vcc, 3, v0
	s_waitcnt vmcnt(0)
	ds_write_b128 v11, v[2:5]
	s_waitcnt lgkmcnt(0)
	; wave barrier
	s_waitcnt lgkmcnt(0)
	s_and_saveexec_b64 s[6:7], vcc
	s_cbranch_execz .LBB101_319
; %bb.312:
	ds_read_b128 v[2:5], v11
	s_and_b64 vcc, exec, s[0:1]
	s_cbranch_vccnz .LBB101_314
; %bb.313:
	scratch_load_dwordx4 v[126:129], v10, off
	s_waitcnt vmcnt(0) lgkmcnt(0)
	v_mul_f64 v[12:13], v[2:3], v[128:129]
	v_mul_f64 v[6:7], v[4:5], v[128:129]
	v_fmac_f64_e32 v[12:13], v[4:5], v[126:127]
	v_fma_f64 v[2:3], v[2:3], v[126:127], -v[6:7]
	v_mov_b64_e32 v[4:5], v[12:13]
.LBB101_314:
	v_cmp_ne_u32_e32 vcc, 2, v0
	s_and_saveexec_b64 s[8:9], vcc
	s_cbranch_execz .LBB101_318
; %bb.315:
	scratch_load_dwordx4 v[126:129], v10, off offset:16
	ds_read_b128 v[130:133], v11 offset:16
	s_waitcnt vmcnt(0) lgkmcnt(0)
	v_mul_f64 v[6:7], v[132:133], v[128:129]
	v_mul_f64 v[12:13], v[130:131], v[128:129]
	v_fma_f64 v[6:7], v[130:131], v[126:127], -v[6:7]
	v_fmac_f64_e32 v[12:13], v[132:133], v[126:127]
	v_add_f64 v[2:3], v[2:3], v[6:7]
	v_add_f64 v[4:5], v[4:5], v[12:13]
	s_and_saveexec_b64 s[10:11], s[2:3]
	s_cbranch_execz .LBB101_317
; %bb.316:
	scratch_load_dwordx4 v[126:129], off, off offset:32
	v_mov_b32_e32 v6, 0
	ds_read_b128 v[130:133], v6 offset:640
	s_waitcnt vmcnt(0) lgkmcnt(0)
	v_mul_f64 v[6:7], v[130:131], v[128:129]
	v_mul_f64 v[12:13], v[132:133], v[128:129]
	v_fmac_f64_e32 v[6:7], v[132:133], v[126:127]
	v_fma_f64 v[12:13], v[130:131], v[126:127], -v[12:13]
	v_add_f64 v[4:5], v[4:5], v[6:7]
	v_add_f64 v[2:3], v[2:3], v[12:13]
.LBB101_317:
	s_or_b64 exec, exec, s[10:11]
.LBB101_318:
	s_or_b64 exec, exec, s[8:9]
	v_mov_b32_e32 v6, 0
	ds_read_b128 v[126:129], v6 offset:48
	s_waitcnt lgkmcnt(0)
	v_mul_f64 v[6:7], v[4:5], v[128:129]
	v_mul_f64 v[130:131], v[2:3], v[128:129]
	v_fma_f64 v[128:129], v[2:3], v[126:127], -v[6:7]
	v_fmac_f64_e32 v[130:131], v[4:5], v[126:127]
	scratch_store_dwordx4 off, v[128:131], off offset:48
.LBB101_319:
	s_or_b64 exec, exec, s[6:7]
	scratch_load_dwordx4 v[2:5], v121, off
	v_cmp_gt_u32_e32 vcc, 4, v0
	s_waitcnt vmcnt(0)
	ds_write_b128 v11, v[2:5]
	s_waitcnt lgkmcnt(0)
	; wave barrier
	s_waitcnt lgkmcnt(0)
	s_and_saveexec_b64 s[2:3], vcc
	s_cbranch_execz .LBB101_327
; %bb.320:
	ds_read_b128 v[2:5], v11
	s_and_b64 vcc, exec, s[0:1]
	s_cbranch_vccnz .LBB101_322
; %bb.321:
	scratch_load_dwordx4 v[126:129], v10, off
	s_waitcnt vmcnt(0) lgkmcnt(0)
	v_mul_f64 v[12:13], v[2:3], v[128:129]
	v_mul_f64 v[6:7], v[4:5], v[128:129]
	v_fmac_f64_e32 v[12:13], v[4:5], v[126:127]
	v_fma_f64 v[2:3], v[2:3], v[126:127], -v[6:7]
	v_mov_b64_e32 v[4:5], v[12:13]
.LBB101_322:
	v_cmp_ne_u32_e32 vcc, 3, v0
	s_and_saveexec_b64 s[6:7], vcc
	s_cbranch_execz .LBB101_326
; %bb.323:
	v_mov_b32_e32 v7, 0
	v_add_u32_e32 v6, 0x270, v90
	v_add3_u32 v7, v90, v7, 24
	s_mov_b64 s[8:9], 0
	v_mov_b32_e32 v12, v0
.LBB101_324:                            ; =>This Inner Loop Header: Depth=1
	v_add_u32_e32 v13, -8, v7
	scratch_load_dwordx4 v[126:129], v13, off
	ds_read_b128 v[130:133], v6
	v_add_u32_e32 v12, 1, v12
	v_cmp_lt_u32_e32 vcc, 2, v12
	v_add_u32_e32 v6, 16, v6
	v_add_u32_e32 v7, 16, v7
	s_or_b64 s[8:9], vcc, s[8:9]
	s_waitcnt vmcnt(0) lgkmcnt(0)
	v_mul_f64 v[134:135], v[132:133], v[128:129]
	v_mul_f64 v[128:129], v[130:131], v[128:129]
	v_fma_f64 v[130:131], v[130:131], v[126:127], -v[134:135]
	v_fmac_f64_e32 v[128:129], v[132:133], v[126:127]
	v_add_f64 v[2:3], v[2:3], v[130:131]
	v_add_f64 v[4:5], v[4:5], v[128:129]
	s_andn2_b64 exec, exec, s[8:9]
	s_cbranch_execnz .LBB101_324
; %bb.325:
	s_or_b64 exec, exec, s[8:9]
.LBB101_326:
	s_or_b64 exec, exec, s[6:7]
	v_mov_b32_e32 v6, 0
	ds_read_b128 v[126:129], v6 offset:64
	s_waitcnt lgkmcnt(0)
	v_mul_f64 v[6:7], v[4:5], v[128:129]
	v_mul_f64 v[130:131], v[2:3], v[128:129]
	v_fma_f64 v[128:129], v[2:3], v[126:127], -v[6:7]
	v_fmac_f64_e32 v[130:131], v[4:5], v[126:127]
	scratch_store_dwordx4 off, v[128:131], off offset:64
.LBB101_327:
	s_or_b64 exec, exec, s[2:3]
	scratch_load_dwordx4 v[2:5], v120, off
	v_cmp_gt_u32_e32 vcc, 5, v0
	s_waitcnt vmcnt(0)
	ds_write_b128 v11, v[2:5]
	s_waitcnt lgkmcnt(0)
	; wave barrier
	s_waitcnt lgkmcnt(0)
	s_and_saveexec_b64 s[2:3], vcc
	s_cbranch_execz .LBB101_335
; %bb.328:
	ds_read_b128 v[2:5], v11
	s_and_b64 vcc, exec, s[0:1]
	s_cbranch_vccnz .LBB101_330
; %bb.329:
	scratch_load_dwordx4 v[126:129], v10, off
	s_waitcnt vmcnt(0) lgkmcnt(0)
	v_mul_f64 v[12:13], v[2:3], v[128:129]
	v_mul_f64 v[6:7], v[4:5], v[128:129]
	v_fmac_f64_e32 v[12:13], v[4:5], v[126:127]
	v_fma_f64 v[2:3], v[2:3], v[126:127], -v[6:7]
	v_mov_b64_e32 v[4:5], v[12:13]
.LBB101_330:
	v_cmp_ne_u32_e32 vcc, 4, v0
	s_and_saveexec_b64 s[6:7], vcc
	s_cbranch_execz .LBB101_334
; %bb.331:
	v_mov_b32_e32 v7, 0
	v_add_u32_e32 v6, 0x270, v90
	v_add3_u32 v7, v90, v7, 24
	s_mov_b64 s[8:9], 0
	v_mov_b32_e32 v12, v0
.LBB101_332:                            ; =>This Inner Loop Header: Depth=1
	v_add_u32_e32 v13, -8, v7
	scratch_load_dwordx4 v[126:129], v13, off
	ds_read_b128 v[130:133], v6
	v_add_u32_e32 v12, 1, v12
	v_cmp_lt_u32_e32 vcc, 3, v12
	v_add_u32_e32 v6, 16, v6
	v_add_u32_e32 v7, 16, v7
	s_or_b64 s[8:9], vcc, s[8:9]
	s_waitcnt vmcnt(0) lgkmcnt(0)
	v_mul_f64 v[134:135], v[132:133], v[128:129]
	v_mul_f64 v[128:129], v[130:131], v[128:129]
	v_fma_f64 v[130:131], v[130:131], v[126:127], -v[134:135]
	v_fmac_f64_e32 v[128:129], v[132:133], v[126:127]
	v_add_f64 v[2:3], v[2:3], v[130:131]
	v_add_f64 v[4:5], v[4:5], v[128:129]
	s_andn2_b64 exec, exec, s[8:9]
	s_cbranch_execnz .LBB101_332
; %bb.333:
	s_or_b64 exec, exec, s[8:9]
.LBB101_334:
	s_or_b64 exec, exec, s[6:7]
	v_mov_b32_e32 v6, 0
	ds_read_b128 v[126:129], v6 offset:80
	s_waitcnt lgkmcnt(0)
	v_mul_f64 v[6:7], v[4:5], v[128:129]
	v_mul_f64 v[130:131], v[2:3], v[128:129]
	v_fma_f64 v[128:129], v[2:3], v[126:127], -v[6:7]
	v_fmac_f64_e32 v[130:131], v[4:5], v[126:127]
	scratch_store_dwordx4 off, v[128:131], off offset:80
.LBB101_335:
	;; [unrolled: 63-line block ×32, first 2 shown]
	s_or_b64 exec, exec, s[2:3]
	scratch_load_dwordx4 v[2:5], v8, off
	v_cmp_gt_u32_e64 s[2:3], 36, v0
	s_waitcnt vmcnt(0)
	ds_write_b128 v11, v[2:5]
	s_waitcnt lgkmcnt(0)
	; wave barrier
	s_waitcnt lgkmcnt(0)
	s_and_saveexec_b64 s[6:7], s[2:3]
	s_cbranch_execz .LBB101_583
; %bb.576:
	ds_read_b128 v[2:5], v11
	s_and_b64 vcc, exec, s[0:1]
	s_cbranch_vccnz .LBB101_578
; %bb.577:
	scratch_load_dwordx4 v[126:129], v10, off
	s_waitcnt vmcnt(0) lgkmcnt(0)
	v_mul_f64 v[12:13], v[2:3], v[128:129]
	v_mul_f64 v[6:7], v[4:5], v[128:129]
	v_fmac_f64_e32 v[12:13], v[4:5], v[126:127]
	v_fma_f64 v[2:3], v[2:3], v[126:127], -v[6:7]
	v_mov_b64_e32 v[4:5], v[12:13]
.LBB101_578:
	v_cmp_ne_u32_e32 vcc, 35, v0
	s_and_saveexec_b64 s[8:9], vcc
	s_cbranch_execz .LBB101_582
; %bb.579:
	v_mov_b32_e32 v7, 0
	v_add_u32_e32 v6, 0x270, v90
	v_add3_u32 v7, v90, v7, 24
	s_mov_b64 s[10:11], 0
	v_mov_b32_e32 v12, v0
.LBB101_580:                            ; =>This Inner Loop Header: Depth=1
	v_add_u32_e32 v13, -8, v7
	scratch_load_dwordx4 v[126:129], v13, off
	ds_read_b128 v[130:133], v6
	v_add_u32_e32 v12, 1, v12
	v_cmp_lt_u32_e32 vcc, 34, v12
	v_add_u32_e32 v6, 16, v6
	v_add_u32_e32 v7, 16, v7
	s_or_b64 s[10:11], vcc, s[10:11]
	s_waitcnt vmcnt(0) lgkmcnt(0)
	v_mul_f64 v[134:135], v[132:133], v[128:129]
	v_mul_f64 v[128:129], v[130:131], v[128:129]
	v_fma_f64 v[130:131], v[130:131], v[126:127], -v[134:135]
	v_fmac_f64_e32 v[128:129], v[132:133], v[126:127]
	v_add_f64 v[2:3], v[2:3], v[130:131]
	v_add_f64 v[4:5], v[4:5], v[128:129]
	s_andn2_b64 exec, exec, s[10:11]
	s_cbranch_execnz .LBB101_580
; %bb.581:
	s_or_b64 exec, exec, s[10:11]
.LBB101_582:
	s_or_b64 exec, exec, s[8:9]
	v_mov_b32_e32 v6, 0
	ds_read_b128 v[126:129], v6 offset:576
	s_waitcnt lgkmcnt(0)
	v_mul_f64 v[6:7], v[4:5], v[128:129]
	v_mul_f64 v[130:131], v[2:3], v[128:129]
	v_fma_f64 v[128:129], v[2:3], v[126:127], -v[6:7]
	v_fmac_f64_e32 v[130:131], v[4:5], v[126:127]
	scratch_store_dwordx4 off, v[128:131], off offset:576
.LBB101_583:
	s_or_b64 exec, exec, s[6:7]
	scratch_load_dwordx4 v[2:5], v1, off
	v_cmp_ne_u32_e32 vcc, 37, v0
                                        ; implicit-def: $vgpr6_vgpr7
                                        ; implicit-def: $vgpr12
	s_waitcnt vmcnt(0)
	ds_write_b128 v11, v[2:5]
	s_waitcnt lgkmcnt(0)
	; wave barrier
	s_waitcnt lgkmcnt(0)
	s_and_saveexec_b64 s[6:7], vcc
	s_cbranch_execz .LBB101_591
; %bb.584:
	ds_read_b128 v[2:5], v11
	s_and_b64 vcc, exec, s[0:1]
	s_cbranch_vccnz .LBB101_586
; %bb.585:
	scratch_load_dwordx4 v[10:13], v10, off
	s_waitcnt vmcnt(0) lgkmcnt(0)
	v_mul_f64 v[6:7], v[4:5], v[12:13]
	v_mul_f64 v[12:13], v[2:3], v[12:13]
	v_fmac_f64_e32 v[12:13], v[4:5], v[10:11]
	v_fma_f64 v[2:3], v[2:3], v[10:11], -v[6:7]
	v_mov_b64_e32 v[4:5], v[12:13]
.LBB101_586:
	s_and_saveexec_b64 s[0:1], s[2:3]
	s_cbranch_execz .LBB101_590
; %bb.587:
	v_mov_b32_e32 v7, 0
	v_add_u32_e32 v6, 0x270, v90
	v_add3_u32 v7, v90, v7, 24
	s_mov_b64 s[2:3], 0
.LBB101_588:                            ; =>This Inner Loop Header: Depth=1
	v_add_u32_e32 v10, -8, v7
	scratch_load_dwordx4 v[10:13], v10, off
	ds_read_b128 v[126:129], v6
	v_add_u32_e32 v0, 1, v0
	v_cmp_lt_u32_e32 vcc, 35, v0
	v_add_u32_e32 v6, 16, v6
	v_add_u32_e32 v7, 16, v7
	s_or_b64 s[2:3], vcc, s[2:3]
	s_waitcnt vmcnt(0) lgkmcnt(0)
	v_mul_f64 v[130:131], v[128:129], v[12:13]
	v_mul_f64 v[12:13], v[126:127], v[12:13]
	v_fma_f64 v[126:127], v[126:127], v[10:11], -v[130:131]
	v_fmac_f64_e32 v[12:13], v[128:129], v[10:11]
	v_add_f64 v[2:3], v[2:3], v[126:127]
	v_add_f64 v[4:5], v[4:5], v[12:13]
	s_andn2_b64 exec, exec, s[2:3]
	s_cbranch_execnz .LBB101_588
; %bb.589:
	s_or_b64 exec, exec, s[2:3]
.LBB101_590:
	s_or_b64 exec, exec, s[0:1]
	v_mov_b32_e32 v0, 0
	ds_read_b128 v[126:129], v0 offset:592
	v_mov_b32_e32 v0, 0
	v_add_u32_e32 v12, 0x258, v0
	s_or_b64 s[4:5], s[4:5], exec
	s_waitcnt lgkmcnt(0)
	v_mul_f64 v[10:11], v[4:5], v[128:129]
	v_mul_f64 v[6:7], v[2:3], v[128:129]
	v_fma_f64 v[2:3], v[2:3], v[126:127], -v[10:11]
	v_fmac_f64_e32 v[6:7], v[4:5], v[126:127]
	scratch_store_dwordx2 off, v[2:3], off offset:592
.LBB101_591:
	s_or_b64 exec, exec, s[6:7]
.LBB101_592:
	s_and_saveexec_b64 s[0:1], s[4:5]
	s_cbranch_execz .LBB101_594
; %bb.593:
	scratch_store_dwordx2 v12, v[6:7], off
.LBB101_594:
	s_or_b64 exec, exec, s[0:1]
	scratch_load_dwordx4 v[2:5], off, off
	scratch_load_dwordx4 v[10:13], v124, off
	scratch_load_dwordx4 v[126:129], v123, off
                                        ; kill: killed $vgpr124
                                        ; kill: killed $vgpr123
	s_nop 0
	scratch_load_dwordx4 v[122:125], v122, off
	s_nop 0
	scratch_load_dwordx4 v[130:133], v121, off
	scratch_load_dwordx4 v[134:137], v120, off
	scratch_load_dwordx4 v[138:141], v119, off
	s_nop 0
	scratch_load_dwordx4 v[118:121], v118, off
	s_nop 0
	scratch_load_dwordx4 v[142:145], v117, off
	scratch_load_dwordx4 v[146:149], v116, off
	scratch_load_dwordx4 v[150:153], v115, off
	;; [unrolled: 6-line block ×3, first 2 shown]
	s_nop 0
	scratch_load_dwordx4 v[110:113], v110, off
	s_waitcnt vmcnt(15)
	global_store_dwordx4 v[46:47], v[2:5], off
	scratch_load_dwordx4 v[2:5], v109, off
	s_nop 0
	scratch_load_dwordx4 v[166:169], v108, off
	s_waitcnt vmcnt(17)
	global_store_dwordx4 v[40:41], v[10:13], off
	scratch_load_dwordx4 v[10:13], v107, off
	;; [unrolled: 5-line block ×11, first 2 shown]
	s_nop 0
	scratch_load_dwordx4 v[150:153], v1, off
	s_waitcnt vmcnt(37)
	global_store_dwordx4 v[16:17], v[114:117], off
	s_waitcnt vmcnt(37)
	global_store_dwordx4 v[20:21], v[154:157], off
	;; [unrolled: 2-line block ×27, first 2 shown]
.LBB101_595:
	s_endpgm
	.section	.rodata,"a",@progbits
	.p2align	6, 0x0
	.amdhsa_kernel _ZN9rocsolver6v33100L18trti2_kernel_smallILi38E19rocblas_complex_numIdEPKPS3_EEv13rocblas_fill_17rocblas_diagonal_T1_iil
		.amdhsa_group_segment_fixed_size 1216
		.amdhsa_private_segment_fixed_size 624
		.amdhsa_kernarg_size 32
		.amdhsa_user_sgpr_count 2
		.amdhsa_user_sgpr_dispatch_ptr 0
		.amdhsa_user_sgpr_queue_ptr 0
		.amdhsa_user_sgpr_kernarg_segment_ptr 1
		.amdhsa_user_sgpr_dispatch_id 0
		.amdhsa_user_sgpr_kernarg_preload_length 0
		.amdhsa_user_sgpr_kernarg_preload_offset 0
		.amdhsa_user_sgpr_private_segment_size 0
		.amdhsa_uses_dynamic_stack 0
		.amdhsa_enable_private_segment 1
		.amdhsa_system_sgpr_workgroup_id_x 1
		.amdhsa_system_sgpr_workgroup_id_y 0
		.amdhsa_system_sgpr_workgroup_id_z 0
		.amdhsa_system_sgpr_workgroup_info 0
		.amdhsa_system_vgpr_workitem_id 0
		.amdhsa_next_free_vgpr 174
		.amdhsa_next_free_sgpr 12
		.amdhsa_accum_offset 176
		.amdhsa_reserve_vcc 1
		.amdhsa_float_round_mode_32 0
		.amdhsa_float_round_mode_16_64 0
		.amdhsa_float_denorm_mode_32 3
		.amdhsa_float_denorm_mode_16_64 3
		.amdhsa_dx10_clamp 1
		.amdhsa_ieee_mode 1
		.amdhsa_fp16_overflow 0
		.amdhsa_tg_split 0
		.amdhsa_exception_fp_ieee_invalid_op 0
		.amdhsa_exception_fp_denorm_src 0
		.amdhsa_exception_fp_ieee_div_zero 0
		.amdhsa_exception_fp_ieee_overflow 0
		.amdhsa_exception_fp_ieee_underflow 0
		.amdhsa_exception_fp_ieee_inexact 0
		.amdhsa_exception_int_div_zero 0
	.end_amdhsa_kernel
	.section	.text._ZN9rocsolver6v33100L18trti2_kernel_smallILi38E19rocblas_complex_numIdEPKPS3_EEv13rocblas_fill_17rocblas_diagonal_T1_iil,"axG",@progbits,_ZN9rocsolver6v33100L18trti2_kernel_smallILi38E19rocblas_complex_numIdEPKPS3_EEv13rocblas_fill_17rocblas_diagonal_T1_iil,comdat
.Lfunc_end101:
	.size	_ZN9rocsolver6v33100L18trti2_kernel_smallILi38E19rocblas_complex_numIdEPKPS3_EEv13rocblas_fill_17rocblas_diagonal_T1_iil, .Lfunc_end101-_ZN9rocsolver6v33100L18trti2_kernel_smallILi38E19rocblas_complex_numIdEPKPS3_EEv13rocblas_fill_17rocblas_diagonal_T1_iil
                                        ; -- End function
	.section	.AMDGPU.csdata,"",@progbits
; Kernel info:
; codeLenInByte = 25000
; NumSgprs: 18
; NumVgprs: 174
; NumAgprs: 0
; TotalNumVgprs: 174
; ScratchSize: 624
; MemoryBound: 0
; FloatMode: 240
; IeeeMode: 1
; LDSByteSize: 1216 bytes/workgroup (compile time only)
; SGPRBlocks: 2
; VGPRBlocks: 21
; NumSGPRsForWavesPerEU: 18
; NumVGPRsForWavesPerEU: 174
; AccumOffset: 176
; Occupancy: 2
; WaveLimiterHint : 1
; COMPUTE_PGM_RSRC2:SCRATCH_EN: 1
; COMPUTE_PGM_RSRC2:USER_SGPR: 2
; COMPUTE_PGM_RSRC2:TRAP_HANDLER: 0
; COMPUTE_PGM_RSRC2:TGID_X_EN: 1
; COMPUTE_PGM_RSRC2:TGID_Y_EN: 0
; COMPUTE_PGM_RSRC2:TGID_Z_EN: 0
; COMPUTE_PGM_RSRC2:TIDIG_COMP_CNT: 0
; COMPUTE_PGM_RSRC3_GFX90A:ACCUM_OFFSET: 43
; COMPUTE_PGM_RSRC3_GFX90A:TG_SPLIT: 0
	.section	.text._ZN9rocsolver6v33100L18trti2_kernel_smallILi39E19rocblas_complex_numIdEPKPS3_EEv13rocblas_fill_17rocblas_diagonal_T1_iil,"axG",@progbits,_ZN9rocsolver6v33100L18trti2_kernel_smallILi39E19rocblas_complex_numIdEPKPS3_EEv13rocblas_fill_17rocblas_diagonal_T1_iil,comdat
	.globl	_ZN9rocsolver6v33100L18trti2_kernel_smallILi39E19rocblas_complex_numIdEPKPS3_EEv13rocblas_fill_17rocblas_diagonal_T1_iil ; -- Begin function _ZN9rocsolver6v33100L18trti2_kernel_smallILi39E19rocblas_complex_numIdEPKPS3_EEv13rocblas_fill_17rocblas_diagonal_T1_iil
	.p2align	8
	.type	_ZN9rocsolver6v33100L18trti2_kernel_smallILi39E19rocblas_complex_numIdEPKPS3_EEv13rocblas_fill_17rocblas_diagonal_T1_iil,@function
_ZN9rocsolver6v33100L18trti2_kernel_smallILi39E19rocblas_complex_numIdEPKPS3_EEv13rocblas_fill_17rocblas_diagonal_T1_iil: ; @_ZN9rocsolver6v33100L18trti2_kernel_smallILi39E19rocblas_complex_numIdEPKPS3_EEv13rocblas_fill_17rocblas_diagonal_T1_iil
; %bb.0:
	v_cmp_gt_u32_e32 vcc, 39, v0
	s_and_saveexec_b64 s[4:5], vcc
	s_cbranch_execz .LBB102_611
; %bb.1:
	s_load_dwordx2 s[8:9], s[0:1], 0x10
	s_load_dwordx4 s[4:7], s[0:1], 0x0
	s_ashr_i32 s3, s2, 31
	s_lshl_b64 s[0:1], s[2:3], 3
	v_lshlrev_b32_e32 v58, 4, v0
	s_waitcnt lgkmcnt(0)
	s_ashr_i32 s3, s8, 31
	s_add_u32 s0, s6, s0
	s_addc_u32 s1, s7, s1
	s_load_dwordx2 s[0:1], s[0:1], 0x0
	s_mov_b32 s2, s8
	s_lshl_b64 s[2:3], s[2:3], 4
	v_mov_b32_e32 v59, 0
	v_mov_b32_e32 v1, 0
	s_waitcnt lgkmcnt(0)
	s_add_u32 s0, s0, s2
	s_addc_u32 s1, s1, s3
	v_lshl_add_u64 v[14:15], s[0:1], 0, v[58:59]
	s_ashr_i32 s3, s9, 31
	s_mov_b32 s2, s9
	v_lshl_add_u64 v[16:17], s[2:3], 4, v[14:15]
	s_add_i32 s2, s9, s9
	v_add_u32_e32 v20, s2, v0
	v_add_u32_e32 v22, s9, v20
	;; [unrolled: 1-line block ×6, first 2 shown]
	v_ashrrev_i32_e32 v21, 31, v20
	v_ashrrev_i32_e32 v23, 31, v22
	;; [unrolled: 1-line block ×6, first 2 shown]
	v_lshl_add_u64 v[18:19], v[20:21], 4, s[0:1]
	v_lshl_add_u64 v[20:21], v[22:23], 4, s[0:1]
	;; [unrolled: 1-line block ×6, first 2 shown]
	v_add_u32_e32 v30, s9, v30
	v_add_u32_e32 v32, s9, v30
	;; [unrolled: 1-line block ×6, first 2 shown]
	v_ashrrev_i32_e32 v43, 31, v42
	v_lshl_add_u64 v[40:41], v[42:43], 4, s[0:1]
	v_add_u32_e32 v42, s9, v42
	v_add_u32_e32 v44, s9, v42
	v_ashrrev_i32_e32 v33, 31, v32
	v_ashrrev_i32_e32 v37, 31, v36
	;; [unrolled: 1-line block ×3, first 2 shown]
	v_add_u32_e32 v46, s9, v44
	v_ashrrev_i32_e32 v31, 31, v30
	v_lshl_add_u64 v[32:33], v[32:33], 4, s[0:1]
	v_ashrrev_i32_e32 v35, 31, v34
	v_lshl_add_u64 v[36:37], v[36:37], 4, s[0:1]
	v_ashrrev_i32_e32 v39, 31, v38
	v_ashrrev_i32_e32 v43, 31, v42
	v_lshl_add_u64 v[44:45], v[44:45], 4, s[0:1]
	v_ashrrev_i32_e32 v47, 31, v46
	global_load_dwordx4 v[2:5], v58, s[0:1]
	global_load_dwordx4 v[6:9], v[16:17], off
	global_load_dwordx4 v[10:13], v[18:19], off
	;; [unrolled: 1-line block ×6, first 2 shown]
	v_lshl_add_u64 v[30:31], v[30:31], 4, s[0:1]
	global_load_dwordx4 v[76:79], v[28:29], off
	global_load_dwordx4 v[80:83], v[30:31], off
	v_lshl_add_u64 v[34:35], v[34:35], 4, s[0:1]
	global_load_dwordx4 v[84:87], v[32:33], off
	global_load_dwordx4 v[88:91], v[34:35], off
	;; [unrolled: 3-line block ×4, first 2 shown]
	v_add_u32_e32 v50, s9, v46
	v_lshl_add_u64 v[46:47], v[46:47], 4, s[0:1]
	global_load_dwordx4 v[108:111], v[44:45], off
	global_load_dwordx4 v[112:115], v[46:47], off
	v_ashrrev_i32_e32 v51, 31, v50
	v_lshl_add_u64 v[48:49], v[50:51], 4, s[0:1]
	v_add_u32_e32 v52, s9, v50
	global_load_dwordx4 v[116:119], v[48:49], off
	v_ashrrev_i32_e32 v53, 31, v52
	v_lshl_add_u64 v[50:51], v[52:53], 4, s[0:1]
	global_load_dwordx4 v[120:123], v[50:51], off
	v_add_u32_e32 v52, s9, v52
	v_add_u32_e32 v56, s9, v52
	v_ashrrev_i32_e32 v53, 31, v52
	v_lshl_add_u64 v[52:53], v[52:53], 4, s[0:1]
	v_ashrrev_i32_e32 v57, 31, v56
	v_lshl_add_u64 v[54:55], v[56:57], 4, s[0:1]
	s_cmpk_lg_i32 s5, 0x84
	s_cselect_b64 s[6:7], -1, 0
	s_cmpk_eq_i32 s5, 0x84
	s_waitcnt vmcnt(18)
	scratch_store_dwordx4 off, v[2:5], off
	s_waitcnt vmcnt(18)
	scratch_store_dwordx4 off, v[6:9], off offset:16
	s_waitcnt vmcnt(18)
	scratch_store_dwordx4 off, v[10:13], off offset:32
	;; [unrolled: 2-line block ×17, first 2 shown]
	v_add_u32_e32 v10, s9, v56
	v_add_u32_e32 v62, s9, v10
	;; [unrolled: 1-line block ×17, first 2 shown]
	v_ashrrev_i32_e32 v63, 31, v62
	v_ashrrev_i32_e32 v65, 31, v64
	;; [unrolled: 1-line block ×17, first 2 shown]
	v_lshl_add_u64 v[60:61], v[62:63], 4, s[0:1]
	v_lshl_add_u64 v[62:63], v[64:65], 4, s[0:1]
	;; [unrolled: 1-line block ×16, first 2 shown]
	v_add_u32_e32 v92, s9, v92
	global_load_dwordx4 v[2:5], v[52:53], off
	global_load_dwordx4 v[6:9], v[54:55], off
	v_lshl_add_u64 v[56:57], v[10:11], 4, s[0:1]
	s_waitcnt vmcnt(20)
	scratch_store_dwordx4 off, v[120:123], off offset:288
	v_ashrrev_i32_e32 v93, 31, v92
	global_load_dwordx4 v[10:13], v[56:57], off
	global_load_dwordx4 v[94:97], v[60:61], off
	;; [unrolled: 1-line block ×16, first 2 shown]
	v_lshl_add_u64 v[92:93], v[92:93], 4, s[0:1]
	global_load_dwordx4 v[154:157], v[90:91], off
	global_load_dwordx4 v[158:161], v[92:93], off
	s_waitcnt vmcnt(20)
	scratch_store_dwordx4 off, v[2:5], off offset:304
	s_waitcnt vmcnt(20)
	scratch_store_dwordx4 off, v[6:9], off offset:320
	s_waitcnt vmcnt(19)
	scratch_store_dwordx4 off, v[10:13], off offset:336
	s_waitcnt vmcnt(19)
	scratch_store_dwordx4 off, v[94:97], off offset:352
	s_waitcnt vmcnt(19)
	scratch_store_dwordx4 off, v[98:101], off offset:368
	s_waitcnt vmcnt(19)
	scratch_store_dwordx4 off, v[102:105], off offset:384
	s_waitcnt vmcnt(19)
	scratch_store_dwordx4 off, v[106:109], off offset:400
	s_waitcnt vmcnt(19)
	scratch_store_dwordx4 off, v[110:113], off offset:416
	s_waitcnt vmcnt(19)
	scratch_store_dwordx4 off, v[114:117], off offset:432
	s_waitcnt vmcnt(19)
	scratch_store_dwordx4 off, v[118:121], off offset:448
	s_waitcnt vmcnt(19)
	scratch_store_dwordx4 off, v[122:125], off offset:464
	s_waitcnt vmcnt(19)
	scratch_store_dwordx4 off, v[126:129], off offset:480
	s_waitcnt vmcnt(19)
	scratch_store_dwordx4 off, v[130:133], off offset:496
	s_waitcnt vmcnt(19)
	scratch_store_dwordx4 off, v[134:137], off offset:512
	s_waitcnt vmcnt(19)
	scratch_store_dwordx4 off, v[138:141], off offset:528
	s_waitcnt vmcnt(19)
	scratch_store_dwordx4 off, v[142:145], off offset:544
	s_waitcnt vmcnt(19)
	scratch_store_dwordx4 off, v[146:149], off offset:560
	s_waitcnt vmcnt(19)
	scratch_store_dwordx4 off, v[150:153], off offset:576
	s_waitcnt vmcnt(19)
	scratch_store_dwordx4 off, v[154:157], off offset:592
	s_waitcnt vmcnt(19)
	scratch_store_dwordx4 off, v[158:161], off offset:608
	s_cbranch_scc1 .LBB102_7
; %bb.2:
	scratch_load_dwordx4 v[6:9], v58, off
                                        ; implicit-def: $vgpr10_vgpr11
	s_waitcnt vmcnt(0)
	v_xor_b32_e32 v3, 0x80000000, v7
	v_cmp_gt_f64_e32 vcc, 0, v[6:7]
	v_xor_b32_e32 v4, 0x80000000, v9
	v_mov_b32_e32 v2, v6
	v_cndmask_b32_e32 v3, v7, v3, vcc
	v_cmp_gt_f64_e32 vcc, 0, v[8:9]
	s_nop 1
	v_cndmask_b32_e32 v5, v9, v4, vcc
	v_mov_b32_e32 v4, v8
	v_cmp_ngt_f64_e32 vcc, v[2:3], v[4:5]
                                        ; implicit-def: $vgpr2_vgpr3
	s_and_saveexec_b64 s[0:1], vcc
	s_xor_b64 s[0:1], exec, s[0:1]
	s_cbranch_execz .LBB102_4
; %bb.3:
	v_div_scale_f64 v[2:3], s[2:3], v[8:9], v[8:9], v[6:7]
	v_rcp_f64_e32 v[4:5], v[2:3]
	v_div_scale_f64 v[10:11], vcc, v[6:7], v[8:9], v[6:7]
	v_fma_f64 v[12:13], -v[2:3], v[4:5], 1.0
	v_fmac_f64_e32 v[4:5], v[4:5], v[12:13]
	v_fma_f64 v[12:13], -v[2:3], v[4:5], 1.0
	v_fmac_f64_e32 v[4:5], v[4:5], v[12:13]
	v_mul_f64 v[12:13], v[10:11], v[4:5]
	v_fma_f64 v[2:3], -v[2:3], v[12:13], v[10:11]
	v_div_fmas_f64 v[2:3], v[2:3], v[4:5], v[12:13]
	v_div_fixup_f64 v[2:3], v[2:3], v[8:9], v[6:7]
	v_fmac_f64_e32 v[8:9], v[6:7], v[2:3]
	v_div_scale_f64 v[4:5], s[2:3], v[8:9], v[8:9], 1.0
	v_rcp_f64_e32 v[6:7], v[4:5]
	s_nop 0
	v_fma_f64 v[10:11], -v[4:5], v[6:7], 1.0
	v_fmac_f64_e32 v[6:7], v[6:7], v[10:11]
	v_fma_f64 v[10:11], -v[4:5], v[6:7], 1.0
	v_fmac_f64_e32 v[6:7], v[6:7], v[10:11]
	v_div_scale_f64 v[10:11], vcc, 1.0, v[8:9], 1.0
	v_mul_f64 v[12:13], v[10:11], v[6:7]
	v_fma_f64 v[4:5], -v[4:5], v[12:13], v[10:11]
	s_nop 1
	v_div_fmas_f64 v[4:5], v[4:5], v[6:7], v[12:13]
	v_div_fixup_f64 v[4:5], v[4:5], v[8:9], 1.0
	v_mul_f64 v[2:3], v[2:3], v[4:5]
	v_xor_b32_e32 v5, 0x80000000, v5
	v_xor_b32_e32 v11, 0x80000000, v3
	v_mov_b32_e32 v10, v2
                                        ; implicit-def: $vgpr6_vgpr7
.LBB102_4:
	s_or_saveexec_b64 s[0:1], s[0:1]
	v_add_u32_e32 v12, 0, v58
	s_xor_b64 exec, exec, s[0:1]
	s_cbranch_execz .LBB102_6
; %bb.5:
	v_div_scale_f64 v[2:3], s[2:3], v[6:7], v[6:7], v[8:9]
	v_rcp_f64_e32 v[4:5], v[2:3]
	v_div_scale_f64 v[10:11], vcc, v[8:9], v[6:7], v[8:9]
	v_fma_f64 v[94:95], -v[2:3], v[4:5], 1.0
	v_fmac_f64_e32 v[4:5], v[4:5], v[94:95]
	v_fma_f64 v[94:95], -v[2:3], v[4:5], 1.0
	v_fmac_f64_e32 v[4:5], v[4:5], v[94:95]
	v_mul_f64 v[94:95], v[10:11], v[4:5]
	v_fma_f64 v[2:3], -v[2:3], v[94:95], v[10:11]
	v_div_fmas_f64 v[2:3], v[2:3], v[4:5], v[94:95]
	v_div_fixup_f64 v[4:5], v[2:3], v[6:7], v[8:9]
	v_fmac_f64_e32 v[6:7], v[8:9], v[4:5]
	v_div_scale_f64 v[2:3], s[2:3], v[6:7], v[6:7], 1.0
	v_rcp_f64_e32 v[8:9], v[2:3]
	s_nop 0
	v_fma_f64 v[10:11], -v[2:3], v[8:9], 1.0
	v_fmac_f64_e32 v[8:9], v[8:9], v[10:11]
	v_fma_f64 v[10:11], -v[2:3], v[8:9], 1.0
	v_fmac_f64_e32 v[8:9], v[8:9], v[10:11]
	v_div_scale_f64 v[10:11], vcc, 1.0, v[6:7], 1.0
	v_mul_f64 v[94:95], v[10:11], v[8:9]
	v_fma_f64 v[2:3], -v[2:3], v[94:95], v[10:11]
	s_nop 1
	v_div_fmas_f64 v[2:3], v[2:3], v[8:9], v[94:95]
	v_div_fixup_f64 v[2:3], v[2:3], v[6:7], 1.0
	v_xor_b32_e32 v11, 0x80000000, v3
	v_mov_b32_e32 v10, v2
	v_mul_f64 v[4:5], v[4:5], -v[2:3]
.LBB102_6:
	s_or_b64 exec, exec, s[0:1]
	scratch_store_dwordx4 v12, v[2:5], off
	s_nop 1
	v_xor_b32_e32 v5, 0x80000000, v5
	s_branch .LBB102_8
.LBB102_7:
	v_mov_b64_e32 v[4:5], 0
	v_mov_b64_e32 v[10:11], -1.0
.LBB102_8:
	v_mov_b32_e32 v12, v4
	v_mov_b32_e32 v13, v5
	v_add_u32_e32 v126, 16, v1
	v_add_u32_e32 v127, 32, v1
	;; [unrolled: 1-line block ×38, first 2 shown]
	ds_write_b128 v58, v[10:13]
	s_cmpk_eq_i32 s4, 0x79
	v_add_u32_e32 v11, 0x270, v58
	v_add_u32_e32 v10, 0, v58
	s_cbranch_scc1 .LBB102_308
; %bb.9:
	scratch_load_dwordx4 v[2:5], v8, off
	v_cmp_eq_u32_e64 s[0:1], 38, v0
	s_waitcnt vmcnt(0)
	ds_write_b128 v11, v[2:5]
	s_waitcnt lgkmcnt(0)
	; wave barrier
	s_waitcnt lgkmcnt(0)
	s_and_saveexec_b64 s[2:3], s[0:1]
	s_cbranch_execz .LBB102_13
; %bb.10:
	ds_read_b128 v[2:5], v11
	s_andn2_b64 vcc, exec, s[6:7]
	s_cbranch_vccnz .LBB102_12
; %bb.11:
	scratch_load_dwordx4 v[128:131], v10, off
	s_waitcnt vmcnt(0) lgkmcnt(0)
	v_mul_f64 v[12:13], v[2:3], v[130:131]
	v_mul_f64 v[6:7], v[4:5], v[130:131]
	v_fmac_f64_e32 v[12:13], v[4:5], v[128:129]
	v_fma_f64 v[2:3], v[2:3], v[128:129], -v[6:7]
	v_mov_b64_e32 v[4:5], v[12:13]
.LBB102_12:
	v_mov_b32_e32 v6, 0
	ds_read_b128 v[128:131], v6 offset:592
	s_waitcnt lgkmcnt(0)
	v_mul_f64 v[6:7], v[4:5], v[130:131]
	v_mul_f64 v[132:133], v[2:3], v[130:131]
	v_fma_f64 v[130:131], v[2:3], v[128:129], -v[6:7]
	v_fmac_f64_e32 v[132:133], v[4:5], v[128:129]
	scratch_store_dwordx4 off, v[130:133], off offset:592
.LBB102_13:
	s_or_b64 exec, exec, s[2:3]
	scratch_load_dwordx4 v[2:5], v9, off
	v_cmp_lt_u32_e64 s[2:3], 36, v0
	s_waitcnt vmcnt(0)
	ds_write_b128 v11, v[2:5]
	s_waitcnt lgkmcnt(0)
	; wave barrier
	s_waitcnt lgkmcnt(0)
	s_and_saveexec_b64 s[4:5], s[2:3]
	s_cbranch_execz .LBB102_19
; %bb.14:
	ds_read_b128 v[2:5], v11
	s_andn2_b64 vcc, exec, s[6:7]
	s_cbranch_vccnz .LBB102_16
; %bb.15:
	scratch_load_dwordx4 v[128:131], v10, off
	s_waitcnt vmcnt(0) lgkmcnt(0)
	v_mul_f64 v[12:13], v[2:3], v[130:131]
	v_mul_f64 v[6:7], v[4:5], v[130:131]
	v_fmac_f64_e32 v[12:13], v[4:5], v[128:129]
	v_fma_f64 v[2:3], v[2:3], v[128:129], -v[6:7]
	v_mov_b64_e32 v[4:5], v[12:13]
.LBB102_16:
	s_and_saveexec_b64 s[8:9], s[0:1]
	s_cbranch_execz .LBB102_18
; %bb.17:
	scratch_load_dwordx4 v[128:131], off, off offset:592
	v_mov_b32_e32 v6, 0
	ds_read_b128 v[132:135], v6 offset:1216
	s_waitcnt vmcnt(0) lgkmcnt(0)
	v_mul_f64 v[6:7], v[132:133], v[130:131]
	v_mul_f64 v[12:13], v[134:135], v[130:131]
	v_fmac_f64_e32 v[6:7], v[134:135], v[128:129]
	v_fma_f64 v[12:13], v[132:133], v[128:129], -v[12:13]
	v_add_f64 v[4:5], v[4:5], v[6:7]
	v_add_f64 v[2:3], v[2:3], v[12:13]
.LBB102_18:
	s_or_b64 exec, exec, s[8:9]
	v_mov_b32_e32 v6, 0
	ds_read_b128 v[128:131], v6 offset:576
	s_waitcnt lgkmcnt(0)
	v_mul_f64 v[6:7], v[4:5], v[130:131]
	v_mul_f64 v[132:133], v[2:3], v[130:131]
	v_fma_f64 v[130:131], v[2:3], v[128:129], -v[6:7]
	v_fmac_f64_e32 v[132:133], v[4:5], v[128:129]
	scratch_store_dwordx4 off, v[130:133], off offset:576
.LBB102_19:
	s_or_b64 exec, exec, s[4:5]
	scratch_load_dwordx4 v[2:5], v59, off
	v_cmp_lt_u32_e64 s[0:1], 35, v0
	s_waitcnt vmcnt(0)
	ds_write_b128 v11, v[2:5]
	s_waitcnt lgkmcnt(0)
	; wave barrier
	s_waitcnt lgkmcnt(0)
	s_and_saveexec_b64 s[4:5], s[0:1]
	s_cbranch_execz .LBB102_27
; %bb.20:
	ds_read_b128 v[2:5], v11
	s_andn2_b64 vcc, exec, s[6:7]
	s_cbranch_vccnz .LBB102_22
; %bb.21:
	scratch_load_dwordx4 v[128:131], v10, off
	s_waitcnt vmcnt(0) lgkmcnt(0)
	v_mul_f64 v[12:13], v[2:3], v[130:131]
	v_mul_f64 v[6:7], v[4:5], v[130:131]
	v_fmac_f64_e32 v[12:13], v[4:5], v[128:129]
	v_fma_f64 v[2:3], v[2:3], v[128:129], -v[6:7]
	v_mov_b64_e32 v[4:5], v[12:13]
.LBB102_22:
	s_and_saveexec_b64 s[8:9], s[2:3]
	s_cbranch_execz .LBB102_26
; %bb.23:
	v_mov_b32_e32 v7, 0
	v_subrev_u32_e32 v6, 36, v0
	v_add_u32_e32 v7, 0x248, v7
	s_movk_i32 s10, 0x4b0
	s_mov_b64 s[2:3], 0
.LBB102_24:                             ; =>This Inner Loop Header: Depth=1
	v_add_u32_e32 v12, -8, v7
	scratch_load_dwordx4 v[128:131], v12, off
	v_mov_b32_e32 v12, s10
	ds_read_b128 v[132:135], v12
	v_add_u32_e32 v6, -1, v6
	s_add_i32 s10, s10, 16
	v_cmp_eq_u32_e32 vcc, 0, v6
	v_add_u32_e32 v7, 16, v7
	s_or_b64 s[2:3], vcc, s[2:3]
	s_waitcnt vmcnt(0) lgkmcnt(0)
	v_mul_f64 v[12:13], v[134:135], v[130:131]
	v_mul_f64 v[130:131], v[132:133], v[130:131]
	v_fma_f64 v[12:13], v[132:133], v[128:129], -v[12:13]
	v_fmac_f64_e32 v[130:131], v[134:135], v[128:129]
	v_add_f64 v[2:3], v[2:3], v[12:13]
	v_add_f64 v[4:5], v[4:5], v[130:131]
	s_andn2_b64 exec, exec, s[2:3]
	s_cbranch_execnz .LBB102_24
; %bb.25:
	s_or_b64 exec, exec, s[2:3]
.LBB102_26:
	s_or_b64 exec, exec, s[8:9]
	v_mov_b32_e32 v6, 0
	ds_read_b128 v[128:131], v6 offset:560
	s_waitcnt lgkmcnt(0)
	v_mul_f64 v[6:7], v[4:5], v[130:131]
	v_mul_f64 v[132:133], v[2:3], v[130:131]
	v_fma_f64 v[130:131], v[2:3], v[128:129], -v[6:7]
	v_fmac_f64_e32 v[132:133], v[4:5], v[128:129]
	scratch_store_dwordx4 off, v[130:133], off offset:560
.LBB102_27:
	s_or_b64 exec, exec, s[4:5]
	scratch_load_dwordx4 v[2:5], v94, off
	v_cmp_lt_u32_e64 s[2:3], 34, v0
	s_waitcnt vmcnt(0)
	ds_write_b128 v11, v[2:5]
	s_waitcnt lgkmcnt(0)
	; wave barrier
	s_waitcnt lgkmcnt(0)
	s_and_saveexec_b64 s[4:5], s[2:3]
	s_cbranch_execz .LBB102_35
; %bb.28:
	ds_read_b128 v[2:5], v11
	s_andn2_b64 vcc, exec, s[6:7]
	s_cbranch_vccnz .LBB102_30
; %bb.29:
	scratch_load_dwordx4 v[128:131], v10, off
	s_waitcnt vmcnt(0) lgkmcnt(0)
	v_mul_f64 v[12:13], v[2:3], v[130:131]
	v_mul_f64 v[6:7], v[4:5], v[130:131]
	v_fmac_f64_e32 v[12:13], v[4:5], v[128:129]
	v_fma_f64 v[2:3], v[2:3], v[128:129], -v[6:7]
	v_mov_b64_e32 v[4:5], v[12:13]
.LBB102_30:
	s_and_saveexec_b64 s[8:9], s[0:1]
	s_cbranch_execz .LBB102_34
; %bb.31:
	v_mov_b32_e32 v7, 0
	v_subrev_u32_e32 v6, 35, v0
	v_add_u32_e32 v7, 0x238, v7
	s_movk_i32 s10, 0x4a0
	s_mov_b64 s[0:1], 0
.LBB102_32:                             ; =>This Inner Loop Header: Depth=1
	v_add_u32_e32 v12, -8, v7
	scratch_load_dwordx4 v[128:131], v12, off
	v_mov_b32_e32 v12, s10
	ds_read_b128 v[132:135], v12
	v_add_u32_e32 v6, -1, v6
	s_add_i32 s10, s10, 16
	v_cmp_eq_u32_e32 vcc, 0, v6
	v_add_u32_e32 v7, 16, v7
	s_or_b64 s[0:1], vcc, s[0:1]
	s_waitcnt vmcnt(0) lgkmcnt(0)
	v_mul_f64 v[12:13], v[134:135], v[130:131]
	v_mul_f64 v[130:131], v[132:133], v[130:131]
	v_fma_f64 v[12:13], v[132:133], v[128:129], -v[12:13]
	v_fmac_f64_e32 v[130:131], v[134:135], v[128:129]
	v_add_f64 v[2:3], v[2:3], v[12:13]
	v_add_f64 v[4:5], v[4:5], v[130:131]
	s_andn2_b64 exec, exec, s[0:1]
	s_cbranch_execnz .LBB102_32
; %bb.33:
	s_or_b64 exec, exec, s[0:1]
.LBB102_34:
	s_or_b64 exec, exec, s[8:9]
	v_mov_b32_e32 v6, 0
	ds_read_b128 v[128:131], v6 offset:544
	s_waitcnt lgkmcnt(0)
	v_mul_f64 v[6:7], v[4:5], v[130:131]
	v_mul_f64 v[132:133], v[2:3], v[130:131]
	v_fma_f64 v[130:131], v[2:3], v[128:129], -v[6:7]
	v_fmac_f64_e32 v[132:133], v[4:5], v[128:129]
	scratch_store_dwordx4 off, v[130:133], off offset:544
.LBB102_35:
	;; [unrolled: 63-line block ×10, first 2 shown]
	s_or_b64 exec, exec, s[4:5]
	scratch_load_dwordx4 v[2:5], v103, off
	v_cmp_lt_u32_e64 s[0:1], 25, v0
	s_waitcnt vmcnt(0)
	ds_write_b128 v11, v[2:5]
	s_waitcnt lgkmcnt(0)
	; wave barrier
	s_waitcnt lgkmcnt(0)
	s_and_saveexec_b64 s[4:5], s[0:1]
	s_cbranch_execz .LBB102_107
; %bb.100:
	ds_read_b128 v[2:5], v11
	s_andn2_b64 vcc, exec, s[6:7]
	s_cbranch_vccnz .LBB102_102
; %bb.101:
	scratch_load_dwordx4 v[128:131], v10, off
	s_waitcnt vmcnt(0) lgkmcnt(0)
	v_mul_f64 v[12:13], v[2:3], v[130:131]
	v_mul_f64 v[6:7], v[4:5], v[130:131]
	v_fmac_f64_e32 v[12:13], v[4:5], v[128:129]
	v_fma_f64 v[2:3], v[2:3], v[128:129], -v[6:7]
	v_mov_b64_e32 v[4:5], v[12:13]
.LBB102_102:
	s_and_saveexec_b64 s[8:9], s[2:3]
	s_cbranch_execz .LBB102_106
; %bb.103:
	v_mov_b32_e32 v7, 0
	v_subrev_u32_e32 v6, 26, v0
	v_add_u32_e32 v7, 0x1a8, v7
	s_movk_i32 s10, 0x410
	s_mov_b64 s[2:3], 0
.LBB102_104:                            ; =>This Inner Loop Header: Depth=1
	v_add_u32_e32 v12, -8, v7
	scratch_load_dwordx4 v[128:131], v12, off
	v_mov_b32_e32 v12, s10
	ds_read_b128 v[132:135], v12
	v_add_u32_e32 v6, -1, v6
	s_add_i32 s10, s10, 16
	v_cmp_eq_u32_e32 vcc, 0, v6
	v_add_u32_e32 v7, 16, v7
	s_or_b64 s[2:3], vcc, s[2:3]
	s_waitcnt vmcnt(0) lgkmcnt(0)
	v_mul_f64 v[12:13], v[134:135], v[130:131]
	v_mul_f64 v[130:131], v[132:133], v[130:131]
	v_fma_f64 v[12:13], v[132:133], v[128:129], -v[12:13]
	v_fmac_f64_e32 v[130:131], v[134:135], v[128:129]
	v_add_f64 v[2:3], v[2:3], v[12:13]
	v_add_f64 v[4:5], v[4:5], v[130:131]
	s_andn2_b64 exec, exec, s[2:3]
	s_cbranch_execnz .LBB102_104
; %bb.105:
	s_or_b64 exec, exec, s[2:3]
.LBB102_106:
	s_or_b64 exec, exec, s[8:9]
	v_mov_b32_e32 v6, 0
	ds_read_b128 v[128:131], v6 offset:400
	s_waitcnt lgkmcnt(0)
	v_mul_f64 v[6:7], v[4:5], v[130:131]
	v_mul_f64 v[132:133], v[2:3], v[130:131]
	v_fma_f64 v[130:131], v[2:3], v[128:129], -v[6:7]
	v_fmac_f64_e32 v[132:133], v[4:5], v[128:129]
	scratch_store_dwordx4 off, v[130:133], off offset:400
.LBB102_107:
	s_or_b64 exec, exec, s[4:5]
	scratch_load_dwordx4 v[2:5], v104, off
	v_cmp_lt_u32_e64 s[2:3], 24, v0
	s_waitcnt vmcnt(0)
	ds_write_b128 v11, v[2:5]
	s_waitcnt lgkmcnt(0)
	; wave barrier
	s_waitcnt lgkmcnt(0)
	s_and_saveexec_b64 s[4:5], s[2:3]
	s_cbranch_execz .LBB102_115
; %bb.108:
	ds_read_b128 v[2:5], v11
	s_andn2_b64 vcc, exec, s[6:7]
	s_cbranch_vccnz .LBB102_110
; %bb.109:
	scratch_load_dwordx4 v[128:131], v10, off
	s_waitcnt vmcnt(0) lgkmcnt(0)
	v_mul_f64 v[12:13], v[2:3], v[130:131]
	v_mul_f64 v[6:7], v[4:5], v[130:131]
	v_fmac_f64_e32 v[12:13], v[4:5], v[128:129]
	v_fma_f64 v[2:3], v[2:3], v[128:129], -v[6:7]
	v_mov_b64_e32 v[4:5], v[12:13]
.LBB102_110:
	s_and_saveexec_b64 s[8:9], s[0:1]
	s_cbranch_execz .LBB102_114
; %bb.111:
	v_mov_b32_e32 v7, 0
	v_subrev_u32_e32 v6, 25, v0
	v_add_u32_e32 v7, 0x198, v7
	s_movk_i32 s10, 0x400
	s_mov_b64 s[0:1], 0
.LBB102_112:                            ; =>This Inner Loop Header: Depth=1
	v_add_u32_e32 v12, -8, v7
	scratch_load_dwordx4 v[128:131], v12, off
	v_mov_b32_e32 v12, s10
	ds_read_b128 v[132:135], v12
	v_add_u32_e32 v6, -1, v6
	s_add_i32 s10, s10, 16
	v_cmp_eq_u32_e32 vcc, 0, v6
	v_add_u32_e32 v7, 16, v7
	s_or_b64 s[0:1], vcc, s[0:1]
	s_waitcnt vmcnt(0) lgkmcnt(0)
	v_mul_f64 v[12:13], v[134:135], v[130:131]
	v_mul_f64 v[130:131], v[132:133], v[130:131]
	v_fma_f64 v[12:13], v[132:133], v[128:129], -v[12:13]
	v_fmac_f64_e32 v[130:131], v[134:135], v[128:129]
	v_add_f64 v[2:3], v[2:3], v[12:13]
	v_add_f64 v[4:5], v[4:5], v[130:131]
	s_andn2_b64 exec, exec, s[0:1]
	s_cbranch_execnz .LBB102_112
; %bb.113:
	s_or_b64 exec, exec, s[0:1]
.LBB102_114:
	s_or_b64 exec, exec, s[8:9]
	v_mov_b32_e32 v6, 0
	ds_read_b128 v[128:131], v6 offset:384
	s_waitcnt lgkmcnt(0)
	v_mul_f64 v[6:7], v[4:5], v[130:131]
	v_mul_f64 v[132:133], v[2:3], v[130:131]
	v_fma_f64 v[130:131], v[2:3], v[128:129], -v[6:7]
	v_fmac_f64_e32 v[132:133], v[4:5], v[128:129]
	scratch_store_dwordx4 off, v[130:133], off offset:384
.LBB102_115:
	;; [unrolled: 63-line block ×10, first 2 shown]
	s_or_b64 exec, exec, s[4:5]
	scratch_load_dwordx4 v[2:5], v113, off
	v_cmp_lt_u32_e64 s[0:1], 15, v0
	s_waitcnt vmcnt(0)
	ds_write_b128 v11, v[2:5]
	s_waitcnt lgkmcnt(0)
	; wave barrier
	s_waitcnt lgkmcnt(0)
	s_and_saveexec_b64 s[4:5], s[0:1]
	s_cbranch_execz .LBB102_187
; %bb.180:
	ds_read_b128 v[2:5], v11
	s_andn2_b64 vcc, exec, s[6:7]
	s_cbranch_vccnz .LBB102_182
; %bb.181:
	scratch_load_dwordx4 v[128:131], v10, off
	s_waitcnt vmcnt(0) lgkmcnt(0)
	v_mul_f64 v[12:13], v[2:3], v[130:131]
	v_mul_f64 v[6:7], v[4:5], v[130:131]
	v_fmac_f64_e32 v[12:13], v[4:5], v[128:129]
	v_fma_f64 v[2:3], v[2:3], v[128:129], -v[6:7]
	v_mov_b64_e32 v[4:5], v[12:13]
.LBB102_182:
	s_and_saveexec_b64 s[8:9], s[2:3]
	s_cbranch_execz .LBB102_186
; %bb.183:
	v_mov_b32_e32 v7, 0
	v_add_u32_e32 v6, -16, v0
	v_add_u32_e32 v7, 0x108, v7
	s_movk_i32 s10, 0x370
	s_mov_b64 s[2:3], 0
.LBB102_184:                            ; =>This Inner Loop Header: Depth=1
	v_add_u32_e32 v12, -8, v7
	scratch_load_dwordx4 v[128:131], v12, off
	v_mov_b32_e32 v12, s10
	ds_read_b128 v[132:135], v12
	v_add_u32_e32 v6, -1, v6
	s_add_i32 s10, s10, 16
	v_cmp_eq_u32_e32 vcc, 0, v6
	v_add_u32_e32 v7, 16, v7
	s_or_b64 s[2:3], vcc, s[2:3]
	s_waitcnt vmcnt(0) lgkmcnt(0)
	v_mul_f64 v[12:13], v[134:135], v[130:131]
	v_mul_f64 v[130:131], v[132:133], v[130:131]
	v_fma_f64 v[12:13], v[132:133], v[128:129], -v[12:13]
	v_fmac_f64_e32 v[130:131], v[134:135], v[128:129]
	v_add_f64 v[2:3], v[2:3], v[12:13]
	v_add_f64 v[4:5], v[4:5], v[130:131]
	s_andn2_b64 exec, exec, s[2:3]
	s_cbranch_execnz .LBB102_184
; %bb.185:
	s_or_b64 exec, exec, s[2:3]
.LBB102_186:
	s_or_b64 exec, exec, s[8:9]
	v_mov_b32_e32 v6, 0
	ds_read_b128 v[128:131], v6 offset:240
	s_waitcnt lgkmcnt(0)
	v_mul_f64 v[6:7], v[4:5], v[130:131]
	v_mul_f64 v[132:133], v[2:3], v[130:131]
	v_fma_f64 v[130:131], v[2:3], v[128:129], -v[6:7]
	v_fmac_f64_e32 v[132:133], v[4:5], v[128:129]
	scratch_store_dwordx4 off, v[130:133], off offset:240
.LBB102_187:
	s_or_b64 exec, exec, s[4:5]
	scratch_load_dwordx4 v[2:5], v114, off
	v_cmp_lt_u32_e64 s[2:3], 14, v0
	s_waitcnt vmcnt(0)
	ds_write_b128 v11, v[2:5]
	s_waitcnt lgkmcnt(0)
	; wave barrier
	s_waitcnt lgkmcnt(0)
	s_and_saveexec_b64 s[4:5], s[2:3]
	s_cbranch_execz .LBB102_195
; %bb.188:
	ds_read_b128 v[2:5], v11
	s_andn2_b64 vcc, exec, s[6:7]
	s_cbranch_vccnz .LBB102_190
; %bb.189:
	scratch_load_dwordx4 v[128:131], v10, off
	s_waitcnt vmcnt(0) lgkmcnt(0)
	v_mul_f64 v[12:13], v[2:3], v[130:131]
	v_mul_f64 v[6:7], v[4:5], v[130:131]
	v_fmac_f64_e32 v[12:13], v[4:5], v[128:129]
	v_fma_f64 v[2:3], v[2:3], v[128:129], -v[6:7]
	v_mov_b64_e32 v[4:5], v[12:13]
.LBB102_190:
	s_and_saveexec_b64 s[8:9], s[0:1]
	s_cbranch_execz .LBB102_194
; %bb.191:
	v_mov_b32_e32 v7, 0
	v_add_u32_e32 v6, -15, v0
	v_add_u32_e32 v7, 0xf8, v7
	s_movk_i32 s10, 0x360
	s_mov_b64 s[0:1], 0
.LBB102_192:                            ; =>This Inner Loop Header: Depth=1
	v_add_u32_e32 v12, -8, v7
	scratch_load_dwordx4 v[128:131], v12, off
	v_mov_b32_e32 v12, s10
	ds_read_b128 v[132:135], v12
	v_add_u32_e32 v6, -1, v6
	s_add_i32 s10, s10, 16
	v_cmp_eq_u32_e32 vcc, 0, v6
	v_add_u32_e32 v7, 16, v7
	s_or_b64 s[0:1], vcc, s[0:1]
	s_waitcnt vmcnt(0) lgkmcnt(0)
	v_mul_f64 v[12:13], v[134:135], v[130:131]
	v_mul_f64 v[130:131], v[132:133], v[130:131]
	v_fma_f64 v[12:13], v[132:133], v[128:129], -v[12:13]
	v_fmac_f64_e32 v[130:131], v[134:135], v[128:129]
	v_add_f64 v[2:3], v[2:3], v[12:13]
	v_add_f64 v[4:5], v[4:5], v[130:131]
	s_andn2_b64 exec, exec, s[0:1]
	s_cbranch_execnz .LBB102_192
; %bb.193:
	s_or_b64 exec, exec, s[0:1]
.LBB102_194:
	s_or_b64 exec, exec, s[8:9]
	v_mov_b32_e32 v6, 0
	ds_read_b128 v[128:131], v6 offset:224
	s_waitcnt lgkmcnt(0)
	v_mul_f64 v[6:7], v[4:5], v[130:131]
	v_mul_f64 v[132:133], v[2:3], v[130:131]
	v_fma_f64 v[130:131], v[2:3], v[128:129], -v[6:7]
	v_fmac_f64_e32 v[132:133], v[4:5], v[128:129]
	scratch_store_dwordx4 off, v[130:133], off offset:224
.LBB102_195:
	s_or_b64 exec, exec, s[4:5]
	scratch_load_dwordx4 v[2:5], v115, off
	v_cmp_lt_u32_e64 s[0:1], 13, v0
	s_waitcnt vmcnt(0)
	ds_write_b128 v11, v[2:5]
	s_waitcnt lgkmcnt(0)
	; wave barrier
	s_waitcnt lgkmcnt(0)
	s_and_saveexec_b64 s[4:5], s[0:1]
	s_cbranch_execz .LBB102_203
; %bb.196:
	ds_read_b128 v[2:5], v11
	s_andn2_b64 vcc, exec, s[6:7]
	s_cbranch_vccnz .LBB102_198
; %bb.197:
	scratch_load_dwordx4 v[128:131], v10, off
	s_waitcnt vmcnt(0) lgkmcnt(0)
	v_mul_f64 v[12:13], v[2:3], v[130:131]
	v_mul_f64 v[6:7], v[4:5], v[130:131]
	v_fmac_f64_e32 v[12:13], v[4:5], v[128:129]
	v_fma_f64 v[2:3], v[2:3], v[128:129], -v[6:7]
	v_mov_b64_e32 v[4:5], v[12:13]
.LBB102_198:
	s_and_saveexec_b64 s[8:9], s[2:3]
	s_cbranch_execz .LBB102_202
; %bb.199:
	v_mov_b32_e32 v7, 0
	v_add_u32_e32 v6, -14, v0
	v_add_u32_e32 v7, 0xe8, v7
	s_movk_i32 s10, 0x350
	s_mov_b64 s[2:3], 0
.LBB102_200:                            ; =>This Inner Loop Header: Depth=1
	v_add_u32_e32 v12, -8, v7
	scratch_load_dwordx4 v[128:131], v12, off
	v_mov_b32_e32 v12, s10
	ds_read_b128 v[132:135], v12
	v_add_u32_e32 v6, -1, v6
	s_add_i32 s10, s10, 16
	v_cmp_eq_u32_e32 vcc, 0, v6
	v_add_u32_e32 v7, 16, v7
	s_or_b64 s[2:3], vcc, s[2:3]
	s_waitcnt vmcnt(0) lgkmcnt(0)
	v_mul_f64 v[12:13], v[134:135], v[130:131]
	v_mul_f64 v[130:131], v[132:133], v[130:131]
	v_fma_f64 v[12:13], v[132:133], v[128:129], -v[12:13]
	v_fmac_f64_e32 v[130:131], v[134:135], v[128:129]
	v_add_f64 v[2:3], v[2:3], v[12:13]
	v_add_f64 v[4:5], v[4:5], v[130:131]
	s_andn2_b64 exec, exec, s[2:3]
	s_cbranch_execnz .LBB102_200
; %bb.201:
	s_or_b64 exec, exec, s[2:3]
.LBB102_202:
	s_or_b64 exec, exec, s[8:9]
	v_mov_b32_e32 v6, 0
	ds_read_b128 v[128:131], v6 offset:208
	s_waitcnt lgkmcnt(0)
	v_mul_f64 v[6:7], v[4:5], v[130:131]
	v_mul_f64 v[132:133], v[2:3], v[130:131]
	v_fma_f64 v[130:131], v[2:3], v[128:129], -v[6:7]
	v_fmac_f64_e32 v[132:133], v[4:5], v[128:129]
	scratch_store_dwordx4 off, v[130:133], off offset:208
.LBB102_203:
	s_or_b64 exec, exec, s[4:5]
	scratch_load_dwordx4 v[2:5], v116, off
	v_cmp_lt_u32_e64 s[2:3], 12, v0
	s_waitcnt vmcnt(0)
	ds_write_b128 v11, v[2:5]
	s_waitcnt lgkmcnt(0)
	; wave barrier
	s_waitcnt lgkmcnt(0)
	s_and_saveexec_b64 s[4:5], s[2:3]
	s_cbranch_execz .LBB102_211
; %bb.204:
	ds_read_b128 v[2:5], v11
	s_andn2_b64 vcc, exec, s[6:7]
	s_cbranch_vccnz .LBB102_206
; %bb.205:
	scratch_load_dwordx4 v[128:131], v10, off
	s_waitcnt vmcnt(0) lgkmcnt(0)
	v_mul_f64 v[12:13], v[2:3], v[130:131]
	v_mul_f64 v[6:7], v[4:5], v[130:131]
	v_fmac_f64_e32 v[12:13], v[4:5], v[128:129]
	v_fma_f64 v[2:3], v[2:3], v[128:129], -v[6:7]
	v_mov_b64_e32 v[4:5], v[12:13]
.LBB102_206:
	s_and_saveexec_b64 s[8:9], s[0:1]
	s_cbranch_execz .LBB102_210
; %bb.207:
	v_mov_b32_e32 v7, 0
	v_add_u32_e32 v6, -13, v0
	v_add_u32_e32 v7, 0xd8, v7
	s_movk_i32 s10, 0x340
	s_mov_b64 s[0:1], 0
.LBB102_208:                            ; =>This Inner Loop Header: Depth=1
	v_add_u32_e32 v12, -8, v7
	scratch_load_dwordx4 v[128:131], v12, off
	v_mov_b32_e32 v12, s10
	ds_read_b128 v[132:135], v12
	v_add_u32_e32 v6, -1, v6
	s_add_i32 s10, s10, 16
	v_cmp_eq_u32_e32 vcc, 0, v6
	v_add_u32_e32 v7, 16, v7
	s_or_b64 s[0:1], vcc, s[0:1]
	s_waitcnt vmcnt(0) lgkmcnt(0)
	v_mul_f64 v[12:13], v[134:135], v[130:131]
	v_mul_f64 v[130:131], v[132:133], v[130:131]
	v_fma_f64 v[12:13], v[132:133], v[128:129], -v[12:13]
	v_fmac_f64_e32 v[130:131], v[134:135], v[128:129]
	v_add_f64 v[2:3], v[2:3], v[12:13]
	v_add_f64 v[4:5], v[4:5], v[130:131]
	s_andn2_b64 exec, exec, s[0:1]
	s_cbranch_execnz .LBB102_208
; %bb.209:
	s_or_b64 exec, exec, s[0:1]
.LBB102_210:
	s_or_b64 exec, exec, s[8:9]
	v_mov_b32_e32 v6, 0
	ds_read_b128 v[128:131], v6 offset:192
	s_waitcnt lgkmcnt(0)
	v_mul_f64 v[6:7], v[4:5], v[130:131]
	v_mul_f64 v[132:133], v[2:3], v[130:131]
	v_fma_f64 v[130:131], v[2:3], v[128:129], -v[6:7]
	v_fmac_f64_e32 v[132:133], v[4:5], v[128:129]
	scratch_store_dwordx4 off, v[130:133], off offset:192
.LBB102_211:
	s_or_b64 exec, exec, s[4:5]
	scratch_load_dwordx4 v[2:5], v117, off
	v_cmp_lt_u32_e64 s[0:1], 11, v0
	s_waitcnt vmcnt(0)
	ds_write_b128 v11, v[2:5]
	s_waitcnt lgkmcnt(0)
	; wave barrier
	s_waitcnt lgkmcnt(0)
	s_and_saveexec_b64 s[4:5], s[0:1]
	s_cbranch_execz .LBB102_219
; %bb.212:
	ds_read_b128 v[2:5], v11
	s_andn2_b64 vcc, exec, s[6:7]
	s_cbranch_vccnz .LBB102_214
; %bb.213:
	scratch_load_dwordx4 v[128:131], v10, off
	s_waitcnt vmcnt(0) lgkmcnt(0)
	v_mul_f64 v[12:13], v[2:3], v[130:131]
	v_mul_f64 v[6:7], v[4:5], v[130:131]
	v_fmac_f64_e32 v[12:13], v[4:5], v[128:129]
	v_fma_f64 v[2:3], v[2:3], v[128:129], -v[6:7]
	v_mov_b64_e32 v[4:5], v[12:13]
.LBB102_214:
	s_and_saveexec_b64 s[8:9], s[2:3]
	s_cbranch_execz .LBB102_218
; %bb.215:
	v_mov_b32_e32 v7, 0
	v_add_u32_e32 v6, -12, v0
	v_add_u32_e32 v7, 0xc8, v7
	s_movk_i32 s10, 0x330
	s_mov_b64 s[2:3], 0
.LBB102_216:                            ; =>This Inner Loop Header: Depth=1
	v_add_u32_e32 v12, -8, v7
	scratch_load_dwordx4 v[128:131], v12, off
	v_mov_b32_e32 v12, s10
	ds_read_b128 v[132:135], v12
	v_add_u32_e32 v6, -1, v6
	s_add_i32 s10, s10, 16
	v_cmp_eq_u32_e32 vcc, 0, v6
	v_add_u32_e32 v7, 16, v7
	s_or_b64 s[2:3], vcc, s[2:3]
	s_waitcnt vmcnt(0) lgkmcnt(0)
	v_mul_f64 v[12:13], v[134:135], v[130:131]
	v_mul_f64 v[130:131], v[132:133], v[130:131]
	v_fma_f64 v[12:13], v[132:133], v[128:129], -v[12:13]
	v_fmac_f64_e32 v[130:131], v[134:135], v[128:129]
	v_add_f64 v[2:3], v[2:3], v[12:13]
	v_add_f64 v[4:5], v[4:5], v[130:131]
	s_andn2_b64 exec, exec, s[2:3]
	s_cbranch_execnz .LBB102_216
; %bb.217:
	s_or_b64 exec, exec, s[2:3]
.LBB102_218:
	s_or_b64 exec, exec, s[8:9]
	v_mov_b32_e32 v6, 0
	ds_read_b128 v[128:131], v6 offset:176
	s_waitcnt lgkmcnt(0)
	v_mul_f64 v[6:7], v[4:5], v[130:131]
	v_mul_f64 v[132:133], v[2:3], v[130:131]
	v_fma_f64 v[130:131], v[2:3], v[128:129], -v[6:7]
	v_fmac_f64_e32 v[132:133], v[4:5], v[128:129]
	scratch_store_dwordx4 off, v[130:133], off offset:176
.LBB102_219:
	s_or_b64 exec, exec, s[4:5]
	scratch_load_dwordx4 v[2:5], v118, off
	v_cmp_lt_u32_e64 s[2:3], 10, v0
	s_waitcnt vmcnt(0)
	ds_write_b128 v11, v[2:5]
	s_waitcnt lgkmcnt(0)
	; wave barrier
	s_waitcnt lgkmcnt(0)
	s_and_saveexec_b64 s[4:5], s[2:3]
	s_cbranch_execz .LBB102_227
; %bb.220:
	ds_read_b128 v[2:5], v11
	s_andn2_b64 vcc, exec, s[6:7]
	s_cbranch_vccnz .LBB102_222
; %bb.221:
	scratch_load_dwordx4 v[128:131], v10, off
	s_waitcnt vmcnt(0) lgkmcnt(0)
	v_mul_f64 v[12:13], v[2:3], v[130:131]
	v_mul_f64 v[6:7], v[4:5], v[130:131]
	v_fmac_f64_e32 v[12:13], v[4:5], v[128:129]
	v_fma_f64 v[2:3], v[2:3], v[128:129], -v[6:7]
	v_mov_b64_e32 v[4:5], v[12:13]
.LBB102_222:
	s_and_saveexec_b64 s[8:9], s[0:1]
	s_cbranch_execz .LBB102_226
; %bb.223:
	v_mov_b32_e32 v7, 0
	v_add_u32_e32 v6, -11, v0
	v_add_u32_e32 v7, 0xb8, v7
	s_movk_i32 s10, 0x320
	s_mov_b64 s[0:1], 0
.LBB102_224:                            ; =>This Inner Loop Header: Depth=1
	v_add_u32_e32 v12, -8, v7
	scratch_load_dwordx4 v[128:131], v12, off
	v_mov_b32_e32 v12, s10
	ds_read_b128 v[132:135], v12
	v_add_u32_e32 v6, -1, v6
	s_add_i32 s10, s10, 16
	v_cmp_eq_u32_e32 vcc, 0, v6
	v_add_u32_e32 v7, 16, v7
	s_or_b64 s[0:1], vcc, s[0:1]
	s_waitcnt vmcnt(0) lgkmcnt(0)
	v_mul_f64 v[12:13], v[134:135], v[130:131]
	v_mul_f64 v[130:131], v[132:133], v[130:131]
	v_fma_f64 v[12:13], v[132:133], v[128:129], -v[12:13]
	v_fmac_f64_e32 v[130:131], v[134:135], v[128:129]
	v_add_f64 v[2:3], v[2:3], v[12:13]
	v_add_f64 v[4:5], v[4:5], v[130:131]
	s_andn2_b64 exec, exec, s[0:1]
	s_cbranch_execnz .LBB102_224
; %bb.225:
	s_or_b64 exec, exec, s[0:1]
.LBB102_226:
	s_or_b64 exec, exec, s[8:9]
	v_mov_b32_e32 v6, 0
	ds_read_b128 v[128:131], v6 offset:160
	s_waitcnt lgkmcnt(0)
	v_mul_f64 v[6:7], v[4:5], v[130:131]
	v_mul_f64 v[132:133], v[2:3], v[130:131]
	v_fma_f64 v[130:131], v[2:3], v[128:129], -v[6:7]
	v_fmac_f64_e32 v[132:133], v[4:5], v[128:129]
	scratch_store_dwordx4 off, v[130:133], off offset:160
.LBB102_227:
	s_or_b64 exec, exec, s[4:5]
	scratch_load_dwordx4 v[2:5], v119, off
	v_cmp_lt_u32_e64 s[0:1], 9, v0
	s_waitcnt vmcnt(0)
	ds_write_b128 v11, v[2:5]
	s_waitcnt lgkmcnt(0)
	; wave barrier
	s_waitcnt lgkmcnt(0)
	s_and_saveexec_b64 s[4:5], s[0:1]
	s_cbranch_execz .LBB102_235
; %bb.228:
	ds_read_b128 v[2:5], v11
	s_andn2_b64 vcc, exec, s[6:7]
	s_cbranch_vccnz .LBB102_230
; %bb.229:
	scratch_load_dwordx4 v[128:131], v10, off
	s_waitcnt vmcnt(0) lgkmcnt(0)
	v_mul_f64 v[12:13], v[2:3], v[130:131]
	v_mul_f64 v[6:7], v[4:5], v[130:131]
	v_fmac_f64_e32 v[12:13], v[4:5], v[128:129]
	v_fma_f64 v[2:3], v[2:3], v[128:129], -v[6:7]
	v_mov_b64_e32 v[4:5], v[12:13]
.LBB102_230:
	s_and_saveexec_b64 s[8:9], s[2:3]
	s_cbranch_execz .LBB102_234
; %bb.231:
	v_mov_b32_e32 v7, 0
	v_add_u32_e32 v6, -10, v0
	v_add_u32_e32 v7, 0xa8, v7
	s_movk_i32 s10, 0x310
	s_mov_b64 s[2:3], 0
.LBB102_232:                            ; =>This Inner Loop Header: Depth=1
	v_add_u32_e32 v12, -8, v7
	scratch_load_dwordx4 v[128:131], v12, off
	v_mov_b32_e32 v12, s10
	ds_read_b128 v[132:135], v12
	v_add_u32_e32 v6, -1, v6
	s_add_i32 s10, s10, 16
	v_cmp_eq_u32_e32 vcc, 0, v6
	v_add_u32_e32 v7, 16, v7
	s_or_b64 s[2:3], vcc, s[2:3]
	s_waitcnt vmcnt(0) lgkmcnt(0)
	v_mul_f64 v[12:13], v[134:135], v[130:131]
	v_mul_f64 v[130:131], v[132:133], v[130:131]
	v_fma_f64 v[12:13], v[132:133], v[128:129], -v[12:13]
	v_fmac_f64_e32 v[130:131], v[134:135], v[128:129]
	v_add_f64 v[2:3], v[2:3], v[12:13]
	v_add_f64 v[4:5], v[4:5], v[130:131]
	s_andn2_b64 exec, exec, s[2:3]
	s_cbranch_execnz .LBB102_232
; %bb.233:
	s_or_b64 exec, exec, s[2:3]
.LBB102_234:
	s_or_b64 exec, exec, s[8:9]
	v_mov_b32_e32 v6, 0
	ds_read_b128 v[128:131], v6 offset:144
	s_waitcnt lgkmcnt(0)
	v_mul_f64 v[6:7], v[4:5], v[130:131]
	v_mul_f64 v[132:133], v[2:3], v[130:131]
	v_fma_f64 v[130:131], v[2:3], v[128:129], -v[6:7]
	v_fmac_f64_e32 v[132:133], v[4:5], v[128:129]
	scratch_store_dwordx4 off, v[130:133], off offset:144
.LBB102_235:
	s_or_b64 exec, exec, s[4:5]
	scratch_load_dwordx4 v[2:5], v120, off
	v_cmp_lt_u32_e64 s[2:3], 8, v0
	s_waitcnt vmcnt(0)
	ds_write_b128 v11, v[2:5]
	s_waitcnt lgkmcnt(0)
	; wave barrier
	s_waitcnt lgkmcnt(0)
	s_and_saveexec_b64 s[4:5], s[2:3]
	s_cbranch_execz .LBB102_243
; %bb.236:
	ds_read_b128 v[2:5], v11
	s_andn2_b64 vcc, exec, s[6:7]
	s_cbranch_vccnz .LBB102_238
; %bb.237:
	scratch_load_dwordx4 v[128:131], v10, off
	s_waitcnt vmcnt(0) lgkmcnt(0)
	v_mul_f64 v[12:13], v[2:3], v[130:131]
	v_mul_f64 v[6:7], v[4:5], v[130:131]
	v_fmac_f64_e32 v[12:13], v[4:5], v[128:129]
	v_fma_f64 v[2:3], v[2:3], v[128:129], -v[6:7]
	v_mov_b64_e32 v[4:5], v[12:13]
.LBB102_238:
	s_and_saveexec_b64 s[8:9], s[0:1]
	s_cbranch_execz .LBB102_242
; %bb.239:
	v_mov_b32_e32 v7, 0
	v_add_u32_e32 v6, -9, v0
	v_add_u32_e32 v7, 0x98, v7
	s_movk_i32 s10, 0x300
	s_mov_b64 s[0:1], 0
.LBB102_240:                            ; =>This Inner Loop Header: Depth=1
	v_add_u32_e32 v12, -8, v7
	scratch_load_dwordx4 v[128:131], v12, off
	v_mov_b32_e32 v12, s10
	ds_read_b128 v[132:135], v12
	v_add_u32_e32 v6, -1, v6
	s_add_i32 s10, s10, 16
	v_cmp_eq_u32_e32 vcc, 0, v6
	v_add_u32_e32 v7, 16, v7
	s_or_b64 s[0:1], vcc, s[0:1]
	s_waitcnt vmcnt(0) lgkmcnt(0)
	v_mul_f64 v[12:13], v[134:135], v[130:131]
	v_mul_f64 v[130:131], v[132:133], v[130:131]
	v_fma_f64 v[12:13], v[132:133], v[128:129], -v[12:13]
	v_fmac_f64_e32 v[130:131], v[134:135], v[128:129]
	v_add_f64 v[2:3], v[2:3], v[12:13]
	v_add_f64 v[4:5], v[4:5], v[130:131]
	s_andn2_b64 exec, exec, s[0:1]
	s_cbranch_execnz .LBB102_240
; %bb.241:
	s_or_b64 exec, exec, s[0:1]
.LBB102_242:
	s_or_b64 exec, exec, s[8:9]
	v_mov_b32_e32 v6, 0
	ds_read_b128 v[128:131], v6 offset:128
	s_waitcnt lgkmcnt(0)
	v_mul_f64 v[6:7], v[4:5], v[130:131]
	v_mul_f64 v[132:133], v[2:3], v[130:131]
	v_fma_f64 v[130:131], v[2:3], v[128:129], -v[6:7]
	v_fmac_f64_e32 v[132:133], v[4:5], v[128:129]
	scratch_store_dwordx4 off, v[130:133], off offset:128
.LBB102_243:
	s_or_b64 exec, exec, s[4:5]
	scratch_load_dwordx4 v[2:5], v121, off
	v_cmp_lt_u32_e64 s[0:1], 7, v0
	s_waitcnt vmcnt(0)
	ds_write_b128 v11, v[2:5]
	s_waitcnt lgkmcnt(0)
	; wave barrier
	s_waitcnt lgkmcnt(0)
	s_and_saveexec_b64 s[4:5], s[0:1]
	s_cbranch_execz .LBB102_251
; %bb.244:
	ds_read_b128 v[2:5], v11
	s_andn2_b64 vcc, exec, s[6:7]
	s_cbranch_vccnz .LBB102_246
; %bb.245:
	scratch_load_dwordx4 v[128:131], v10, off
	s_waitcnt vmcnt(0) lgkmcnt(0)
	v_mul_f64 v[12:13], v[2:3], v[130:131]
	v_mul_f64 v[6:7], v[4:5], v[130:131]
	v_fmac_f64_e32 v[12:13], v[4:5], v[128:129]
	v_fma_f64 v[2:3], v[2:3], v[128:129], -v[6:7]
	v_mov_b64_e32 v[4:5], v[12:13]
.LBB102_246:
	s_and_saveexec_b64 s[8:9], s[2:3]
	s_cbranch_execz .LBB102_250
; %bb.247:
	v_mov_b32_e32 v7, 0
	v_add_u32_e32 v6, -8, v0
	v_add_u32_e32 v7, 0x88, v7
	s_movk_i32 s10, 0x2f0
	s_mov_b64 s[2:3], 0
.LBB102_248:                            ; =>This Inner Loop Header: Depth=1
	v_add_u32_e32 v12, -8, v7
	scratch_load_dwordx4 v[128:131], v12, off
	v_mov_b32_e32 v12, s10
	ds_read_b128 v[132:135], v12
	v_add_u32_e32 v6, -1, v6
	s_add_i32 s10, s10, 16
	v_cmp_eq_u32_e32 vcc, 0, v6
	v_add_u32_e32 v7, 16, v7
	s_or_b64 s[2:3], vcc, s[2:3]
	s_waitcnt vmcnt(0) lgkmcnt(0)
	v_mul_f64 v[12:13], v[134:135], v[130:131]
	v_mul_f64 v[130:131], v[132:133], v[130:131]
	v_fma_f64 v[12:13], v[132:133], v[128:129], -v[12:13]
	v_fmac_f64_e32 v[130:131], v[134:135], v[128:129]
	v_add_f64 v[2:3], v[2:3], v[12:13]
	v_add_f64 v[4:5], v[4:5], v[130:131]
	s_andn2_b64 exec, exec, s[2:3]
	s_cbranch_execnz .LBB102_248
; %bb.249:
	s_or_b64 exec, exec, s[2:3]
.LBB102_250:
	s_or_b64 exec, exec, s[8:9]
	v_mov_b32_e32 v6, 0
	ds_read_b128 v[128:131], v6 offset:112
	s_waitcnt lgkmcnt(0)
	v_mul_f64 v[6:7], v[4:5], v[130:131]
	v_mul_f64 v[132:133], v[2:3], v[130:131]
	v_fma_f64 v[130:131], v[2:3], v[128:129], -v[6:7]
	v_fmac_f64_e32 v[132:133], v[4:5], v[128:129]
	scratch_store_dwordx4 off, v[130:133], off offset:112
.LBB102_251:
	s_or_b64 exec, exec, s[4:5]
	scratch_load_dwordx4 v[2:5], v122, off
	v_cmp_lt_u32_e64 s[2:3], 6, v0
	s_waitcnt vmcnt(0)
	ds_write_b128 v11, v[2:5]
	s_waitcnt lgkmcnt(0)
	; wave barrier
	s_waitcnt lgkmcnt(0)
	s_and_saveexec_b64 s[4:5], s[2:3]
	s_cbranch_execz .LBB102_259
; %bb.252:
	ds_read_b128 v[2:5], v11
	s_andn2_b64 vcc, exec, s[6:7]
	s_cbranch_vccnz .LBB102_254
; %bb.253:
	scratch_load_dwordx4 v[128:131], v10, off
	s_waitcnt vmcnt(0) lgkmcnt(0)
	v_mul_f64 v[12:13], v[2:3], v[130:131]
	v_mul_f64 v[6:7], v[4:5], v[130:131]
	v_fmac_f64_e32 v[12:13], v[4:5], v[128:129]
	v_fma_f64 v[2:3], v[2:3], v[128:129], -v[6:7]
	v_mov_b64_e32 v[4:5], v[12:13]
.LBB102_254:
	s_and_saveexec_b64 s[8:9], s[0:1]
	s_cbranch_execz .LBB102_258
; %bb.255:
	v_mov_b32_e32 v7, 0
	v_add_u32_e32 v6, -7, v0
	v_add_u32_e32 v7, 0x78, v7
	s_movk_i32 s10, 0x2e0
	s_mov_b64 s[0:1], 0
.LBB102_256:                            ; =>This Inner Loop Header: Depth=1
	v_add_u32_e32 v12, -8, v7
	scratch_load_dwordx4 v[128:131], v12, off
	v_mov_b32_e32 v12, s10
	ds_read_b128 v[132:135], v12
	v_add_u32_e32 v6, -1, v6
	s_add_i32 s10, s10, 16
	v_cmp_eq_u32_e32 vcc, 0, v6
	v_add_u32_e32 v7, 16, v7
	s_or_b64 s[0:1], vcc, s[0:1]
	s_waitcnt vmcnt(0) lgkmcnt(0)
	v_mul_f64 v[12:13], v[134:135], v[130:131]
	v_mul_f64 v[130:131], v[132:133], v[130:131]
	v_fma_f64 v[12:13], v[132:133], v[128:129], -v[12:13]
	v_fmac_f64_e32 v[130:131], v[134:135], v[128:129]
	v_add_f64 v[2:3], v[2:3], v[12:13]
	v_add_f64 v[4:5], v[4:5], v[130:131]
	s_andn2_b64 exec, exec, s[0:1]
	s_cbranch_execnz .LBB102_256
; %bb.257:
	s_or_b64 exec, exec, s[0:1]
.LBB102_258:
	s_or_b64 exec, exec, s[8:9]
	v_mov_b32_e32 v6, 0
	ds_read_b128 v[128:131], v6 offset:96
	s_waitcnt lgkmcnt(0)
	v_mul_f64 v[6:7], v[4:5], v[130:131]
	v_mul_f64 v[132:133], v[2:3], v[130:131]
	v_fma_f64 v[130:131], v[2:3], v[128:129], -v[6:7]
	v_fmac_f64_e32 v[132:133], v[4:5], v[128:129]
	scratch_store_dwordx4 off, v[130:133], off offset:96
.LBB102_259:
	s_or_b64 exec, exec, s[4:5]
	scratch_load_dwordx4 v[2:5], v123, off
	v_cmp_lt_u32_e64 s[0:1], 5, v0
	s_waitcnt vmcnt(0)
	ds_write_b128 v11, v[2:5]
	s_waitcnt lgkmcnt(0)
	; wave barrier
	s_waitcnt lgkmcnt(0)
	s_and_saveexec_b64 s[4:5], s[0:1]
	s_cbranch_execz .LBB102_267
; %bb.260:
	ds_read_b128 v[2:5], v11
	s_andn2_b64 vcc, exec, s[6:7]
	s_cbranch_vccnz .LBB102_262
; %bb.261:
	scratch_load_dwordx4 v[128:131], v10, off
	s_waitcnt vmcnt(0) lgkmcnt(0)
	v_mul_f64 v[12:13], v[2:3], v[130:131]
	v_mul_f64 v[6:7], v[4:5], v[130:131]
	v_fmac_f64_e32 v[12:13], v[4:5], v[128:129]
	v_fma_f64 v[2:3], v[2:3], v[128:129], -v[6:7]
	v_mov_b64_e32 v[4:5], v[12:13]
.LBB102_262:
	s_and_saveexec_b64 s[8:9], s[2:3]
	s_cbranch_execz .LBB102_266
; %bb.263:
	v_mov_b32_e32 v7, 0
	v_add_u32_e32 v6, -6, v0
	v_add_u32_e32 v7, 0x68, v7
	s_movk_i32 s10, 0x2d0
	s_mov_b64 s[2:3], 0
.LBB102_264:                            ; =>This Inner Loop Header: Depth=1
	v_add_u32_e32 v12, -8, v7
	scratch_load_dwordx4 v[128:131], v12, off
	v_mov_b32_e32 v12, s10
	ds_read_b128 v[132:135], v12
	v_add_u32_e32 v6, -1, v6
	s_add_i32 s10, s10, 16
	v_cmp_eq_u32_e32 vcc, 0, v6
	v_add_u32_e32 v7, 16, v7
	s_or_b64 s[2:3], vcc, s[2:3]
	s_waitcnt vmcnt(0) lgkmcnt(0)
	v_mul_f64 v[12:13], v[134:135], v[130:131]
	v_mul_f64 v[130:131], v[132:133], v[130:131]
	v_fma_f64 v[12:13], v[132:133], v[128:129], -v[12:13]
	v_fmac_f64_e32 v[130:131], v[134:135], v[128:129]
	v_add_f64 v[2:3], v[2:3], v[12:13]
	v_add_f64 v[4:5], v[4:5], v[130:131]
	s_andn2_b64 exec, exec, s[2:3]
	s_cbranch_execnz .LBB102_264
; %bb.265:
	s_or_b64 exec, exec, s[2:3]
.LBB102_266:
	s_or_b64 exec, exec, s[8:9]
	v_mov_b32_e32 v6, 0
	ds_read_b128 v[128:131], v6 offset:80
	s_waitcnt lgkmcnt(0)
	v_mul_f64 v[6:7], v[4:5], v[130:131]
	v_mul_f64 v[132:133], v[2:3], v[130:131]
	v_fma_f64 v[130:131], v[2:3], v[128:129], -v[6:7]
	v_fmac_f64_e32 v[132:133], v[4:5], v[128:129]
	scratch_store_dwordx4 off, v[130:133], off offset:80
.LBB102_267:
	s_or_b64 exec, exec, s[4:5]
	scratch_load_dwordx4 v[2:5], v124, off
	v_cmp_lt_u32_e64 s[2:3], 4, v0
	s_waitcnt vmcnt(0)
	ds_write_b128 v11, v[2:5]
	s_waitcnt lgkmcnt(0)
	; wave barrier
	s_waitcnt lgkmcnt(0)
	s_and_saveexec_b64 s[4:5], s[2:3]
	s_cbranch_execz .LBB102_275
; %bb.268:
	ds_read_b128 v[2:5], v11
	s_andn2_b64 vcc, exec, s[6:7]
	s_cbranch_vccnz .LBB102_270
; %bb.269:
	scratch_load_dwordx4 v[128:131], v10, off
	s_waitcnt vmcnt(0) lgkmcnt(0)
	v_mul_f64 v[12:13], v[2:3], v[130:131]
	v_mul_f64 v[6:7], v[4:5], v[130:131]
	v_fmac_f64_e32 v[12:13], v[4:5], v[128:129]
	v_fma_f64 v[2:3], v[2:3], v[128:129], -v[6:7]
	v_mov_b64_e32 v[4:5], v[12:13]
.LBB102_270:
	s_and_saveexec_b64 s[8:9], s[0:1]
	s_cbranch_execz .LBB102_274
; %bb.271:
	v_mov_b32_e32 v7, 0
	v_add_u32_e32 v6, -5, v0
	v_add_u32_e32 v7, 0x58, v7
	s_movk_i32 s10, 0x2c0
	s_mov_b64 s[0:1], 0
.LBB102_272:                            ; =>This Inner Loop Header: Depth=1
	v_add_u32_e32 v12, -8, v7
	scratch_load_dwordx4 v[128:131], v12, off
	v_mov_b32_e32 v12, s10
	ds_read_b128 v[132:135], v12
	v_add_u32_e32 v6, -1, v6
	s_add_i32 s10, s10, 16
	v_cmp_eq_u32_e32 vcc, 0, v6
	v_add_u32_e32 v7, 16, v7
	s_or_b64 s[0:1], vcc, s[0:1]
	s_waitcnt vmcnt(0) lgkmcnt(0)
	v_mul_f64 v[12:13], v[134:135], v[130:131]
	v_mul_f64 v[130:131], v[132:133], v[130:131]
	v_fma_f64 v[12:13], v[132:133], v[128:129], -v[12:13]
	v_fmac_f64_e32 v[130:131], v[134:135], v[128:129]
	v_add_f64 v[2:3], v[2:3], v[12:13]
	v_add_f64 v[4:5], v[4:5], v[130:131]
	s_andn2_b64 exec, exec, s[0:1]
	s_cbranch_execnz .LBB102_272
; %bb.273:
	s_or_b64 exec, exec, s[0:1]
.LBB102_274:
	s_or_b64 exec, exec, s[8:9]
	v_mov_b32_e32 v6, 0
	ds_read_b128 v[128:131], v6 offset:64
	s_waitcnt lgkmcnt(0)
	v_mul_f64 v[6:7], v[4:5], v[130:131]
	v_mul_f64 v[132:133], v[2:3], v[130:131]
	v_fma_f64 v[130:131], v[2:3], v[128:129], -v[6:7]
	v_fmac_f64_e32 v[132:133], v[4:5], v[128:129]
	scratch_store_dwordx4 off, v[130:133], off offset:64
.LBB102_275:
	s_or_b64 exec, exec, s[4:5]
	scratch_load_dwordx4 v[2:5], v125, off
	v_cmp_lt_u32_e64 s[0:1], 3, v0
	s_waitcnt vmcnt(0)
	ds_write_b128 v11, v[2:5]
	s_waitcnt lgkmcnt(0)
	; wave barrier
	s_waitcnt lgkmcnt(0)
	s_and_saveexec_b64 s[4:5], s[0:1]
	s_cbranch_execz .LBB102_283
; %bb.276:
	ds_read_b128 v[2:5], v11
	s_andn2_b64 vcc, exec, s[6:7]
	s_cbranch_vccnz .LBB102_278
; %bb.277:
	scratch_load_dwordx4 v[128:131], v10, off
	s_waitcnt vmcnt(0) lgkmcnt(0)
	v_mul_f64 v[12:13], v[2:3], v[130:131]
	v_mul_f64 v[6:7], v[4:5], v[130:131]
	v_fmac_f64_e32 v[12:13], v[4:5], v[128:129]
	v_fma_f64 v[2:3], v[2:3], v[128:129], -v[6:7]
	v_mov_b64_e32 v[4:5], v[12:13]
.LBB102_278:
	s_and_saveexec_b64 s[8:9], s[2:3]
	s_cbranch_execz .LBB102_282
; %bb.279:
	v_mov_b32_e32 v7, 0
	v_add_u32_e32 v6, -4, v0
	v_add_u32_e32 v7, 0x48, v7
	s_movk_i32 s10, 0x2b0
	s_mov_b64 s[2:3], 0
.LBB102_280:                            ; =>This Inner Loop Header: Depth=1
	v_add_u32_e32 v12, -8, v7
	scratch_load_dwordx4 v[128:131], v12, off
	v_mov_b32_e32 v12, s10
	ds_read_b128 v[132:135], v12
	v_add_u32_e32 v6, -1, v6
	s_add_i32 s10, s10, 16
	v_cmp_eq_u32_e32 vcc, 0, v6
	v_add_u32_e32 v7, 16, v7
	s_or_b64 s[2:3], vcc, s[2:3]
	s_waitcnt vmcnt(0) lgkmcnt(0)
	v_mul_f64 v[12:13], v[134:135], v[130:131]
	v_mul_f64 v[130:131], v[132:133], v[130:131]
	v_fma_f64 v[12:13], v[132:133], v[128:129], -v[12:13]
	v_fmac_f64_e32 v[130:131], v[134:135], v[128:129]
	v_add_f64 v[2:3], v[2:3], v[12:13]
	v_add_f64 v[4:5], v[4:5], v[130:131]
	s_andn2_b64 exec, exec, s[2:3]
	s_cbranch_execnz .LBB102_280
; %bb.281:
	s_or_b64 exec, exec, s[2:3]
.LBB102_282:
	s_or_b64 exec, exec, s[8:9]
	v_mov_b32_e32 v6, 0
	ds_read_b128 v[128:131], v6 offset:48
	s_waitcnt lgkmcnt(0)
	v_mul_f64 v[6:7], v[4:5], v[130:131]
	v_mul_f64 v[132:133], v[2:3], v[130:131]
	v_fma_f64 v[130:131], v[2:3], v[128:129], -v[6:7]
	v_fmac_f64_e32 v[132:133], v[4:5], v[128:129]
	scratch_store_dwordx4 off, v[130:133], off offset:48
.LBB102_283:
	s_or_b64 exec, exec, s[4:5]
	scratch_load_dwordx4 v[2:5], v127, off
	v_cmp_lt_u32_e64 s[2:3], 2, v0
	s_waitcnt vmcnt(0)
	ds_write_b128 v11, v[2:5]
	s_waitcnt lgkmcnt(0)
	; wave barrier
	s_waitcnt lgkmcnt(0)
	s_and_saveexec_b64 s[4:5], s[2:3]
	s_cbranch_execz .LBB102_291
; %bb.284:
	ds_read_b128 v[2:5], v11
	s_andn2_b64 vcc, exec, s[6:7]
	s_cbranch_vccnz .LBB102_286
; %bb.285:
	scratch_load_dwordx4 v[128:131], v10, off
	s_waitcnt vmcnt(0) lgkmcnt(0)
	v_mul_f64 v[12:13], v[2:3], v[130:131]
	v_mul_f64 v[6:7], v[4:5], v[130:131]
	v_fmac_f64_e32 v[12:13], v[4:5], v[128:129]
	v_fma_f64 v[2:3], v[2:3], v[128:129], -v[6:7]
	v_mov_b64_e32 v[4:5], v[12:13]
.LBB102_286:
	s_and_saveexec_b64 s[8:9], s[0:1]
	s_cbranch_execz .LBB102_290
; %bb.287:
	v_mov_b32_e32 v7, 0
	v_add_u32_e32 v6, -3, v0
	v_add_u32_e32 v7, 56, v7
	s_movk_i32 s10, 0x2a0
	s_mov_b64 s[0:1], 0
.LBB102_288:                            ; =>This Inner Loop Header: Depth=1
	v_add_u32_e32 v12, -8, v7
	scratch_load_dwordx4 v[128:131], v12, off
	v_mov_b32_e32 v12, s10
	ds_read_b128 v[132:135], v12
	v_add_u32_e32 v6, -1, v6
	s_add_i32 s10, s10, 16
	v_cmp_eq_u32_e32 vcc, 0, v6
	v_add_u32_e32 v7, 16, v7
	s_or_b64 s[0:1], vcc, s[0:1]
	s_waitcnt vmcnt(0) lgkmcnt(0)
	v_mul_f64 v[12:13], v[134:135], v[130:131]
	v_mul_f64 v[130:131], v[132:133], v[130:131]
	v_fma_f64 v[12:13], v[132:133], v[128:129], -v[12:13]
	v_fmac_f64_e32 v[130:131], v[134:135], v[128:129]
	v_add_f64 v[2:3], v[2:3], v[12:13]
	v_add_f64 v[4:5], v[4:5], v[130:131]
	s_andn2_b64 exec, exec, s[0:1]
	s_cbranch_execnz .LBB102_288
; %bb.289:
	s_or_b64 exec, exec, s[0:1]
.LBB102_290:
	s_or_b64 exec, exec, s[8:9]
	v_mov_b32_e32 v6, 0
	ds_read_b128 v[128:131], v6 offset:32
	s_waitcnt lgkmcnt(0)
	v_mul_f64 v[6:7], v[4:5], v[130:131]
	v_mul_f64 v[132:133], v[2:3], v[130:131]
	v_fma_f64 v[130:131], v[2:3], v[128:129], -v[6:7]
	v_fmac_f64_e32 v[132:133], v[4:5], v[128:129]
	scratch_store_dwordx4 off, v[130:133], off offset:32
.LBB102_291:
	s_or_b64 exec, exec, s[4:5]
	scratch_load_dwordx4 v[2:5], v126, off
	v_cmp_lt_u32_e64 s[0:1], 1, v0
	s_waitcnt vmcnt(0)
	ds_write_b128 v11, v[2:5]
	s_waitcnt lgkmcnt(0)
	; wave barrier
	s_waitcnt lgkmcnt(0)
	s_and_saveexec_b64 s[4:5], s[0:1]
	s_cbranch_execz .LBB102_299
; %bb.292:
	ds_read_b128 v[2:5], v11
	s_andn2_b64 vcc, exec, s[6:7]
	s_cbranch_vccnz .LBB102_294
; %bb.293:
	scratch_load_dwordx4 v[128:131], v10, off
	s_waitcnt vmcnt(0) lgkmcnt(0)
	v_mul_f64 v[12:13], v[2:3], v[130:131]
	v_mul_f64 v[6:7], v[4:5], v[130:131]
	v_fmac_f64_e32 v[12:13], v[4:5], v[128:129]
	v_fma_f64 v[2:3], v[2:3], v[128:129], -v[6:7]
	v_mov_b64_e32 v[4:5], v[12:13]
.LBB102_294:
	s_and_saveexec_b64 s[8:9], s[2:3]
	s_cbranch_execz .LBB102_298
; %bb.295:
	v_mov_b32_e32 v7, 0
	v_add_u32_e32 v6, -2, v0
	v_add_u32_e32 v7, 40, v7
	s_movk_i32 s10, 0x290
	s_mov_b64 s[2:3], 0
.LBB102_296:                            ; =>This Inner Loop Header: Depth=1
	v_add_u32_e32 v12, -8, v7
	scratch_load_dwordx4 v[128:131], v12, off
	v_mov_b32_e32 v12, s10
	ds_read_b128 v[132:135], v12
	v_add_u32_e32 v6, -1, v6
	s_add_i32 s10, s10, 16
	v_cmp_eq_u32_e32 vcc, 0, v6
	v_add_u32_e32 v7, 16, v7
	s_or_b64 s[2:3], vcc, s[2:3]
	s_waitcnt vmcnt(0) lgkmcnt(0)
	v_mul_f64 v[12:13], v[134:135], v[130:131]
	v_mul_f64 v[130:131], v[132:133], v[130:131]
	v_fma_f64 v[12:13], v[132:133], v[128:129], -v[12:13]
	v_fmac_f64_e32 v[130:131], v[134:135], v[128:129]
	v_add_f64 v[2:3], v[2:3], v[12:13]
	v_add_f64 v[4:5], v[4:5], v[130:131]
	s_andn2_b64 exec, exec, s[2:3]
	s_cbranch_execnz .LBB102_296
; %bb.297:
	s_or_b64 exec, exec, s[2:3]
.LBB102_298:
	s_or_b64 exec, exec, s[8:9]
	v_mov_b32_e32 v6, 0
	ds_read_b128 v[128:131], v6 offset:16
	s_waitcnt lgkmcnt(0)
	v_mul_f64 v[6:7], v[4:5], v[130:131]
	v_mul_f64 v[132:133], v[2:3], v[130:131]
	v_fma_f64 v[130:131], v[2:3], v[128:129], -v[6:7]
	v_fmac_f64_e32 v[132:133], v[4:5], v[128:129]
	scratch_store_dwordx4 off, v[130:133], off offset:16
.LBB102_299:
	s_or_b64 exec, exec, s[4:5]
	scratch_load_dwordx4 v[2:5], off, off
	v_cmp_ne_u32_e32 vcc, 0, v0
	s_mov_b64 s[2:3], 0
	s_mov_b64 s[4:5], 0
                                        ; implicit-def: $vgpr6_vgpr7
                                        ; implicit-def: $vgpr12
	s_waitcnt vmcnt(0)
	ds_write_b128 v11, v[2:5]
	s_waitcnt lgkmcnt(0)
	; wave barrier
	s_waitcnt lgkmcnt(0)
	s_and_saveexec_b64 s[8:9], vcc
	s_cbranch_execz .LBB102_307
; %bb.300:
	ds_read_b128 v[2:5], v11
	s_andn2_b64 vcc, exec, s[6:7]
	s_cbranch_vccnz .LBB102_302
; %bb.301:
	scratch_load_dwordx4 v[128:131], v10, off
	s_waitcnt vmcnt(0) lgkmcnt(0)
	v_mul_f64 v[12:13], v[2:3], v[130:131]
	v_mul_f64 v[6:7], v[4:5], v[130:131]
	v_fmac_f64_e32 v[12:13], v[4:5], v[128:129]
	v_fma_f64 v[2:3], v[2:3], v[128:129], -v[6:7]
	v_mov_b64_e32 v[4:5], v[12:13]
.LBB102_302:
	s_and_saveexec_b64 s[4:5], s[0:1]
	s_cbranch_execz .LBB102_306
; %bb.303:
	v_mov_b32_e32 v7, 0
	v_add_u32_e32 v6, -1, v0
	v_add_u32_e32 v7, 24, v7
	s_movk_i32 s10, 0x280
	s_mov_b64 s[0:1], 0
.LBB102_304:                            ; =>This Inner Loop Header: Depth=1
	v_add_u32_e32 v12, -8, v7
	scratch_load_dwordx4 v[128:131], v12, off
	v_mov_b32_e32 v12, s10
	ds_read_b128 v[132:135], v12
	v_add_u32_e32 v6, -1, v6
	s_add_i32 s10, s10, 16
	v_cmp_eq_u32_e32 vcc, 0, v6
	v_add_u32_e32 v7, 16, v7
	s_or_b64 s[0:1], vcc, s[0:1]
	s_waitcnt vmcnt(0) lgkmcnt(0)
	v_mul_f64 v[12:13], v[134:135], v[130:131]
	v_mul_f64 v[130:131], v[132:133], v[130:131]
	v_fma_f64 v[12:13], v[132:133], v[128:129], -v[12:13]
	v_fmac_f64_e32 v[130:131], v[134:135], v[128:129]
	v_add_f64 v[2:3], v[2:3], v[12:13]
	v_add_f64 v[4:5], v[4:5], v[130:131]
	s_andn2_b64 exec, exec, s[0:1]
	s_cbranch_execnz .LBB102_304
; %bb.305:
	s_or_b64 exec, exec, s[0:1]
.LBB102_306:
	s_or_b64 exec, exec, s[4:5]
	v_mov_b32_e32 v6, 0
	ds_read_b128 v[128:131], v6
	v_mov_b32_e32 v6, 0
	v_or_b32_e32 v12, 8, v6
	s_mov_b64 s[4:5], exec
	s_waitcnt lgkmcnt(0)
	v_mul_f64 v[132:133], v[4:5], v[130:131]
	v_mul_f64 v[6:7], v[2:3], v[130:131]
	v_fma_f64 v[2:3], v[2:3], v[128:129], -v[132:133]
	v_fmac_f64_e32 v[6:7], v[4:5], v[128:129]
	scratch_store_dwordx2 off, v[2:3], off
.LBB102_307:
	s_or_b64 exec, exec, s[8:9]
	s_and_b64 vcc, exec, s[2:3]
	s_cbranch_vccnz .LBB102_309
	s_branch .LBB102_608
.LBB102_308:
	s_mov_b64 s[4:5], 0
                                        ; implicit-def: $vgpr6_vgpr7
                                        ; implicit-def: $vgpr12
	s_cbranch_execz .LBB102_608
.LBB102_309:
	scratch_load_dwordx4 v[2:5], v126, off
	v_cndmask_b32_e64 v6, 0, 1, s[6:7]
	v_cmp_eq_u32_e64 s[2:3], 0, v0
	v_cmp_ne_u32_e64 s[0:1], 1, v6
	s_waitcnt vmcnt(0)
	ds_write_b128 v11, v[2:5]
	s_waitcnt lgkmcnt(0)
	; wave barrier
	s_waitcnt lgkmcnt(0)
	s_and_saveexec_b64 s[6:7], s[2:3]
	s_cbranch_execz .LBB102_313
; %bb.310:
	ds_read_b128 v[2:5], v11
	s_and_b64 vcc, exec, s[0:1]
	s_cbranch_vccnz .LBB102_312
; %bb.311:
	scratch_load_dwordx4 v[128:131], v10, off
	s_waitcnt vmcnt(0) lgkmcnt(0)
	v_mul_f64 v[12:13], v[2:3], v[130:131]
	v_mul_f64 v[6:7], v[4:5], v[130:131]
	v_fmac_f64_e32 v[12:13], v[4:5], v[128:129]
	v_fma_f64 v[2:3], v[2:3], v[128:129], -v[6:7]
	v_mov_b64_e32 v[4:5], v[12:13]
.LBB102_312:
	v_mov_b32_e32 v6, 0
	ds_read_b128 v[128:131], v6 offset:16
	s_waitcnt lgkmcnt(0)
	v_mul_f64 v[6:7], v[4:5], v[130:131]
	v_mul_f64 v[132:133], v[2:3], v[130:131]
	v_fma_f64 v[130:131], v[2:3], v[128:129], -v[6:7]
	v_fmac_f64_e32 v[132:133], v[4:5], v[128:129]
	scratch_store_dwordx4 off, v[130:133], off offset:16
.LBB102_313:
	s_or_b64 exec, exec, s[6:7]
	scratch_load_dwordx4 v[2:5], v127, off
	v_cmp_gt_u32_e32 vcc, 2, v0
	s_waitcnt vmcnt(0)
	ds_write_b128 v11, v[2:5]
	s_waitcnt lgkmcnt(0)
	; wave barrier
	s_waitcnt lgkmcnt(0)
	s_and_saveexec_b64 s[6:7], vcc
	s_cbranch_execz .LBB102_319
; %bb.314:
	ds_read_b128 v[2:5], v11
	s_and_b64 vcc, exec, s[0:1]
	s_cbranch_vccnz .LBB102_316
; %bb.315:
	scratch_load_dwordx4 v[128:131], v10, off
	s_waitcnt vmcnt(0) lgkmcnt(0)
	v_mul_f64 v[12:13], v[2:3], v[130:131]
	v_mul_f64 v[6:7], v[4:5], v[130:131]
	v_fmac_f64_e32 v[12:13], v[4:5], v[128:129]
	v_fma_f64 v[2:3], v[2:3], v[128:129], -v[6:7]
	v_mov_b64_e32 v[4:5], v[12:13]
.LBB102_316:
	s_and_saveexec_b64 s[8:9], s[2:3]
	s_cbranch_execz .LBB102_318
; %bb.317:
	scratch_load_dwordx4 v[128:131], v10, off offset:16
	ds_read_b128 v[132:135], v11 offset:16
	s_waitcnt vmcnt(0) lgkmcnt(0)
	v_mul_f64 v[6:7], v[134:135], v[130:131]
	v_mul_f64 v[12:13], v[132:133], v[130:131]
	v_fma_f64 v[6:7], v[132:133], v[128:129], -v[6:7]
	v_fmac_f64_e32 v[12:13], v[134:135], v[128:129]
	v_add_f64 v[2:3], v[2:3], v[6:7]
	v_add_f64 v[4:5], v[4:5], v[12:13]
.LBB102_318:
	s_or_b64 exec, exec, s[8:9]
	v_mov_b32_e32 v6, 0
	ds_read_b128 v[128:131], v6 offset:32
	s_waitcnt lgkmcnt(0)
	v_mul_f64 v[6:7], v[4:5], v[130:131]
	v_mul_f64 v[132:133], v[2:3], v[130:131]
	v_fma_f64 v[130:131], v[2:3], v[128:129], -v[6:7]
	v_fmac_f64_e32 v[132:133], v[4:5], v[128:129]
	scratch_store_dwordx4 off, v[130:133], off offset:32
.LBB102_319:
	s_or_b64 exec, exec, s[6:7]
	scratch_load_dwordx4 v[2:5], v125, off
	v_cmp_gt_u32_e32 vcc, 3, v0
	s_waitcnt vmcnt(0)
	ds_write_b128 v11, v[2:5]
	s_waitcnt lgkmcnt(0)
	; wave barrier
	s_waitcnt lgkmcnt(0)
	s_and_saveexec_b64 s[6:7], vcc
	s_cbranch_execz .LBB102_327
; %bb.320:
	ds_read_b128 v[2:5], v11
	s_and_b64 vcc, exec, s[0:1]
	s_cbranch_vccnz .LBB102_322
; %bb.321:
	scratch_load_dwordx4 v[128:131], v10, off
	s_waitcnt vmcnt(0) lgkmcnt(0)
	v_mul_f64 v[12:13], v[2:3], v[130:131]
	v_mul_f64 v[6:7], v[4:5], v[130:131]
	v_fmac_f64_e32 v[12:13], v[4:5], v[128:129]
	v_fma_f64 v[2:3], v[2:3], v[128:129], -v[6:7]
	v_mov_b64_e32 v[4:5], v[12:13]
.LBB102_322:
	v_cmp_ne_u32_e32 vcc, 2, v0
	s_and_saveexec_b64 s[8:9], vcc
	s_cbranch_execz .LBB102_326
; %bb.323:
	scratch_load_dwordx4 v[128:131], v10, off offset:16
	ds_read_b128 v[132:135], v11 offset:16
	s_waitcnt vmcnt(0) lgkmcnt(0)
	v_mul_f64 v[6:7], v[134:135], v[130:131]
	v_mul_f64 v[12:13], v[132:133], v[130:131]
	v_fma_f64 v[6:7], v[132:133], v[128:129], -v[6:7]
	v_fmac_f64_e32 v[12:13], v[134:135], v[128:129]
	v_add_f64 v[2:3], v[2:3], v[6:7]
	v_add_f64 v[4:5], v[4:5], v[12:13]
	s_and_saveexec_b64 s[10:11], s[2:3]
	s_cbranch_execz .LBB102_325
; %bb.324:
	scratch_load_dwordx4 v[128:131], off, off offset:32
	v_mov_b32_e32 v6, 0
	ds_read_b128 v[132:135], v6 offset:656
	s_waitcnt vmcnt(0) lgkmcnt(0)
	v_mul_f64 v[6:7], v[132:133], v[130:131]
	v_mul_f64 v[12:13], v[134:135], v[130:131]
	v_fmac_f64_e32 v[6:7], v[134:135], v[128:129]
	v_fma_f64 v[12:13], v[132:133], v[128:129], -v[12:13]
	v_add_f64 v[4:5], v[4:5], v[6:7]
	v_add_f64 v[2:3], v[2:3], v[12:13]
.LBB102_325:
	s_or_b64 exec, exec, s[10:11]
.LBB102_326:
	s_or_b64 exec, exec, s[8:9]
	v_mov_b32_e32 v6, 0
	ds_read_b128 v[128:131], v6 offset:48
	s_waitcnt lgkmcnt(0)
	v_mul_f64 v[6:7], v[4:5], v[130:131]
	v_mul_f64 v[132:133], v[2:3], v[130:131]
	v_fma_f64 v[130:131], v[2:3], v[128:129], -v[6:7]
	v_fmac_f64_e32 v[132:133], v[4:5], v[128:129]
	scratch_store_dwordx4 off, v[130:133], off offset:48
.LBB102_327:
	s_or_b64 exec, exec, s[6:7]
	scratch_load_dwordx4 v[2:5], v124, off
	v_cmp_gt_u32_e32 vcc, 4, v0
	s_waitcnt vmcnt(0)
	ds_write_b128 v11, v[2:5]
	s_waitcnt lgkmcnt(0)
	; wave barrier
	s_waitcnt lgkmcnt(0)
	s_and_saveexec_b64 s[2:3], vcc
	s_cbranch_execz .LBB102_335
; %bb.328:
	ds_read_b128 v[2:5], v11
	s_and_b64 vcc, exec, s[0:1]
	s_cbranch_vccnz .LBB102_330
; %bb.329:
	scratch_load_dwordx4 v[128:131], v10, off
	s_waitcnt vmcnt(0) lgkmcnt(0)
	v_mul_f64 v[12:13], v[2:3], v[130:131]
	v_mul_f64 v[6:7], v[4:5], v[130:131]
	v_fmac_f64_e32 v[12:13], v[4:5], v[128:129]
	v_fma_f64 v[2:3], v[2:3], v[128:129], -v[6:7]
	v_mov_b64_e32 v[4:5], v[12:13]
.LBB102_330:
	v_cmp_ne_u32_e32 vcc, 3, v0
	s_and_saveexec_b64 s[6:7], vcc
	s_cbranch_execz .LBB102_334
; %bb.331:
	v_mov_b32_e32 v7, 0
	v_add_u32_e32 v6, 0x280, v58
	v_add3_u32 v7, v58, v7, 24
	s_mov_b64 s[8:9], 0
	v_mov_b32_e32 v12, v0
.LBB102_332:                            ; =>This Inner Loop Header: Depth=1
	v_add_u32_e32 v13, -8, v7
	scratch_load_dwordx4 v[128:131], v13, off
	ds_read_b128 v[132:135], v6
	v_add_u32_e32 v12, 1, v12
	v_cmp_lt_u32_e32 vcc, 2, v12
	v_add_u32_e32 v6, 16, v6
	v_add_u32_e32 v7, 16, v7
	s_or_b64 s[8:9], vcc, s[8:9]
	s_waitcnt vmcnt(0) lgkmcnt(0)
	v_mul_f64 v[136:137], v[134:135], v[130:131]
	v_mul_f64 v[130:131], v[132:133], v[130:131]
	v_fma_f64 v[132:133], v[132:133], v[128:129], -v[136:137]
	v_fmac_f64_e32 v[130:131], v[134:135], v[128:129]
	v_add_f64 v[2:3], v[2:3], v[132:133]
	v_add_f64 v[4:5], v[4:5], v[130:131]
	s_andn2_b64 exec, exec, s[8:9]
	s_cbranch_execnz .LBB102_332
; %bb.333:
	s_or_b64 exec, exec, s[8:9]
.LBB102_334:
	s_or_b64 exec, exec, s[6:7]
	v_mov_b32_e32 v6, 0
	ds_read_b128 v[128:131], v6 offset:64
	s_waitcnt lgkmcnt(0)
	v_mul_f64 v[6:7], v[4:5], v[130:131]
	v_mul_f64 v[132:133], v[2:3], v[130:131]
	v_fma_f64 v[130:131], v[2:3], v[128:129], -v[6:7]
	v_fmac_f64_e32 v[132:133], v[4:5], v[128:129]
	scratch_store_dwordx4 off, v[130:133], off offset:64
.LBB102_335:
	s_or_b64 exec, exec, s[2:3]
	scratch_load_dwordx4 v[2:5], v123, off
	v_cmp_gt_u32_e32 vcc, 5, v0
	s_waitcnt vmcnt(0)
	ds_write_b128 v11, v[2:5]
	s_waitcnt lgkmcnt(0)
	; wave barrier
	s_waitcnt lgkmcnt(0)
	s_and_saveexec_b64 s[2:3], vcc
	s_cbranch_execz .LBB102_343
; %bb.336:
	ds_read_b128 v[2:5], v11
	s_and_b64 vcc, exec, s[0:1]
	s_cbranch_vccnz .LBB102_338
; %bb.337:
	scratch_load_dwordx4 v[128:131], v10, off
	s_waitcnt vmcnt(0) lgkmcnt(0)
	v_mul_f64 v[12:13], v[2:3], v[130:131]
	v_mul_f64 v[6:7], v[4:5], v[130:131]
	v_fmac_f64_e32 v[12:13], v[4:5], v[128:129]
	v_fma_f64 v[2:3], v[2:3], v[128:129], -v[6:7]
	v_mov_b64_e32 v[4:5], v[12:13]
.LBB102_338:
	v_cmp_ne_u32_e32 vcc, 4, v0
	s_and_saveexec_b64 s[6:7], vcc
	s_cbranch_execz .LBB102_342
; %bb.339:
	v_mov_b32_e32 v7, 0
	v_add_u32_e32 v6, 0x280, v58
	v_add3_u32 v7, v58, v7, 24
	s_mov_b64 s[8:9], 0
	v_mov_b32_e32 v12, v0
.LBB102_340:                            ; =>This Inner Loop Header: Depth=1
	v_add_u32_e32 v13, -8, v7
	scratch_load_dwordx4 v[128:131], v13, off
	ds_read_b128 v[132:135], v6
	v_add_u32_e32 v12, 1, v12
	v_cmp_lt_u32_e32 vcc, 3, v12
	v_add_u32_e32 v6, 16, v6
	v_add_u32_e32 v7, 16, v7
	s_or_b64 s[8:9], vcc, s[8:9]
	s_waitcnt vmcnt(0) lgkmcnt(0)
	v_mul_f64 v[136:137], v[134:135], v[130:131]
	v_mul_f64 v[130:131], v[132:133], v[130:131]
	v_fma_f64 v[132:133], v[132:133], v[128:129], -v[136:137]
	v_fmac_f64_e32 v[130:131], v[134:135], v[128:129]
	v_add_f64 v[2:3], v[2:3], v[132:133]
	v_add_f64 v[4:5], v[4:5], v[130:131]
	s_andn2_b64 exec, exec, s[8:9]
	s_cbranch_execnz .LBB102_340
; %bb.341:
	s_or_b64 exec, exec, s[8:9]
.LBB102_342:
	s_or_b64 exec, exec, s[6:7]
	v_mov_b32_e32 v6, 0
	ds_read_b128 v[128:131], v6 offset:80
	s_waitcnt lgkmcnt(0)
	v_mul_f64 v[6:7], v[4:5], v[130:131]
	v_mul_f64 v[132:133], v[2:3], v[130:131]
	v_fma_f64 v[130:131], v[2:3], v[128:129], -v[6:7]
	v_fmac_f64_e32 v[132:133], v[4:5], v[128:129]
	scratch_store_dwordx4 off, v[130:133], off offset:80
.LBB102_343:
	;; [unrolled: 63-line block ×33, first 2 shown]
	s_or_b64 exec, exec, s[2:3]
	scratch_load_dwordx4 v[2:5], v8, off
	v_cmp_gt_u32_e64 s[2:3], 37, v0
	s_waitcnt vmcnt(0)
	ds_write_b128 v11, v[2:5]
	s_waitcnt lgkmcnt(0)
	; wave barrier
	s_waitcnt lgkmcnt(0)
	s_and_saveexec_b64 s[6:7], s[2:3]
	s_cbranch_execz .LBB102_599
; %bb.592:
	ds_read_b128 v[2:5], v11
	s_and_b64 vcc, exec, s[0:1]
	s_cbranch_vccnz .LBB102_594
; %bb.593:
	scratch_load_dwordx4 v[128:131], v10, off
	s_waitcnt vmcnt(0) lgkmcnt(0)
	v_mul_f64 v[12:13], v[2:3], v[130:131]
	v_mul_f64 v[6:7], v[4:5], v[130:131]
	v_fmac_f64_e32 v[12:13], v[4:5], v[128:129]
	v_fma_f64 v[2:3], v[2:3], v[128:129], -v[6:7]
	v_mov_b64_e32 v[4:5], v[12:13]
.LBB102_594:
	v_cmp_ne_u32_e32 vcc, 36, v0
	s_and_saveexec_b64 s[8:9], vcc
	s_cbranch_execz .LBB102_598
; %bb.595:
	v_mov_b32_e32 v7, 0
	v_add_u32_e32 v6, 0x280, v58
	v_add3_u32 v7, v58, v7, 24
	s_mov_b64 s[10:11], 0
	v_mov_b32_e32 v12, v0
.LBB102_596:                            ; =>This Inner Loop Header: Depth=1
	v_add_u32_e32 v13, -8, v7
	scratch_load_dwordx4 v[128:131], v13, off
	ds_read_b128 v[132:135], v6
	v_add_u32_e32 v12, 1, v12
	v_cmp_lt_u32_e32 vcc, 35, v12
	v_add_u32_e32 v6, 16, v6
	v_add_u32_e32 v7, 16, v7
	s_or_b64 s[10:11], vcc, s[10:11]
	s_waitcnt vmcnt(0) lgkmcnt(0)
	v_mul_f64 v[136:137], v[134:135], v[130:131]
	v_mul_f64 v[130:131], v[132:133], v[130:131]
	v_fma_f64 v[132:133], v[132:133], v[128:129], -v[136:137]
	v_fmac_f64_e32 v[130:131], v[134:135], v[128:129]
	v_add_f64 v[2:3], v[2:3], v[132:133]
	v_add_f64 v[4:5], v[4:5], v[130:131]
	s_andn2_b64 exec, exec, s[10:11]
	s_cbranch_execnz .LBB102_596
; %bb.597:
	s_or_b64 exec, exec, s[10:11]
.LBB102_598:
	s_or_b64 exec, exec, s[8:9]
	v_mov_b32_e32 v6, 0
	ds_read_b128 v[128:131], v6 offset:592
	s_waitcnt lgkmcnt(0)
	v_mul_f64 v[6:7], v[4:5], v[130:131]
	v_mul_f64 v[132:133], v[2:3], v[130:131]
	v_fma_f64 v[130:131], v[2:3], v[128:129], -v[6:7]
	v_fmac_f64_e32 v[132:133], v[4:5], v[128:129]
	scratch_store_dwordx4 off, v[130:133], off offset:592
.LBB102_599:
	s_or_b64 exec, exec, s[6:7]
	scratch_load_dwordx4 v[2:5], v1, off
	v_cmp_ne_u32_e32 vcc, 38, v0
                                        ; implicit-def: $vgpr6_vgpr7
                                        ; implicit-def: $vgpr12
	s_waitcnt vmcnt(0)
	ds_write_b128 v11, v[2:5]
	s_waitcnt lgkmcnt(0)
	; wave barrier
	s_waitcnt lgkmcnt(0)
	s_and_saveexec_b64 s[6:7], vcc
	s_cbranch_execz .LBB102_607
; %bb.600:
	ds_read_b128 v[2:5], v11
	s_and_b64 vcc, exec, s[0:1]
	s_cbranch_vccnz .LBB102_602
; %bb.601:
	scratch_load_dwordx4 v[10:13], v10, off
	s_waitcnt vmcnt(0) lgkmcnt(0)
	v_mul_f64 v[6:7], v[4:5], v[12:13]
	v_mul_f64 v[12:13], v[2:3], v[12:13]
	v_fmac_f64_e32 v[12:13], v[4:5], v[10:11]
	v_fma_f64 v[2:3], v[2:3], v[10:11], -v[6:7]
	v_mov_b64_e32 v[4:5], v[12:13]
.LBB102_602:
	s_and_saveexec_b64 s[0:1], s[2:3]
	s_cbranch_execz .LBB102_606
; %bb.603:
	v_mov_b32_e32 v7, 0
	v_add_u32_e32 v6, 0x280, v58
	v_add3_u32 v7, v58, v7, 24
	s_mov_b64 s[2:3], 0
.LBB102_604:                            ; =>This Inner Loop Header: Depth=1
	v_add_u32_e32 v10, -8, v7
	scratch_load_dwordx4 v[10:13], v10, off
	ds_read_b128 v[128:131], v6
	v_add_u32_e32 v0, 1, v0
	v_cmp_lt_u32_e32 vcc, 36, v0
	v_add_u32_e32 v6, 16, v6
	v_add_u32_e32 v7, 16, v7
	s_or_b64 s[2:3], vcc, s[2:3]
	s_waitcnt vmcnt(0) lgkmcnt(0)
	v_mul_f64 v[132:133], v[130:131], v[12:13]
	v_mul_f64 v[12:13], v[128:129], v[12:13]
	v_fma_f64 v[128:129], v[128:129], v[10:11], -v[132:133]
	v_fmac_f64_e32 v[12:13], v[130:131], v[10:11]
	v_add_f64 v[2:3], v[2:3], v[128:129]
	v_add_f64 v[4:5], v[4:5], v[12:13]
	s_andn2_b64 exec, exec, s[2:3]
	s_cbranch_execnz .LBB102_604
; %bb.605:
	s_or_b64 exec, exec, s[2:3]
.LBB102_606:
	s_or_b64 exec, exec, s[0:1]
	v_mov_b32_e32 v0, 0
	ds_read_b128 v[128:131], v0 offset:608
	v_mov_b32_e32 v0, 0
	v_add_u32_e32 v12, 0x268, v0
	s_or_b64 s[4:5], s[4:5], exec
	s_waitcnt lgkmcnt(0)
	v_mul_f64 v[10:11], v[4:5], v[130:131]
	v_mul_f64 v[6:7], v[2:3], v[130:131]
	v_fma_f64 v[2:3], v[2:3], v[128:129], -v[10:11]
	v_fmac_f64_e32 v[6:7], v[4:5], v[128:129]
	scratch_store_dwordx2 off, v[2:3], off offset:608
.LBB102_607:
	s_or_b64 exec, exec, s[6:7]
.LBB102_608:
	s_and_saveexec_b64 s[0:1], s[4:5]
	s_cbranch_execz .LBB102_610
; %bb.609:
	scratch_store_dwordx2 v12, v[6:7], off
.LBB102_610:
	s_or_b64 exec, exec, s[0:1]
	scratch_load_dwordx4 v[2:5], off, off
	scratch_load_dwordx4 v[10:13], v126, off
	scratch_load_dwordx4 v[128:131], v127, off
                                        ; kill: killed $vgpr127
                                        ; kill: killed $vgpr126
	scratch_load_dwordx4 v[132:135], v125, off
	s_nop 0
	scratch_load_dwordx4 v[124:127], v124, off
	s_nop 0
	scratch_load_dwordx4 v[136:139], v123, off
	scratch_load_dwordx4 v[140:143], v122, off
	scratch_load_dwordx4 v[144:147], v121, off
	s_nop 0
	scratch_load_dwordx4 v[120:123], v120, off
	s_nop 0
	scratch_load_dwordx4 v[148:151], v119, off
	scratch_load_dwordx4 v[152:155], v118, off
	;; [unrolled: 6-line block ×3, first 2 shown]
	s_waitcnt vmcnt(14)
	global_store_dwordx4 v[14:15], v[2:5], off
	scratch_load_dwordx4 v[2:5], v113, off
	s_nop 0
	scratch_load_dwordx4 v[112:115], v112, off
	s_waitcnt vmcnt(16)
	global_store_dwordx4 v[16:17], v[10:13], off
	scratch_load_dwordx4 v[10:13], v111, off
	s_nop 0
	scratch_load_dwordx4 v[14:17], v110, off
	;; [unrolled: 5-line block ×12, first 2 shown]
	s_waitcnt vmcnt(38)
	global_store_dwordx4 v[38:39], v[116:119], off
	s_waitcnt vmcnt(38)
	global_store_dwordx4 v[40:41], v[160:163], off
	;; [unrolled: 2-line block ×27, first 2 shown]
.LBB102_611:
	s_endpgm
	.section	.rodata,"a",@progbits
	.p2align	6, 0x0
	.amdhsa_kernel _ZN9rocsolver6v33100L18trti2_kernel_smallILi39E19rocblas_complex_numIdEPKPS3_EEv13rocblas_fill_17rocblas_diagonal_T1_iil
		.amdhsa_group_segment_fixed_size 1248
		.amdhsa_private_segment_fixed_size 640
		.amdhsa_kernarg_size 32
		.amdhsa_user_sgpr_count 2
		.amdhsa_user_sgpr_dispatch_ptr 0
		.amdhsa_user_sgpr_queue_ptr 0
		.amdhsa_user_sgpr_kernarg_segment_ptr 1
		.amdhsa_user_sgpr_dispatch_id 0
		.amdhsa_user_sgpr_kernarg_preload_length 0
		.amdhsa_user_sgpr_kernarg_preload_offset 0
		.amdhsa_user_sgpr_private_segment_size 0
		.amdhsa_uses_dynamic_stack 0
		.amdhsa_enable_private_segment 1
		.amdhsa_system_sgpr_workgroup_id_x 1
		.amdhsa_system_sgpr_workgroup_id_y 0
		.amdhsa_system_sgpr_workgroup_id_z 0
		.amdhsa_system_sgpr_workgroup_info 0
		.amdhsa_system_vgpr_workitem_id 0
		.amdhsa_next_free_vgpr 172
		.amdhsa_next_free_sgpr 12
		.amdhsa_accum_offset 172
		.amdhsa_reserve_vcc 1
		.amdhsa_float_round_mode_32 0
		.amdhsa_float_round_mode_16_64 0
		.amdhsa_float_denorm_mode_32 3
		.amdhsa_float_denorm_mode_16_64 3
		.amdhsa_dx10_clamp 1
		.amdhsa_ieee_mode 1
		.amdhsa_fp16_overflow 0
		.amdhsa_tg_split 0
		.amdhsa_exception_fp_ieee_invalid_op 0
		.amdhsa_exception_fp_denorm_src 0
		.amdhsa_exception_fp_ieee_div_zero 0
		.amdhsa_exception_fp_ieee_overflow 0
		.amdhsa_exception_fp_ieee_underflow 0
		.amdhsa_exception_fp_ieee_inexact 0
		.amdhsa_exception_int_div_zero 0
	.end_amdhsa_kernel
	.section	.text._ZN9rocsolver6v33100L18trti2_kernel_smallILi39E19rocblas_complex_numIdEPKPS3_EEv13rocblas_fill_17rocblas_diagonal_T1_iil,"axG",@progbits,_ZN9rocsolver6v33100L18trti2_kernel_smallILi39E19rocblas_complex_numIdEPKPS3_EEv13rocblas_fill_17rocblas_diagonal_T1_iil,comdat
.Lfunc_end102:
	.size	_ZN9rocsolver6v33100L18trti2_kernel_smallILi39E19rocblas_complex_numIdEPKPS3_EEv13rocblas_fill_17rocblas_diagonal_T1_iil, .Lfunc_end102-_ZN9rocsolver6v33100L18trti2_kernel_smallILi39E19rocblas_complex_numIdEPKPS3_EEv13rocblas_fill_17rocblas_diagonal_T1_iil
                                        ; -- End function
	.section	.AMDGPU.csdata,"",@progbits
; Kernel info:
; codeLenInByte = 25668
; NumSgprs: 18
; NumVgprs: 172
; NumAgprs: 0
; TotalNumVgprs: 172
; ScratchSize: 640
; MemoryBound: 0
; FloatMode: 240
; IeeeMode: 1
; LDSByteSize: 1248 bytes/workgroup (compile time only)
; SGPRBlocks: 2
; VGPRBlocks: 21
; NumSGPRsForWavesPerEU: 18
; NumVGPRsForWavesPerEU: 172
; AccumOffset: 172
; Occupancy: 2
; WaveLimiterHint : 1
; COMPUTE_PGM_RSRC2:SCRATCH_EN: 1
; COMPUTE_PGM_RSRC2:USER_SGPR: 2
; COMPUTE_PGM_RSRC2:TRAP_HANDLER: 0
; COMPUTE_PGM_RSRC2:TGID_X_EN: 1
; COMPUTE_PGM_RSRC2:TGID_Y_EN: 0
; COMPUTE_PGM_RSRC2:TGID_Z_EN: 0
; COMPUTE_PGM_RSRC2:TIDIG_COMP_CNT: 0
; COMPUTE_PGM_RSRC3_GFX90A:ACCUM_OFFSET: 42
; COMPUTE_PGM_RSRC3_GFX90A:TG_SPLIT: 0
	.section	.text._ZN9rocsolver6v33100L18trti2_kernel_smallILi40E19rocblas_complex_numIdEPKPS3_EEv13rocblas_fill_17rocblas_diagonal_T1_iil,"axG",@progbits,_ZN9rocsolver6v33100L18trti2_kernel_smallILi40E19rocblas_complex_numIdEPKPS3_EEv13rocblas_fill_17rocblas_diagonal_T1_iil,comdat
	.globl	_ZN9rocsolver6v33100L18trti2_kernel_smallILi40E19rocblas_complex_numIdEPKPS3_EEv13rocblas_fill_17rocblas_diagonal_T1_iil ; -- Begin function _ZN9rocsolver6v33100L18trti2_kernel_smallILi40E19rocblas_complex_numIdEPKPS3_EEv13rocblas_fill_17rocblas_diagonal_T1_iil
	.p2align	8
	.type	_ZN9rocsolver6v33100L18trti2_kernel_smallILi40E19rocblas_complex_numIdEPKPS3_EEv13rocblas_fill_17rocblas_diagonal_T1_iil,@function
_ZN9rocsolver6v33100L18trti2_kernel_smallILi40E19rocblas_complex_numIdEPKPS3_EEv13rocblas_fill_17rocblas_diagonal_T1_iil: ; @_ZN9rocsolver6v33100L18trti2_kernel_smallILi40E19rocblas_complex_numIdEPKPS3_EEv13rocblas_fill_17rocblas_diagonal_T1_iil
; %bb.0:
	v_cmp_gt_u32_e32 vcc, 40, v0
	s_and_saveexec_b64 s[4:5], vcc
	s_cbranch_execz .LBB103_627
; %bb.1:
	s_load_dwordx2 s[8:9], s[0:1], 0x10
	s_load_dwordx4 s[4:7], s[0:1], 0x0
	s_ashr_i32 s3, s2, 31
	s_lshl_b64 s[2:3], s[2:3], 3
	v_lshlrev_b32_e32 v94, 4, v0
	s_waitcnt lgkmcnt(0)
	s_ashr_i32 s1, s8, 31
	s_add_u32 s2, s6, s2
	s_addc_u32 s3, s7, s3
	s_load_dwordx2 s[2:3], s[2:3], 0x0
	s_mov_b32 s0, s8
	s_lshl_b64 s[0:1], s[0:1], 4
	v_mov_b32_e32 v95, 0
	v_mov_b32_e32 v1, 0
	s_waitcnt lgkmcnt(0)
	s_add_u32 s0, s2, s0
	s_addc_u32 s1, s3, s1
	global_load_dwordx4 v[2:5], v94, s[0:1]
	s_add_i32 s2, s9, s9
	v_add_u32_e32 v10, s2, v0
	v_add_u32_e32 v16, s9, v10
	;; [unrolled: 1-line block ×38, first 2 shown]
	v_ashrrev_i32_e32 v7, 31, v6
	s_mov_b32 s2, s9
	s_ashr_i32 s3, s9, 31
	v_lshl_add_u64 v[52:53], s[0:1], 0, v[94:95]
	v_ashrrev_i32_e32 v17, 31, v16
	v_ashrrev_i32_e32 v19, 31, v18
	;; [unrolled: 1-line block ×14, first 2 shown]
	v_lshl_add_u64 v[14:15], v[6:7], 4, s[0:1]
	global_load_dwordx4 v[6:9], v[14:15], off
	v_ashrrev_i32_e32 v11, 31, v10
	v_lshl_add_u64 v[50:51], s[2:3], 4, v[52:53]
	v_lshl_add_u64 v[44:45], v[16:17], 4, s[0:1]
	;; [unrolled: 1-line block ×6, first 2 shown]
	v_ashrrev_i32_e32 v27, 31, v26
	v_lshl_add_u64 v[28:29], v[28:29], 4, s[0:1]
	v_lshl_add_u64 v[20:21], v[34:35], 4, s[0:1]
	;; [unrolled: 1-line block ×7, first 2 shown]
	v_ashrrev_i32_e32 v113, 31, v112
	v_lshl_add_u64 v[46:47], v[120:121], 4, s[0:1]
	v_ashrrev_i32_e32 v123, 31, v122
	v_lshl_add_u64 v[54:55], v[128:129], 4, s[0:1]
	v_lshl_add_u64 v[36:37], v[10:11], 4, s[0:1]
	global_load_dwordx4 v[10:13], v[50:51], off
	global_load_dwordx4 v[56:59], v[36:37], off
	;; [unrolled: 1-line block ×6, first 2 shown]
	v_lshl_add_u64 v[26:27], v[26:27], 4, s[0:1]
	global_load_dwordx4 v[76:79], v[32:33], off
	global_load_dwordx4 v[80:83], v[26:27], off
	;; [unrolled: 1-line block ×8, first 2 shown]
	v_lshl_add_u64 v[40:41], v[112:113], 4, s[0:1]
	global_load_dwordx4 v[112:115], v[34:35], off
	global_load_dwordx4 v[116:119], v[40:41], off
	v_lshl_add_u64 v[48:49], v[122:123], 4, s[0:1]
	global_load_dwordx4 v[120:123], v[46:47], off
	global_load_dwordx4 v[124:127], v[48:49], off
	v_ashrrev_i32_e32 v131, 31, v130
	s_waitcnt vmcnt(19)
	scratch_store_dwordx4 off, v[2:5], off
	global_load_dwordx4 v[2:5], v[54:55], off
	v_ashrrev_i32_e32 v133, 31, v132
	v_ashrrev_i32_e32 v137, 31, v136
	;; [unrolled: 1-line block ×18, first 2 shown]
	v_lshl_add_u64 v[92:93], v[166:167], 4, s[0:1]
	s_cmpk_lg_i32 s5, 0x84
	s_cselect_b64 s[6:7], -1, 0
	s_cmpk_eq_i32 s5, 0x84
	s_waitcnt vmcnt(19)
	scratch_store_dwordx4 off, v[10:13], off offset:16
	s_waitcnt vmcnt(19)
	scratch_store_dwordx4 off, v[56:59], off offset:32
	;; [unrolled: 2-line block ×18, first 2 shown]
	v_lshl_add_u64 v[56:57], v[130:131], 4, s[0:1]
	v_lshl_add_u64 v[58:59], v[132:133], 4, s[0:1]
	s_waitcnt vmcnt(18)
	scratch_store_dwordx4 off, v[2:5], off offset:304
	v_lshl_add_u64 v[62:63], v[136:137], 4, s[0:1]
	v_lshl_add_u64 v[66:67], v[140:141], 4, s[0:1]
	v_lshl_add_u64 v[70:71], v[144:145], 4, s[0:1]
	v_lshl_add_u64 v[74:75], v[148:149], 4, s[0:1]
	v_lshl_add_u64 v[78:79], v[152:153], 4, s[0:1]
	v_lshl_add_u64 v[82:83], v[156:157], 4, s[0:1]
	v_lshl_add_u64 v[86:87], v[160:161], 4, s[0:1]
	v_lshl_add_u64 v[90:91], v[164:165], 4, s[0:1]
	global_load_dwordx4 v[10:13], v[56:57], off
	v_lshl_add_u64 v[60:61], v[134:135], 4, s[0:1]
	global_load_dwordx4 v[2:5], v[58:59], off
	global_load_dwordx4 v[96:99], v[60:61], off
	v_lshl_add_u64 v[64:65], v[138:139], 4, s[0:1]
	global_load_dwordx4 v[100:103], v[62:63], off
	;; [unrolled: 3-line block ×8, first 2 shown]
	global_load_dwordx4 v[152:155], v[88:89], off
	global_load_dwordx4 v[156:159], v[90:91], off
	;; [unrolled: 1-line block ×3, first 2 shown]
	s_waitcnt vmcnt(18)
	scratch_store_dwordx4 off, v[10:13], off offset:320
	s_waitcnt vmcnt(18)
	scratch_store_dwordx4 off, v[2:5], off offset:336
	;; [unrolled: 2-line block ×19, first 2 shown]
	scratch_store_dwordx4 off, v[6:9], off offset:624
	s_cbranch_scc1 .LBB103_7
; %bb.2:
	scratch_load_dwordx4 v[6:9], v94, off
                                        ; implicit-def: $vgpr10_vgpr11
	s_waitcnt vmcnt(0)
	v_xor_b32_e32 v3, 0x80000000, v7
	v_cmp_gt_f64_e32 vcc, 0, v[6:7]
	v_xor_b32_e32 v4, 0x80000000, v9
	v_mov_b32_e32 v2, v6
	v_cndmask_b32_e32 v3, v7, v3, vcc
	v_cmp_gt_f64_e32 vcc, 0, v[8:9]
	s_nop 1
	v_cndmask_b32_e32 v5, v9, v4, vcc
	v_mov_b32_e32 v4, v8
	v_cmp_ngt_f64_e32 vcc, v[2:3], v[4:5]
                                        ; implicit-def: $vgpr2_vgpr3
	s_and_saveexec_b64 s[0:1], vcc
	s_xor_b64 s[0:1], exec, s[0:1]
	s_cbranch_execz .LBB103_4
; %bb.3:
	v_div_scale_f64 v[2:3], s[2:3], v[8:9], v[8:9], v[6:7]
	v_rcp_f64_e32 v[4:5], v[2:3]
	v_div_scale_f64 v[10:11], vcc, v[6:7], v[8:9], v[6:7]
	v_fma_f64 v[12:13], -v[2:3], v[4:5], 1.0
	v_fmac_f64_e32 v[4:5], v[4:5], v[12:13]
	v_fma_f64 v[12:13], -v[2:3], v[4:5], 1.0
	v_fmac_f64_e32 v[4:5], v[4:5], v[12:13]
	v_mul_f64 v[12:13], v[10:11], v[4:5]
	v_fma_f64 v[2:3], -v[2:3], v[12:13], v[10:11]
	v_div_fmas_f64 v[2:3], v[2:3], v[4:5], v[12:13]
	v_div_fixup_f64 v[2:3], v[2:3], v[8:9], v[6:7]
	v_fmac_f64_e32 v[8:9], v[6:7], v[2:3]
	v_div_scale_f64 v[4:5], s[2:3], v[8:9], v[8:9], 1.0
	v_rcp_f64_e32 v[6:7], v[4:5]
	s_nop 0
	v_fma_f64 v[10:11], -v[4:5], v[6:7], 1.0
	v_fmac_f64_e32 v[6:7], v[6:7], v[10:11]
	v_fma_f64 v[10:11], -v[4:5], v[6:7], 1.0
	v_fmac_f64_e32 v[6:7], v[6:7], v[10:11]
	v_div_scale_f64 v[10:11], vcc, 1.0, v[8:9], 1.0
	v_mul_f64 v[12:13], v[10:11], v[6:7]
	v_fma_f64 v[4:5], -v[4:5], v[12:13], v[10:11]
	s_nop 1
	v_div_fmas_f64 v[4:5], v[4:5], v[6:7], v[12:13]
	v_div_fixup_f64 v[4:5], v[4:5], v[8:9], 1.0
	v_mul_f64 v[2:3], v[2:3], v[4:5]
	v_xor_b32_e32 v5, 0x80000000, v5
	v_xor_b32_e32 v11, 0x80000000, v3
	v_mov_b32_e32 v10, v2
                                        ; implicit-def: $vgpr6_vgpr7
.LBB103_4:
	s_or_saveexec_b64 s[0:1], s[0:1]
	v_add_u32_e32 v12, 0, v94
	s_xor_b64 exec, exec, s[0:1]
	s_cbranch_execz .LBB103_6
; %bb.5:
	v_div_scale_f64 v[2:3], s[2:3], v[6:7], v[6:7], v[8:9]
	v_rcp_f64_e32 v[4:5], v[2:3]
	v_div_scale_f64 v[10:11], vcc, v[8:9], v[6:7], v[8:9]
	v_fma_f64 v[96:97], -v[2:3], v[4:5], 1.0
	v_fmac_f64_e32 v[4:5], v[4:5], v[96:97]
	v_fma_f64 v[96:97], -v[2:3], v[4:5], 1.0
	v_fmac_f64_e32 v[4:5], v[4:5], v[96:97]
	v_mul_f64 v[96:97], v[10:11], v[4:5]
	v_fma_f64 v[2:3], -v[2:3], v[96:97], v[10:11]
	v_div_fmas_f64 v[2:3], v[2:3], v[4:5], v[96:97]
	v_div_fixup_f64 v[4:5], v[2:3], v[6:7], v[8:9]
	v_fmac_f64_e32 v[6:7], v[8:9], v[4:5]
	v_div_scale_f64 v[2:3], s[2:3], v[6:7], v[6:7], 1.0
	v_rcp_f64_e32 v[8:9], v[2:3]
	s_nop 0
	v_fma_f64 v[10:11], -v[2:3], v[8:9], 1.0
	v_fmac_f64_e32 v[8:9], v[8:9], v[10:11]
	v_fma_f64 v[10:11], -v[2:3], v[8:9], 1.0
	v_fmac_f64_e32 v[8:9], v[8:9], v[10:11]
	v_div_scale_f64 v[10:11], vcc, 1.0, v[6:7], 1.0
	v_mul_f64 v[96:97], v[10:11], v[8:9]
	v_fma_f64 v[2:3], -v[2:3], v[96:97], v[10:11]
	s_nop 1
	v_div_fmas_f64 v[2:3], v[2:3], v[8:9], v[96:97]
	v_div_fixup_f64 v[2:3], v[2:3], v[6:7], 1.0
	v_xor_b32_e32 v11, 0x80000000, v3
	v_mov_b32_e32 v10, v2
	v_mul_f64 v[4:5], v[4:5], -v[2:3]
.LBB103_6:
	s_or_b64 exec, exec, s[0:1]
	scratch_store_dwordx4 v12, v[2:5], off
	s_nop 1
	v_xor_b32_e32 v5, 0x80000000, v5
	s_branch .LBB103_8
.LBB103_7:
	v_mov_b64_e32 v[4:5], 0
	v_mov_b64_e32 v[10:11], -1.0
.LBB103_8:
	v_mov_b32_e32 v12, v4
	v_mov_b32_e32 v13, v5
	v_add_u32_e32 v130, 16, v1
	v_add_u32_e32 v129, 32, v1
	;; [unrolled: 1-line block ×39, first 2 shown]
	ds_write_b128 v94, v[10:13]
	s_cmpk_eq_i32 s4, 0x79
	v_add_u32_e32 v11, 0x280, v94
	v_add_u32_e32 v10, 0, v94
	s_cbranch_scc1 .LBB103_316
; %bb.9:
	scratch_load_dwordx4 v[2:5], v8, off
	v_cmp_eq_u32_e64 s[0:1], 39, v0
	s_waitcnt vmcnt(0)
	ds_write_b128 v11, v[2:5]
	s_waitcnt lgkmcnt(0)
	; wave barrier
	s_waitcnt lgkmcnt(0)
	s_and_saveexec_b64 s[2:3], s[0:1]
	s_cbranch_execz .LBB103_13
; %bb.10:
	ds_read_b128 v[2:5], v11
	s_andn2_b64 vcc, exec, s[6:7]
	s_cbranch_vccnz .LBB103_12
; %bb.11:
	scratch_load_dwordx4 v[132:135], v10, off
	s_waitcnt vmcnt(0) lgkmcnt(0)
	v_mul_f64 v[12:13], v[2:3], v[134:135]
	v_mul_f64 v[6:7], v[4:5], v[134:135]
	v_fmac_f64_e32 v[12:13], v[4:5], v[132:133]
	v_fma_f64 v[2:3], v[2:3], v[132:133], -v[6:7]
	v_mov_b64_e32 v[4:5], v[12:13]
.LBB103_12:
	v_mov_b32_e32 v6, 0
	ds_read_b128 v[132:135], v6 offset:608
	s_waitcnt lgkmcnt(0)
	v_mul_f64 v[6:7], v[4:5], v[134:135]
	v_mul_f64 v[136:137], v[2:3], v[134:135]
	v_fma_f64 v[134:135], v[2:3], v[132:133], -v[6:7]
	v_fmac_f64_e32 v[136:137], v[4:5], v[132:133]
	scratch_store_dwordx4 off, v[134:137], off offset:608
.LBB103_13:
	s_or_b64 exec, exec, s[2:3]
	scratch_load_dwordx4 v[2:5], v9, off
	v_cmp_lt_u32_e64 s[2:3], 37, v0
	s_waitcnt vmcnt(0)
	ds_write_b128 v11, v[2:5]
	s_waitcnt lgkmcnt(0)
	; wave barrier
	s_waitcnt lgkmcnt(0)
	s_and_saveexec_b64 s[4:5], s[2:3]
	s_cbranch_execz .LBB103_19
; %bb.14:
	ds_read_b128 v[2:5], v11
	s_andn2_b64 vcc, exec, s[6:7]
	s_cbranch_vccnz .LBB103_16
; %bb.15:
	scratch_load_dwordx4 v[132:135], v10, off
	s_waitcnt vmcnt(0) lgkmcnt(0)
	v_mul_f64 v[12:13], v[2:3], v[134:135]
	v_mul_f64 v[6:7], v[4:5], v[134:135]
	v_fmac_f64_e32 v[12:13], v[4:5], v[132:133]
	v_fma_f64 v[2:3], v[2:3], v[132:133], -v[6:7]
	v_mov_b64_e32 v[4:5], v[12:13]
.LBB103_16:
	s_and_saveexec_b64 s[8:9], s[0:1]
	s_cbranch_execz .LBB103_18
; %bb.17:
	scratch_load_dwordx4 v[132:135], off, off offset:608
	v_mov_b32_e32 v6, 0
	ds_read_b128 v[136:139], v6 offset:1248
	s_waitcnt vmcnt(0) lgkmcnt(0)
	v_mul_f64 v[6:7], v[136:137], v[134:135]
	v_mul_f64 v[12:13], v[138:139], v[134:135]
	v_fmac_f64_e32 v[6:7], v[138:139], v[132:133]
	v_fma_f64 v[12:13], v[136:137], v[132:133], -v[12:13]
	v_add_f64 v[4:5], v[4:5], v[6:7]
	v_add_f64 v[2:3], v[2:3], v[12:13]
.LBB103_18:
	s_or_b64 exec, exec, s[8:9]
	v_mov_b32_e32 v6, 0
	ds_read_b128 v[132:135], v6 offset:592
	s_waitcnt lgkmcnt(0)
	v_mul_f64 v[6:7], v[4:5], v[134:135]
	v_mul_f64 v[136:137], v[2:3], v[134:135]
	v_fma_f64 v[134:135], v[2:3], v[132:133], -v[6:7]
	v_fmac_f64_e32 v[136:137], v[4:5], v[132:133]
	scratch_store_dwordx4 off, v[134:137], off offset:592
.LBB103_19:
	s_or_b64 exec, exec, s[4:5]
	scratch_load_dwordx4 v[2:5], v95, off
	v_cmp_lt_u32_e64 s[0:1], 36, v0
	s_waitcnt vmcnt(0)
	ds_write_b128 v11, v[2:5]
	s_waitcnt lgkmcnt(0)
	; wave barrier
	s_waitcnt lgkmcnt(0)
	s_and_saveexec_b64 s[4:5], s[0:1]
	s_cbranch_execz .LBB103_27
; %bb.20:
	ds_read_b128 v[2:5], v11
	s_andn2_b64 vcc, exec, s[6:7]
	s_cbranch_vccnz .LBB103_22
; %bb.21:
	scratch_load_dwordx4 v[132:135], v10, off
	s_waitcnt vmcnt(0) lgkmcnt(0)
	v_mul_f64 v[12:13], v[2:3], v[134:135]
	v_mul_f64 v[6:7], v[4:5], v[134:135]
	v_fmac_f64_e32 v[12:13], v[4:5], v[132:133]
	v_fma_f64 v[2:3], v[2:3], v[132:133], -v[6:7]
	v_mov_b64_e32 v[4:5], v[12:13]
.LBB103_22:
	s_and_saveexec_b64 s[8:9], s[2:3]
	s_cbranch_execz .LBB103_26
; %bb.23:
	v_mov_b32_e32 v7, 0
	v_subrev_u32_e32 v6, 37, v0
	v_add_u32_e32 v7, 0x258, v7
	s_movk_i32 s10, 0x4d0
	s_mov_b64 s[2:3], 0
.LBB103_24:                             ; =>This Inner Loop Header: Depth=1
	v_add_u32_e32 v12, -8, v7
	scratch_load_dwordx4 v[132:135], v12, off
	v_mov_b32_e32 v12, s10
	ds_read_b128 v[136:139], v12
	v_add_u32_e32 v6, -1, v6
	s_add_i32 s10, s10, 16
	v_cmp_eq_u32_e32 vcc, 0, v6
	v_add_u32_e32 v7, 16, v7
	s_or_b64 s[2:3], vcc, s[2:3]
	s_waitcnt vmcnt(0) lgkmcnt(0)
	v_mul_f64 v[12:13], v[138:139], v[134:135]
	v_mul_f64 v[134:135], v[136:137], v[134:135]
	v_fma_f64 v[12:13], v[136:137], v[132:133], -v[12:13]
	v_fmac_f64_e32 v[134:135], v[138:139], v[132:133]
	v_add_f64 v[2:3], v[2:3], v[12:13]
	v_add_f64 v[4:5], v[4:5], v[134:135]
	s_andn2_b64 exec, exec, s[2:3]
	s_cbranch_execnz .LBB103_24
; %bb.25:
	s_or_b64 exec, exec, s[2:3]
.LBB103_26:
	s_or_b64 exec, exec, s[8:9]
	v_mov_b32_e32 v6, 0
	ds_read_b128 v[132:135], v6 offset:576
	s_waitcnt lgkmcnt(0)
	v_mul_f64 v[6:7], v[4:5], v[134:135]
	v_mul_f64 v[136:137], v[2:3], v[134:135]
	v_fma_f64 v[134:135], v[2:3], v[132:133], -v[6:7]
	v_fmac_f64_e32 v[136:137], v[4:5], v[132:133]
	scratch_store_dwordx4 off, v[134:137], off offset:576
.LBB103_27:
	s_or_b64 exec, exec, s[4:5]
	scratch_load_dwordx4 v[2:5], v96, off
	v_cmp_lt_u32_e64 s[2:3], 35, v0
	s_waitcnt vmcnt(0)
	ds_write_b128 v11, v[2:5]
	s_waitcnt lgkmcnt(0)
	; wave barrier
	s_waitcnt lgkmcnt(0)
	s_and_saveexec_b64 s[4:5], s[2:3]
	s_cbranch_execz .LBB103_35
; %bb.28:
	ds_read_b128 v[2:5], v11
	s_andn2_b64 vcc, exec, s[6:7]
	s_cbranch_vccnz .LBB103_30
; %bb.29:
	scratch_load_dwordx4 v[132:135], v10, off
	s_waitcnt vmcnt(0) lgkmcnt(0)
	v_mul_f64 v[12:13], v[2:3], v[134:135]
	v_mul_f64 v[6:7], v[4:5], v[134:135]
	v_fmac_f64_e32 v[12:13], v[4:5], v[132:133]
	v_fma_f64 v[2:3], v[2:3], v[132:133], -v[6:7]
	v_mov_b64_e32 v[4:5], v[12:13]
.LBB103_30:
	s_and_saveexec_b64 s[8:9], s[0:1]
	s_cbranch_execz .LBB103_34
; %bb.31:
	v_mov_b32_e32 v7, 0
	v_subrev_u32_e32 v6, 36, v0
	v_add_u32_e32 v7, 0x248, v7
	s_movk_i32 s10, 0x4c0
	s_mov_b64 s[0:1], 0
.LBB103_32:                             ; =>This Inner Loop Header: Depth=1
	v_add_u32_e32 v12, -8, v7
	scratch_load_dwordx4 v[132:135], v12, off
	v_mov_b32_e32 v12, s10
	ds_read_b128 v[136:139], v12
	v_add_u32_e32 v6, -1, v6
	s_add_i32 s10, s10, 16
	v_cmp_eq_u32_e32 vcc, 0, v6
	v_add_u32_e32 v7, 16, v7
	s_or_b64 s[0:1], vcc, s[0:1]
	s_waitcnt vmcnt(0) lgkmcnt(0)
	v_mul_f64 v[12:13], v[138:139], v[134:135]
	v_mul_f64 v[134:135], v[136:137], v[134:135]
	v_fma_f64 v[12:13], v[136:137], v[132:133], -v[12:13]
	v_fmac_f64_e32 v[134:135], v[138:139], v[132:133]
	v_add_f64 v[2:3], v[2:3], v[12:13]
	v_add_f64 v[4:5], v[4:5], v[134:135]
	s_andn2_b64 exec, exec, s[0:1]
	s_cbranch_execnz .LBB103_32
; %bb.33:
	s_or_b64 exec, exec, s[0:1]
.LBB103_34:
	s_or_b64 exec, exec, s[8:9]
	v_mov_b32_e32 v6, 0
	ds_read_b128 v[132:135], v6 offset:560
	s_waitcnt lgkmcnt(0)
	v_mul_f64 v[6:7], v[4:5], v[134:135]
	v_mul_f64 v[136:137], v[2:3], v[134:135]
	v_fma_f64 v[134:135], v[2:3], v[132:133], -v[6:7]
	v_fmac_f64_e32 v[136:137], v[4:5], v[132:133]
	scratch_store_dwordx4 off, v[134:137], off offset:560
.LBB103_35:
	s_or_b64 exec, exec, s[4:5]
	scratch_load_dwordx4 v[2:5], v97, off
	v_cmp_lt_u32_e64 s[0:1], 34, v0
	s_waitcnt vmcnt(0)
	ds_write_b128 v11, v[2:5]
	s_waitcnt lgkmcnt(0)
	; wave barrier
	s_waitcnt lgkmcnt(0)
	s_and_saveexec_b64 s[4:5], s[0:1]
	s_cbranch_execz .LBB103_43
; %bb.36:
	ds_read_b128 v[2:5], v11
	s_andn2_b64 vcc, exec, s[6:7]
	s_cbranch_vccnz .LBB103_38
; %bb.37:
	scratch_load_dwordx4 v[132:135], v10, off
	s_waitcnt vmcnt(0) lgkmcnt(0)
	v_mul_f64 v[12:13], v[2:3], v[134:135]
	v_mul_f64 v[6:7], v[4:5], v[134:135]
	v_fmac_f64_e32 v[12:13], v[4:5], v[132:133]
	v_fma_f64 v[2:3], v[2:3], v[132:133], -v[6:7]
	v_mov_b64_e32 v[4:5], v[12:13]
.LBB103_38:
	s_and_saveexec_b64 s[8:9], s[2:3]
	s_cbranch_execz .LBB103_42
; %bb.39:
	v_mov_b32_e32 v7, 0
	v_subrev_u32_e32 v6, 35, v0
	v_add_u32_e32 v7, 0x238, v7
	s_movk_i32 s10, 0x4b0
	s_mov_b64 s[2:3], 0
.LBB103_40:                             ; =>This Inner Loop Header: Depth=1
	v_add_u32_e32 v12, -8, v7
	scratch_load_dwordx4 v[132:135], v12, off
	v_mov_b32_e32 v12, s10
	ds_read_b128 v[136:139], v12
	v_add_u32_e32 v6, -1, v6
	s_add_i32 s10, s10, 16
	v_cmp_eq_u32_e32 vcc, 0, v6
	v_add_u32_e32 v7, 16, v7
	s_or_b64 s[2:3], vcc, s[2:3]
	s_waitcnt vmcnt(0) lgkmcnt(0)
	v_mul_f64 v[12:13], v[138:139], v[134:135]
	v_mul_f64 v[134:135], v[136:137], v[134:135]
	v_fma_f64 v[12:13], v[136:137], v[132:133], -v[12:13]
	v_fmac_f64_e32 v[134:135], v[138:139], v[132:133]
	v_add_f64 v[2:3], v[2:3], v[12:13]
	v_add_f64 v[4:5], v[4:5], v[134:135]
	s_andn2_b64 exec, exec, s[2:3]
	s_cbranch_execnz .LBB103_40
; %bb.41:
	s_or_b64 exec, exec, s[2:3]
.LBB103_42:
	s_or_b64 exec, exec, s[8:9]
	v_mov_b32_e32 v6, 0
	ds_read_b128 v[132:135], v6 offset:544
	s_waitcnt lgkmcnt(0)
	v_mul_f64 v[6:7], v[4:5], v[134:135]
	v_mul_f64 v[136:137], v[2:3], v[134:135]
	v_fma_f64 v[134:135], v[2:3], v[132:133], -v[6:7]
	v_fmac_f64_e32 v[136:137], v[4:5], v[132:133]
	scratch_store_dwordx4 off, v[134:137], off offset:544
.LBB103_43:
	s_or_b64 exec, exec, s[4:5]
	scratch_load_dwordx4 v[2:5], v98, off
	v_cmp_lt_u32_e64 s[2:3], 33, v0
	s_waitcnt vmcnt(0)
	ds_write_b128 v11, v[2:5]
	s_waitcnt lgkmcnt(0)
	; wave barrier
	s_waitcnt lgkmcnt(0)
	s_and_saveexec_b64 s[4:5], s[2:3]
	s_cbranch_execz .LBB103_51
; %bb.44:
	ds_read_b128 v[2:5], v11
	s_andn2_b64 vcc, exec, s[6:7]
	s_cbranch_vccnz .LBB103_46
; %bb.45:
	scratch_load_dwordx4 v[132:135], v10, off
	s_waitcnt vmcnt(0) lgkmcnt(0)
	v_mul_f64 v[12:13], v[2:3], v[134:135]
	v_mul_f64 v[6:7], v[4:5], v[134:135]
	v_fmac_f64_e32 v[12:13], v[4:5], v[132:133]
	v_fma_f64 v[2:3], v[2:3], v[132:133], -v[6:7]
	v_mov_b64_e32 v[4:5], v[12:13]
.LBB103_46:
	s_and_saveexec_b64 s[8:9], s[0:1]
	s_cbranch_execz .LBB103_50
; %bb.47:
	v_mov_b32_e32 v7, 0
	v_subrev_u32_e32 v6, 34, v0
	v_add_u32_e32 v7, 0x228, v7
	s_movk_i32 s10, 0x4a0
	s_mov_b64 s[0:1], 0
.LBB103_48:                             ; =>This Inner Loop Header: Depth=1
	v_add_u32_e32 v12, -8, v7
	scratch_load_dwordx4 v[132:135], v12, off
	v_mov_b32_e32 v12, s10
	ds_read_b128 v[136:139], v12
	v_add_u32_e32 v6, -1, v6
	s_add_i32 s10, s10, 16
	v_cmp_eq_u32_e32 vcc, 0, v6
	v_add_u32_e32 v7, 16, v7
	s_or_b64 s[0:1], vcc, s[0:1]
	s_waitcnt vmcnt(0) lgkmcnt(0)
	v_mul_f64 v[12:13], v[138:139], v[134:135]
	v_mul_f64 v[134:135], v[136:137], v[134:135]
	v_fma_f64 v[12:13], v[136:137], v[132:133], -v[12:13]
	v_fmac_f64_e32 v[134:135], v[138:139], v[132:133]
	v_add_f64 v[2:3], v[2:3], v[12:13]
	v_add_f64 v[4:5], v[4:5], v[134:135]
	s_andn2_b64 exec, exec, s[0:1]
	s_cbranch_execnz .LBB103_48
; %bb.49:
	s_or_b64 exec, exec, s[0:1]
.LBB103_50:
	s_or_b64 exec, exec, s[8:9]
	v_mov_b32_e32 v6, 0
	ds_read_b128 v[132:135], v6 offset:528
	s_waitcnt lgkmcnt(0)
	v_mul_f64 v[6:7], v[4:5], v[134:135]
	v_mul_f64 v[136:137], v[2:3], v[134:135]
	v_fma_f64 v[134:135], v[2:3], v[132:133], -v[6:7]
	v_fmac_f64_e32 v[136:137], v[4:5], v[132:133]
	scratch_store_dwordx4 off, v[134:137], off offset:528
.LBB103_51:
	s_or_b64 exec, exec, s[4:5]
	scratch_load_dwordx4 v[2:5], v99, off
	v_cmp_lt_u32_e64 s[0:1], 32, v0
	s_waitcnt vmcnt(0)
	ds_write_b128 v11, v[2:5]
	s_waitcnt lgkmcnt(0)
	; wave barrier
	s_waitcnt lgkmcnt(0)
	s_and_saveexec_b64 s[4:5], s[0:1]
	s_cbranch_execz .LBB103_59
; %bb.52:
	ds_read_b128 v[2:5], v11
	s_andn2_b64 vcc, exec, s[6:7]
	s_cbranch_vccnz .LBB103_54
; %bb.53:
	scratch_load_dwordx4 v[132:135], v10, off
	s_waitcnt vmcnt(0) lgkmcnt(0)
	v_mul_f64 v[12:13], v[2:3], v[134:135]
	v_mul_f64 v[6:7], v[4:5], v[134:135]
	v_fmac_f64_e32 v[12:13], v[4:5], v[132:133]
	v_fma_f64 v[2:3], v[2:3], v[132:133], -v[6:7]
	v_mov_b64_e32 v[4:5], v[12:13]
.LBB103_54:
	s_and_saveexec_b64 s[8:9], s[2:3]
	s_cbranch_execz .LBB103_58
; %bb.55:
	v_mov_b32_e32 v7, 0
	v_subrev_u32_e32 v6, 33, v0
	v_add_u32_e32 v7, 0x218, v7
	s_movk_i32 s10, 0x490
	s_mov_b64 s[2:3], 0
.LBB103_56:                             ; =>This Inner Loop Header: Depth=1
	v_add_u32_e32 v12, -8, v7
	scratch_load_dwordx4 v[132:135], v12, off
	v_mov_b32_e32 v12, s10
	ds_read_b128 v[136:139], v12
	v_add_u32_e32 v6, -1, v6
	s_add_i32 s10, s10, 16
	v_cmp_eq_u32_e32 vcc, 0, v6
	v_add_u32_e32 v7, 16, v7
	s_or_b64 s[2:3], vcc, s[2:3]
	s_waitcnt vmcnt(0) lgkmcnt(0)
	v_mul_f64 v[12:13], v[138:139], v[134:135]
	v_mul_f64 v[134:135], v[136:137], v[134:135]
	v_fma_f64 v[12:13], v[136:137], v[132:133], -v[12:13]
	v_fmac_f64_e32 v[134:135], v[138:139], v[132:133]
	v_add_f64 v[2:3], v[2:3], v[12:13]
	v_add_f64 v[4:5], v[4:5], v[134:135]
	s_andn2_b64 exec, exec, s[2:3]
	s_cbranch_execnz .LBB103_56
; %bb.57:
	s_or_b64 exec, exec, s[2:3]
.LBB103_58:
	s_or_b64 exec, exec, s[8:9]
	v_mov_b32_e32 v6, 0
	ds_read_b128 v[132:135], v6 offset:512
	s_waitcnt lgkmcnt(0)
	v_mul_f64 v[6:7], v[4:5], v[134:135]
	v_mul_f64 v[136:137], v[2:3], v[134:135]
	v_fma_f64 v[134:135], v[2:3], v[132:133], -v[6:7]
	v_fmac_f64_e32 v[136:137], v[4:5], v[132:133]
	scratch_store_dwordx4 off, v[134:137], off offset:512
.LBB103_59:
	s_or_b64 exec, exec, s[4:5]
	scratch_load_dwordx4 v[2:5], v100, off
	v_cmp_lt_u32_e64 s[2:3], 31, v0
	s_waitcnt vmcnt(0)
	ds_write_b128 v11, v[2:5]
	s_waitcnt lgkmcnt(0)
	; wave barrier
	s_waitcnt lgkmcnt(0)
	s_and_saveexec_b64 s[4:5], s[2:3]
	s_cbranch_execz .LBB103_67
; %bb.60:
	ds_read_b128 v[2:5], v11
	s_andn2_b64 vcc, exec, s[6:7]
	s_cbranch_vccnz .LBB103_62
; %bb.61:
	scratch_load_dwordx4 v[132:135], v10, off
	s_waitcnt vmcnt(0) lgkmcnt(0)
	v_mul_f64 v[12:13], v[2:3], v[134:135]
	v_mul_f64 v[6:7], v[4:5], v[134:135]
	v_fmac_f64_e32 v[12:13], v[4:5], v[132:133]
	v_fma_f64 v[2:3], v[2:3], v[132:133], -v[6:7]
	v_mov_b64_e32 v[4:5], v[12:13]
.LBB103_62:
	s_and_saveexec_b64 s[8:9], s[0:1]
	s_cbranch_execz .LBB103_66
; %bb.63:
	v_mov_b32_e32 v7, 0
	v_subrev_u32_e32 v6, 32, v0
	v_add_u32_e32 v7, 0x208, v7
	s_movk_i32 s10, 0x480
	s_mov_b64 s[0:1], 0
.LBB103_64:                             ; =>This Inner Loop Header: Depth=1
	v_add_u32_e32 v12, -8, v7
	scratch_load_dwordx4 v[132:135], v12, off
	v_mov_b32_e32 v12, s10
	ds_read_b128 v[136:139], v12
	v_add_u32_e32 v6, -1, v6
	s_add_i32 s10, s10, 16
	v_cmp_eq_u32_e32 vcc, 0, v6
	v_add_u32_e32 v7, 16, v7
	s_or_b64 s[0:1], vcc, s[0:1]
	s_waitcnt vmcnt(0) lgkmcnt(0)
	v_mul_f64 v[12:13], v[138:139], v[134:135]
	v_mul_f64 v[134:135], v[136:137], v[134:135]
	v_fma_f64 v[12:13], v[136:137], v[132:133], -v[12:13]
	v_fmac_f64_e32 v[134:135], v[138:139], v[132:133]
	v_add_f64 v[2:3], v[2:3], v[12:13]
	v_add_f64 v[4:5], v[4:5], v[134:135]
	s_andn2_b64 exec, exec, s[0:1]
	s_cbranch_execnz .LBB103_64
; %bb.65:
	s_or_b64 exec, exec, s[0:1]
.LBB103_66:
	s_or_b64 exec, exec, s[8:9]
	v_mov_b32_e32 v6, 0
	ds_read_b128 v[132:135], v6 offset:496
	s_waitcnt lgkmcnt(0)
	v_mul_f64 v[6:7], v[4:5], v[134:135]
	v_mul_f64 v[136:137], v[2:3], v[134:135]
	v_fma_f64 v[134:135], v[2:3], v[132:133], -v[6:7]
	v_fmac_f64_e32 v[136:137], v[4:5], v[132:133]
	scratch_store_dwordx4 off, v[134:137], off offset:496
.LBB103_67:
	s_or_b64 exec, exec, s[4:5]
	scratch_load_dwordx4 v[2:5], v101, off
	v_cmp_lt_u32_e64 s[0:1], 30, v0
	s_waitcnt vmcnt(0)
	ds_write_b128 v11, v[2:5]
	s_waitcnt lgkmcnt(0)
	; wave barrier
	s_waitcnt lgkmcnt(0)
	s_and_saveexec_b64 s[4:5], s[0:1]
	s_cbranch_execz .LBB103_75
; %bb.68:
	ds_read_b128 v[2:5], v11
	s_andn2_b64 vcc, exec, s[6:7]
	s_cbranch_vccnz .LBB103_70
; %bb.69:
	scratch_load_dwordx4 v[132:135], v10, off
	s_waitcnt vmcnt(0) lgkmcnt(0)
	v_mul_f64 v[12:13], v[2:3], v[134:135]
	v_mul_f64 v[6:7], v[4:5], v[134:135]
	v_fmac_f64_e32 v[12:13], v[4:5], v[132:133]
	v_fma_f64 v[2:3], v[2:3], v[132:133], -v[6:7]
	v_mov_b64_e32 v[4:5], v[12:13]
.LBB103_70:
	s_and_saveexec_b64 s[8:9], s[2:3]
	s_cbranch_execz .LBB103_74
; %bb.71:
	v_mov_b32_e32 v7, 0
	v_subrev_u32_e32 v6, 31, v0
	v_add_u32_e32 v7, 0x1f8, v7
	s_movk_i32 s10, 0x470
	s_mov_b64 s[2:3], 0
.LBB103_72:                             ; =>This Inner Loop Header: Depth=1
	v_add_u32_e32 v12, -8, v7
	scratch_load_dwordx4 v[132:135], v12, off
	v_mov_b32_e32 v12, s10
	ds_read_b128 v[136:139], v12
	v_add_u32_e32 v6, -1, v6
	s_add_i32 s10, s10, 16
	v_cmp_eq_u32_e32 vcc, 0, v6
	v_add_u32_e32 v7, 16, v7
	s_or_b64 s[2:3], vcc, s[2:3]
	s_waitcnt vmcnt(0) lgkmcnt(0)
	v_mul_f64 v[12:13], v[138:139], v[134:135]
	v_mul_f64 v[134:135], v[136:137], v[134:135]
	v_fma_f64 v[12:13], v[136:137], v[132:133], -v[12:13]
	v_fmac_f64_e32 v[134:135], v[138:139], v[132:133]
	v_add_f64 v[2:3], v[2:3], v[12:13]
	v_add_f64 v[4:5], v[4:5], v[134:135]
	s_andn2_b64 exec, exec, s[2:3]
	s_cbranch_execnz .LBB103_72
; %bb.73:
	s_or_b64 exec, exec, s[2:3]
.LBB103_74:
	s_or_b64 exec, exec, s[8:9]
	v_mov_b32_e32 v6, 0
	ds_read_b128 v[132:135], v6 offset:480
	s_waitcnt lgkmcnt(0)
	v_mul_f64 v[6:7], v[4:5], v[134:135]
	v_mul_f64 v[136:137], v[2:3], v[134:135]
	v_fma_f64 v[134:135], v[2:3], v[132:133], -v[6:7]
	v_fmac_f64_e32 v[136:137], v[4:5], v[132:133]
	scratch_store_dwordx4 off, v[134:137], off offset:480
.LBB103_75:
	s_or_b64 exec, exec, s[4:5]
	scratch_load_dwordx4 v[2:5], v102, off
	v_cmp_lt_u32_e64 s[2:3], 29, v0
	s_waitcnt vmcnt(0)
	ds_write_b128 v11, v[2:5]
	s_waitcnt lgkmcnt(0)
	; wave barrier
	s_waitcnt lgkmcnt(0)
	s_and_saveexec_b64 s[4:5], s[2:3]
	s_cbranch_execz .LBB103_83
; %bb.76:
	ds_read_b128 v[2:5], v11
	s_andn2_b64 vcc, exec, s[6:7]
	s_cbranch_vccnz .LBB103_78
; %bb.77:
	scratch_load_dwordx4 v[132:135], v10, off
	s_waitcnt vmcnt(0) lgkmcnt(0)
	v_mul_f64 v[12:13], v[2:3], v[134:135]
	v_mul_f64 v[6:7], v[4:5], v[134:135]
	v_fmac_f64_e32 v[12:13], v[4:5], v[132:133]
	v_fma_f64 v[2:3], v[2:3], v[132:133], -v[6:7]
	v_mov_b64_e32 v[4:5], v[12:13]
.LBB103_78:
	s_and_saveexec_b64 s[8:9], s[0:1]
	s_cbranch_execz .LBB103_82
; %bb.79:
	v_mov_b32_e32 v7, 0
	v_subrev_u32_e32 v6, 30, v0
	v_add_u32_e32 v7, 0x1e8, v7
	s_movk_i32 s10, 0x460
	s_mov_b64 s[0:1], 0
.LBB103_80:                             ; =>This Inner Loop Header: Depth=1
	v_add_u32_e32 v12, -8, v7
	scratch_load_dwordx4 v[132:135], v12, off
	v_mov_b32_e32 v12, s10
	ds_read_b128 v[136:139], v12
	v_add_u32_e32 v6, -1, v6
	s_add_i32 s10, s10, 16
	v_cmp_eq_u32_e32 vcc, 0, v6
	v_add_u32_e32 v7, 16, v7
	s_or_b64 s[0:1], vcc, s[0:1]
	s_waitcnt vmcnt(0) lgkmcnt(0)
	v_mul_f64 v[12:13], v[138:139], v[134:135]
	v_mul_f64 v[134:135], v[136:137], v[134:135]
	v_fma_f64 v[12:13], v[136:137], v[132:133], -v[12:13]
	v_fmac_f64_e32 v[134:135], v[138:139], v[132:133]
	v_add_f64 v[2:3], v[2:3], v[12:13]
	v_add_f64 v[4:5], v[4:5], v[134:135]
	s_andn2_b64 exec, exec, s[0:1]
	s_cbranch_execnz .LBB103_80
; %bb.81:
	s_or_b64 exec, exec, s[0:1]
.LBB103_82:
	s_or_b64 exec, exec, s[8:9]
	v_mov_b32_e32 v6, 0
	ds_read_b128 v[132:135], v6 offset:464
	s_waitcnt lgkmcnt(0)
	v_mul_f64 v[6:7], v[4:5], v[134:135]
	v_mul_f64 v[136:137], v[2:3], v[134:135]
	v_fma_f64 v[134:135], v[2:3], v[132:133], -v[6:7]
	v_fmac_f64_e32 v[136:137], v[4:5], v[132:133]
	scratch_store_dwordx4 off, v[134:137], off offset:464
.LBB103_83:
	s_or_b64 exec, exec, s[4:5]
	scratch_load_dwordx4 v[2:5], v103, off
	v_cmp_lt_u32_e64 s[0:1], 28, v0
	s_waitcnt vmcnt(0)
	ds_write_b128 v11, v[2:5]
	s_waitcnt lgkmcnt(0)
	; wave barrier
	s_waitcnt lgkmcnt(0)
	s_and_saveexec_b64 s[4:5], s[0:1]
	s_cbranch_execz .LBB103_91
; %bb.84:
	ds_read_b128 v[2:5], v11
	s_andn2_b64 vcc, exec, s[6:7]
	s_cbranch_vccnz .LBB103_86
; %bb.85:
	scratch_load_dwordx4 v[132:135], v10, off
	s_waitcnt vmcnt(0) lgkmcnt(0)
	v_mul_f64 v[12:13], v[2:3], v[134:135]
	v_mul_f64 v[6:7], v[4:5], v[134:135]
	v_fmac_f64_e32 v[12:13], v[4:5], v[132:133]
	v_fma_f64 v[2:3], v[2:3], v[132:133], -v[6:7]
	v_mov_b64_e32 v[4:5], v[12:13]
.LBB103_86:
	s_and_saveexec_b64 s[8:9], s[2:3]
	s_cbranch_execz .LBB103_90
; %bb.87:
	v_mov_b32_e32 v7, 0
	v_subrev_u32_e32 v6, 29, v0
	v_add_u32_e32 v7, 0x1d8, v7
	s_movk_i32 s10, 0x450
	s_mov_b64 s[2:3], 0
.LBB103_88:                             ; =>This Inner Loop Header: Depth=1
	v_add_u32_e32 v12, -8, v7
	scratch_load_dwordx4 v[132:135], v12, off
	v_mov_b32_e32 v12, s10
	ds_read_b128 v[136:139], v12
	v_add_u32_e32 v6, -1, v6
	s_add_i32 s10, s10, 16
	v_cmp_eq_u32_e32 vcc, 0, v6
	v_add_u32_e32 v7, 16, v7
	s_or_b64 s[2:3], vcc, s[2:3]
	s_waitcnt vmcnt(0) lgkmcnt(0)
	v_mul_f64 v[12:13], v[138:139], v[134:135]
	v_mul_f64 v[134:135], v[136:137], v[134:135]
	v_fma_f64 v[12:13], v[136:137], v[132:133], -v[12:13]
	v_fmac_f64_e32 v[134:135], v[138:139], v[132:133]
	v_add_f64 v[2:3], v[2:3], v[12:13]
	v_add_f64 v[4:5], v[4:5], v[134:135]
	s_andn2_b64 exec, exec, s[2:3]
	s_cbranch_execnz .LBB103_88
; %bb.89:
	s_or_b64 exec, exec, s[2:3]
.LBB103_90:
	s_or_b64 exec, exec, s[8:9]
	v_mov_b32_e32 v6, 0
	ds_read_b128 v[132:135], v6 offset:448
	s_waitcnt lgkmcnt(0)
	v_mul_f64 v[6:7], v[4:5], v[134:135]
	v_mul_f64 v[136:137], v[2:3], v[134:135]
	v_fma_f64 v[134:135], v[2:3], v[132:133], -v[6:7]
	v_fmac_f64_e32 v[136:137], v[4:5], v[132:133]
	scratch_store_dwordx4 off, v[134:137], off offset:448
.LBB103_91:
	s_or_b64 exec, exec, s[4:5]
	scratch_load_dwordx4 v[2:5], v104, off
	v_cmp_lt_u32_e64 s[2:3], 27, v0
	s_waitcnt vmcnt(0)
	ds_write_b128 v11, v[2:5]
	s_waitcnt lgkmcnt(0)
	; wave barrier
	s_waitcnt lgkmcnt(0)
	s_and_saveexec_b64 s[4:5], s[2:3]
	s_cbranch_execz .LBB103_99
; %bb.92:
	ds_read_b128 v[2:5], v11
	s_andn2_b64 vcc, exec, s[6:7]
	s_cbranch_vccnz .LBB103_94
; %bb.93:
	scratch_load_dwordx4 v[132:135], v10, off
	s_waitcnt vmcnt(0) lgkmcnt(0)
	v_mul_f64 v[12:13], v[2:3], v[134:135]
	v_mul_f64 v[6:7], v[4:5], v[134:135]
	v_fmac_f64_e32 v[12:13], v[4:5], v[132:133]
	v_fma_f64 v[2:3], v[2:3], v[132:133], -v[6:7]
	v_mov_b64_e32 v[4:5], v[12:13]
.LBB103_94:
	s_and_saveexec_b64 s[8:9], s[0:1]
	s_cbranch_execz .LBB103_98
; %bb.95:
	v_mov_b32_e32 v7, 0
	v_subrev_u32_e32 v6, 28, v0
	v_add_u32_e32 v7, 0x1c8, v7
	s_movk_i32 s10, 0x440
	s_mov_b64 s[0:1], 0
.LBB103_96:                             ; =>This Inner Loop Header: Depth=1
	v_add_u32_e32 v12, -8, v7
	scratch_load_dwordx4 v[132:135], v12, off
	v_mov_b32_e32 v12, s10
	ds_read_b128 v[136:139], v12
	v_add_u32_e32 v6, -1, v6
	s_add_i32 s10, s10, 16
	v_cmp_eq_u32_e32 vcc, 0, v6
	v_add_u32_e32 v7, 16, v7
	s_or_b64 s[0:1], vcc, s[0:1]
	s_waitcnt vmcnt(0) lgkmcnt(0)
	v_mul_f64 v[12:13], v[138:139], v[134:135]
	v_mul_f64 v[134:135], v[136:137], v[134:135]
	v_fma_f64 v[12:13], v[136:137], v[132:133], -v[12:13]
	v_fmac_f64_e32 v[134:135], v[138:139], v[132:133]
	v_add_f64 v[2:3], v[2:3], v[12:13]
	v_add_f64 v[4:5], v[4:5], v[134:135]
	s_andn2_b64 exec, exec, s[0:1]
	s_cbranch_execnz .LBB103_96
; %bb.97:
	s_or_b64 exec, exec, s[0:1]
.LBB103_98:
	s_or_b64 exec, exec, s[8:9]
	v_mov_b32_e32 v6, 0
	ds_read_b128 v[132:135], v6 offset:432
	s_waitcnt lgkmcnt(0)
	v_mul_f64 v[6:7], v[4:5], v[134:135]
	v_mul_f64 v[136:137], v[2:3], v[134:135]
	v_fma_f64 v[134:135], v[2:3], v[132:133], -v[6:7]
	v_fmac_f64_e32 v[136:137], v[4:5], v[132:133]
	scratch_store_dwordx4 off, v[134:137], off offset:432
.LBB103_99:
	s_or_b64 exec, exec, s[4:5]
	scratch_load_dwordx4 v[2:5], v105, off
	v_cmp_lt_u32_e64 s[0:1], 26, v0
	s_waitcnt vmcnt(0)
	ds_write_b128 v11, v[2:5]
	s_waitcnt lgkmcnt(0)
	; wave barrier
	s_waitcnt lgkmcnt(0)
	s_and_saveexec_b64 s[4:5], s[0:1]
	s_cbranch_execz .LBB103_107
; %bb.100:
	ds_read_b128 v[2:5], v11
	s_andn2_b64 vcc, exec, s[6:7]
	s_cbranch_vccnz .LBB103_102
; %bb.101:
	scratch_load_dwordx4 v[132:135], v10, off
	s_waitcnt vmcnt(0) lgkmcnt(0)
	v_mul_f64 v[12:13], v[2:3], v[134:135]
	v_mul_f64 v[6:7], v[4:5], v[134:135]
	v_fmac_f64_e32 v[12:13], v[4:5], v[132:133]
	v_fma_f64 v[2:3], v[2:3], v[132:133], -v[6:7]
	v_mov_b64_e32 v[4:5], v[12:13]
.LBB103_102:
	s_and_saveexec_b64 s[8:9], s[2:3]
	s_cbranch_execz .LBB103_106
; %bb.103:
	v_mov_b32_e32 v7, 0
	v_subrev_u32_e32 v6, 27, v0
	v_add_u32_e32 v7, 0x1b8, v7
	s_movk_i32 s10, 0x430
	s_mov_b64 s[2:3], 0
.LBB103_104:                            ; =>This Inner Loop Header: Depth=1
	v_add_u32_e32 v12, -8, v7
	scratch_load_dwordx4 v[132:135], v12, off
	v_mov_b32_e32 v12, s10
	ds_read_b128 v[136:139], v12
	v_add_u32_e32 v6, -1, v6
	s_add_i32 s10, s10, 16
	v_cmp_eq_u32_e32 vcc, 0, v6
	v_add_u32_e32 v7, 16, v7
	s_or_b64 s[2:3], vcc, s[2:3]
	s_waitcnt vmcnt(0) lgkmcnt(0)
	v_mul_f64 v[12:13], v[138:139], v[134:135]
	v_mul_f64 v[134:135], v[136:137], v[134:135]
	v_fma_f64 v[12:13], v[136:137], v[132:133], -v[12:13]
	v_fmac_f64_e32 v[134:135], v[138:139], v[132:133]
	v_add_f64 v[2:3], v[2:3], v[12:13]
	v_add_f64 v[4:5], v[4:5], v[134:135]
	s_andn2_b64 exec, exec, s[2:3]
	s_cbranch_execnz .LBB103_104
; %bb.105:
	s_or_b64 exec, exec, s[2:3]
.LBB103_106:
	s_or_b64 exec, exec, s[8:9]
	v_mov_b32_e32 v6, 0
	ds_read_b128 v[132:135], v6 offset:416
	s_waitcnt lgkmcnt(0)
	v_mul_f64 v[6:7], v[4:5], v[134:135]
	v_mul_f64 v[136:137], v[2:3], v[134:135]
	v_fma_f64 v[134:135], v[2:3], v[132:133], -v[6:7]
	v_fmac_f64_e32 v[136:137], v[4:5], v[132:133]
	scratch_store_dwordx4 off, v[134:137], off offset:416
.LBB103_107:
	s_or_b64 exec, exec, s[4:5]
	scratch_load_dwordx4 v[2:5], v106, off
	v_cmp_lt_u32_e64 s[2:3], 25, v0
	s_waitcnt vmcnt(0)
	ds_write_b128 v11, v[2:5]
	s_waitcnt lgkmcnt(0)
	; wave barrier
	s_waitcnt lgkmcnt(0)
	s_and_saveexec_b64 s[4:5], s[2:3]
	s_cbranch_execz .LBB103_115
; %bb.108:
	ds_read_b128 v[2:5], v11
	s_andn2_b64 vcc, exec, s[6:7]
	s_cbranch_vccnz .LBB103_110
; %bb.109:
	scratch_load_dwordx4 v[132:135], v10, off
	s_waitcnt vmcnt(0) lgkmcnt(0)
	v_mul_f64 v[12:13], v[2:3], v[134:135]
	v_mul_f64 v[6:7], v[4:5], v[134:135]
	v_fmac_f64_e32 v[12:13], v[4:5], v[132:133]
	v_fma_f64 v[2:3], v[2:3], v[132:133], -v[6:7]
	v_mov_b64_e32 v[4:5], v[12:13]
.LBB103_110:
	s_and_saveexec_b64 s[8:9], s[0:1]
	s_cbranch_execz .LBB103_114
; %bb.111:
	v_mov_b32_e32 v7, 0
	v_subrev_u32_e32 v6, 26, v0
	v_add_u32_e32 v7, 0x1a8, v7
	s_movk_i32 s10, 0x420
	s_mov_b64 s[0:1], 0
.LBB103_112:                            ; =>This Inner Loop Header: Depth=1
	v_add_u32_e32 v12, -8, v7
	scratch_load_dwordx4 v[132:135], v12, off
	v_mov_b32_e32 v12, s10
	ds_read_b128 v[136:139], v12
	v_add_u32_e32 v6, -1, v6
	s_add_i32 s10, s10, 16
	v_cmp_eq_u32_e32 vcc, 0, v6
	v_add_u32_e32 v7, 16, v7
	s_or_b64 s[0:1], vcc, s[0:1]
	s_waitcnt vmcnt(0) lgkmcnt(0)
	v_mul_f64 v[12:13], v[138:139], v[134:135]
	v_mul_f64 v[134:135], v[136:137], v[134:135]
	v_fma_f64 v[12:13], v[136:137], v[132:133], -v[12:13]
	v_fmac_f64_e32 v[134:135], v[138:139], v[132:133]
	v_add_f64 v[2:3], v[2:3], v[12:13]
	v_add_f64 v[4:5], v[4:5], v[134:135]
	s_andn2_b64 exec, exec, s[0:1]
	s_cbranch_execnz .LBB103_112
; %bb.113:
	s_or_b64 exec, exec, s[0:1]
.LBB103_114:
	s_or_b64 exec, exec, s[8:9]
	v_mov_b32_e32 v6, 0
	ds_read_b128 v[132:135], v6 offset:400
	s_waitcnt lgkmcnt(0)
	v_mul_f64 v[6:7], v[4:5], v[134:135]
	v_mul_f64 v[136:137], v[2:3], v[134:135]
	v_fma_f64 v[134:135], v[2:3], v[132:133], -v[6:7]
	v_fmac_f64_e32 v[136:137], v[4:5], v[132:133]
	scratch_store_dwordx4 off, v[134:137], off offset:400
.LBB103_115:
	;; [unrolled: 63-line block ×11, first 2 shown]
	s_or_b64 exec, exec, s[4:5]
	scratch_load_dwordx4 v[2:5], v116, off
	v_cmp_lt_u32_e64 s[2:3], 15, v0
	s_waitcnt vmcnt(0)
	ds_write_b128 v11, v[2:5]
	s_waitcnt lgkmcnt(0)
	; wave barrier
	s_waitcnt lgkmcnt(0)
	s_and_saveexec_b64 s[4:5], s[2:3]
	s_cbranch_execz .LBB103_195
; %bb.188:
	ds_read_b128 v[2:5], v11
	s_andn2_b64 vcc, exec, s[6:7]
	s_cbranch_vccnz .LBB103_190
; %bb.189:
	scratch_load_dwordx4 v[132:135], v10, off
	s_waitcnt vmcnt(0) lgkmcnt(0)
	v_mul_f64 v[12:13], v[2:3], v[134:135]
	v_mul_f64 v[6:7], v[4:5], v[134:135]
	v_fmac_f64_e32 v[12:13], v[4:5], v[132:133]
	v_fma_f64 v[2:3], v[2:3], v[132:133], -v[6:7]
	v_mov_b64_e32 v[4:5], v[12:13]
.LBB103_190:
	s_and_saveexec_b64 s[8:9], s[0:1]
	s_cbranch_execz .LBB103_194
; %bb.191:
	v_mov_b32_e32 v7, 0
	v_add_u32_e32 v6, -16, v0
	v_add_u32_e32 v7, 0x108, v7
	s_movk_i32 s10, 0x380
	s_mov_b64 s[0:1], 0
.LBB103_192:                            ; =>This Inner Loop Header: Depth=1
	v_add_u32_e32 v12, -8, v7
	scratch_load_dwordx4 v[132:135], v12, off
	v_mov_b32_e32 v12, s10
	ds_read_b128 v[136:139], v12
	v_add_u32_e32 v6, -1, v6
	s_add_i32 s10, s10, 16
	v_cmp_eq_u32_e32 vcc, 0, v6
	v_add_u32_e32 v7, 16, v7
	s_or_b64 s[0:1], vcc, s[0:1]
	s_waitcnt vmcnt(0) lgkmcnt(0)
	v_mul_f64 v[12:13], v[138:139], v[134:135]
	v_mul_f64 v[134:135], v[136:137], v[134:135]
	v_fma_f64 v[12:13], v[136:137], v[132:133], -v[12:13]
	v_fmac_f64_e32 v[134:135], v[138:139], v[132:133]
	v_add_f64 v[2:3], v[2:3], v[12:13]
	v_add_f64 v[4:5], v[4:5], v[134:135]
	s_andn2_b64 exec, exec, s[0:1]
	s_cbranch_execnz .LBB103_192
; %bb.193:
	s_or_b64 exec, exec, s[0:1]
.LBB103_194:
	s_or_b64 exec, exec, s[8:9]
	v_mov_b32_e32 v6, 0
	ds_read_b128 v[132:135], v6 offset:240
	s_waitcnt lgkmcnt(0)
	v_mul_f64 v[6:7], v[4:5], v[134:135]
	v_mul_f64 v[136:137], v[2:3], v[134:135]
	v_fma_f64 v[134:135], v[2:3], v[132:133], -v[6:7]
	v_fmac_f64_e32 v[136:137], v[4:5], v[132:133]
	scratch_store_dwordx4 off, v[134:137], off offset:240
.LBB103_195:
	s_or_b64 exec, exec, s[4:5]
	scratch_load_dwordx4 v[2:5], v117, off
	v_cmp_lt_u32_e64 s[0:1], 14, v0
	s_waitcnt vmcnt(0)
	ds_write_b128 v11, v[2:5]
	s_waitcnt lgkmcnt(0)
	; wave barrier
	s_waitcnt lgkmcnt(0)
	s_and_saveexec_b64 s[4:5], s[0:1]
	s_cbranch_execz .LBB103_203
; %bb.196:
	ds_read_b128 v[2:5], v11
	s_andn2_b64 vcc, exec, s[6:7]
	s_cbranch_vccnz .LBB103_198
; %bb.197:
	scratch_load_dwordx4 v[132:135], v10, off
	s_waitcnt vmcnt(0) lgkmcnt(0)
	v_mul_f64 v[12:13], v[2:3], v[134:135]
	v_mul_f64 v[6:7], v[4:5], v[134:135]
	v_fmac_f64_e32 v[12:13], v[4:5], v[132:133]
	v_fma_f64 v[2:3], v[2:3], v[132:133], -v[6:7]
	v_mov_b64_e32 v[4:5], v[12:13]
.LBB103_198:
	s_and_saveexec_b64 s[8:9], s[2:3]
	s_cbranch_execz .LBB103_202
; %bb.199:
	v_mov_b32_e32 v7, 0
	v_add_u32_e32 v6, -15, v0
	v_add_u32_e32 v7, 0xf8, v7
	s_movk_i32 s10, 0x370
	s_mov_b64 s[2:3], 0
.LBB103_200:                            ; =>This Inner Loop Header: Depth=1
	v_add_u32_e32 v12, -8, v7
	scratch_load_dwordx4 v[132:135], v12, off
	v_mov_b32_e32 v12, s10
	ds_read_b128 v[136:139], v12
	v_add_u32_e32 v6, -1, v6
	s_add_i32 s10, s10, 16
	v_cmp_eq_u32_e32 vcc, 0, v6
	v_add_u32_e32 v7, 16, v7
	s_or_b64 s[2:3], vcc, s[2:3]
	s_waitcnt vmcnt(0) lgkmcnt(0)
	v_mul_f64 v[12:13], v[138:139], v[134:135]
	v_mul_f64 v[134:135], v[136:137], v[134:135]
	v_fma_f64 v[12:13], v[136:137], v[132:133], -v[12:13]
	v_fmac_f64_e32 v[134:135], v[138:139], v[132:133]
	v_add_f64 v[2:3], v[2:3], v[12:13]
	v_add_f64 v[4:5], v[4:5], v[134:135]
	s_andn2_b64 exec, exec, s[2:3]
	s_cbranch_execnz .LBB103_200
; %bb.201:
	s_or_b64 exec, exec, s[2:3]
.LBB103_202:
	s_or_b64 exec, exec, s[8:9]
	v_mov_b32_e32 v6, 0
	ds_read_b128 v[132:135], v6 offset:224
	s_waitcnt lgkmcnt(0)
	v_mul_f64 v[6:7], v[4:5], v[134:135]
	v_mul_f64 v[136:137], v[2:3], v[134:135]
	v_fma_f64 v[134:135], v[2:3], v[132:133], -v[6:7]
	v_fmac_f64_e32 v[136:137], v[4:5], v[132:133]
	scratch_store_dwordx4 off, v[134:137], off offset:224
.LBB103_203:
	s_or_b64 exec, exec, s[4:5]
	scratch_load_dwordx4 v[2:5], v118, off
	v_cmp_lt_u32_e64 s[2:3], 13, v0
	s_waitcnt vmcnt(0)
	ds_write_b128 v11, v[2:5]
	s_waitcnt lgkmcnt(0)
	; wave barrier
	s_waitcnt lgkmcnt(0)
	s_and_saveexec_b64 s[4:5], s[2:3]
	s_cbranch_execz .LBB103_211
; %bb.204:
	ds_read_b128 v[2:5], v11
	s_andn2_b64 vcc, exec, s[6:7]
	s_cbranch_vccnz .LBB103_206
; %bb.205:
	scratch_load_dwordx4 v[132:135], v10, off
	s_waitcnt vmcnt(0) lgkmcnt(0)
	v_mul_f64 v[12:13], v[2:3], v[134:135]
	v_mul_f64 v[6:7], v[4:5], v[134:135]
	v_fmac_f64_e32 v[12:13], v[4:5], v[132:133]
	v_fma_f64 v[2:3], v[2:3], v[132:133], -v[6:7]
	v_mov_b64_e32 v[4:5], v[12:13]
.LBB103_206:
	s_and_saveexec_b64 s[8:9], s[0:1]
	s_cbranch_execz .LBB103_210
; %bb.207:
	v_mov_b32_e32 v7, 0
	v_add_u32_e32 v6, -14, v0
	v_add_u32_e32 v7, 0xe8, v7
	s_movk_i32 s10, 0x360
	s_mov_b64 s[0:1], 0
.LBB103_208:                            ; =>This Inner Loop Header: Depth=1
	v_add_u32_e32 v12, -8, v7
	scratch_load_dwordx4 v[132:135], v12, off
	v_mov_b32_e32 v12, s10
	ds_read_b128 v[136:139], v12
	v_add_u32_e32 v6, -1, v6
	s_add_i32 s10, s10, 16
	v_cmp_eq_u32_e32 vcc, 0, v6
	v_add_u32_e32 v7, 16, v7
	s_or_b64 s[0:1], vcc, s[0:1]
	s_waitcnt vmcnt(0) lgkmcnt(0)
	v_mul_f64 v[12:13], v[138:139], v[134:135]
	v_mul_f64 v[134:135], v[136:137], v[134:135]
	v_fma_f64 v[12:13], v[136:137], v[132:133], -v[12:13]
	v_fmac_f64_e32 v[134:135], v[138:139], v[132:133]
	v_add_f64 v[2:3], v[2:3], v[12:13]
	v_add_f64 v[4:5], v[4:5], v[134:135]
	s_andn2_b64 exec, exec, s[0:1]
	s_cbranch_execnz .LBB103_208
; %bb.209:
	s_or_b64 exec, exec, s[0:1]
.LBB103_210:
	s_or_b64 exec, exec, s[8:9]
	v_mov_b32_e32 v6, 0
	ds_read_b128 v[132:135], v6 offset:208
	s_waitcnt lgkmcnt(0)
	v_mul_f64 v[6:7], v[4:5], v[134:135]
	v_mul_f64 v[136:137], v[2:3], v[134:135]
	v_fma_f64 v[134:135], v[2:3], v[132:133], -v[6:7]
	v_fmac_f64_e32 v[136:137], v[4:5], v[132:133]
	scratch_store_dwordx4 off, v[134:137], off offset:208
.LBB103_211:
	s_or_b64 exec, exec, s[4:5]
	scratch_load_dwordx4 v[2:5], v119, off
	v_cmp_lt_u32_e64 s[0:1], 12, v0
	s_waitcnt vmcnt(0)
	ds_write_b128 v11, v[2:5]
	s_waitcnt lgkmcnt(0)
	; wave barrier
	s_waitcnt lgkmcnt(0)
	s_and_saveexec_b64 s[4:5], s[0:1]
	s_cbranch_execz .LBB103_219
; %bb.212:
	ds_read_b128 v[2:5], v11
	s_andn2_b64 vcc, exec, s[6:7]
	s_cbranch_vccnz .LBB103_214
; %bb.213:
	scratch_load_dwordx4 v[132:135], v10, off
	s_waitcnt vmcnt(0) lgkmcnt(0)
	v_mul_f64 v[12:13], v[2:3], v[134:135]
	v_mul_f64 v[6:7], v[4:5], v[134:135]
	v_fmac_f64_e32 v[12:13], v[4:5], v[132:133]
	v_fma_f64 v[2:3], v[2:3], v[132:133], -v[6:7]
	v_mov_b64_e32 v[4:5], v[12:13]
.LBB103_214:
	s_and_saveexec_b64 s[8:9], s[2:3]
	s_cbranch_execz .LBB103_218
; %bb.215:
	v_mov_b32_e32 v7, 0
	v_add_u32_e32 v6, -13, v0
	v_add_u32_e32 v7, 0xd8, v7
	s_movk_i32 s10, 0x350
	s_mov_b64 s[2:3], 0
.LBB103_216:                            ; =>This Inner Loop Header: Depth=1
	v_add_u32_e32 v12, -8, v7
	scratch_load_dwordx4 v[132:135], v12, off
	v_mov_b32_e32 v12, s10
	ds_read_b128 v[136:139], v12
	v_add_u32_e32 v6, -1, v6
	s_add_i32 s10, s10, 16
	v_cmp_eq_u32_e32 vcc, 0, v6
	v_add_u32_e32 v7, 16, v7
	s_or_b64 s[2:3], vcc, s[2:3]
	s_waitcnt vmcnt(0) lgkmcnt(0)
	v_mul_f64 v[12:13], v[138:139], v[134:135]
	v_mul_f64 v[134:135], v[136:137], v[134:135]
	v_fma_f64 v[12:13], v[136:137], v[132:133], -v[12:13]
	v_fmac_f64_e32 v[134:135], v[138:139], v[132:133]
	v_add_f64 v[2:3], v[2:3], v[12:13]
	v_add_f64 v[4:5], v[4:5], v[134:135]
	s_andn2_b64 exec, exec, s[2:3]
	s_cbranch_execnz .LBB103_216
; %bb.217:
	s_or_b64 exec, exec, s[2:3]
.LBB103_218:
	s_or_b64 exec, exec, s[8:9]
	v_mov_b32_e32 v6, 0
	ds_read_b128 v[132:135], v6 offset:192
	s_waitcnt lgkmcnt(0)
	v_mul_f64 v[6:7], v[4:5], v[134:135]
	v_mul_f64 v[136:137], v[2:3], v[134:135]
	v_fma_f64 v[134:135], v[2:3], v[132:133], -v[6:7]
	v_fmac_f64_e32 v[136:137], v[4:5], v[132:133]
	scratch_store_dwordx4 off, v[134:137], off offset:192
.LBB103_219:
	s_or_b64 exec, exec, s[4:5]
	scratch_load_dwordx4 v[2:5], v120, off
	v_cmp_lt_u32_e64 s[2:3], 11, v0
	s_waitcnt vmcnt(0)
	ds_write_b128 v11, v[2:5]
	s_waitcnt lgkmcnt(0)
	; wave barrier
	s_waitcnt lgkmcnt(0)
	s_and_saveexec_b64 s[4:5], s[2:3]
	s_cbranch_execz .LBB103_227
; %bb.220:
	ds_read_b128 v[2:5], v11
	s_andn2_b64 vcc, exec, s[6:7]
	s_cbranch_vccnz .LBB103_222
; %bb.221:
	scratch_load_dwordx4 v[132:135], v10, off
	s_waitcnt vmcnt(0) lgkmcnt(0)
	v_mul_f64 v[12:13], v[2:3], v[134:135]
	v_mul_f64 v[6:7], v[4:5], v[134:135]
	v_fmac_f64_e32 v[12:13], v[4:5], v[132:133]
	v_fma_f64 v[2:3], v[2:3], v[132:133], -v[6:7]
	v_mov_b64_e32 v[4:5], v[12:13]
.LBB103_222:
	s_and_saveexec_b64 s[8:9], s[0:1]
	s_cbranch_execz .LBB103_226
; %bb.223:
	v_mov_b32_e32 v7, 0
	v_add_u32_e32 v6, -12, v0
	v_add_u32_e32 v7, 0xc8, v7
	s_movk_i32 s10, 0x340
	s_mov_b64 s[0:1], 0
.LBB103_224:                            ; =>This Inner Loop Header: Depth=1
	v_add_u32_e32 v12, -8, v7
	scratch_load_dwordx4 v[132:135], v12, off
	v_mov_b32_e32 v12, s10
	ds_read_b128 v[136:139], v12
	v_add_u32_e32 v6, -1, v6
	s_add_i32 s10, s10, 16
	v_cmp_eq_u32_e32 vcc, 0, v6
	v_add_u32_e32 v7, 16, v7
	s_or_b64 s[0:1], vcc, s[0:1]
	s_waitcnt vmcnt(0) lgkmcnt(0)
	v_mul_f64 v[12:13], v[138:139], v[134:135]
	v_mul_f64 v[134:135], v[136:137], v[134:135]
	v_fma_f64 v[12:13], v[136:137], v[132:133], -v[12:13]
	v_fmac_f64_e32 v[134:135], v[138:139], v[132:133]
	v_add_f64 v[2:3], v[2:3], v[12:13]
	v_add_f64 v[4:5], v[4:5], v[134:135]
	s_andn2_b64 exec, exec, s[0:1]
	s_cbranch_execnz .LBB103_224
; %bb.225:
	s_or_b64 exec, exec, s[0:1]
.LBB103_226:
	s_or_b64 exec, exec, s[8:9]
	v_mov_b32_e32 v6, 0
	ds_read_b128 v[132:135], v6 offset:176
	s_waitcnt lgkmcnt(0)
	v_mul_f64 v[6:7], v[4:5], v[134:135]
	v_mul_f64 v[136:137], v[2:3], v[134:135]
	v_fma_f64 v[134:135], v[2:3], v[132:133], -v[6:7]
	v_fmac_f64_e32 v[136:137], v[4:5], v[132:133]
	scratch_store_dwordx4 off, v[134:137], off offset:176
.LBB103_227:
	s_or_b64 exec, exec, s[4:5]
	scratch_load_dwordx4 v[2:5], v121, off
	v_cmp_lt_u32_e64 s[0:1], 10, v0
	s_waitcnt vmcnt(0)
	ds_write_b128 v11, v[2:5]
	s_waitcnt lgkmcnt(0)
	; wave barrier
	s_waitcnt lgkmcnt(0)
	s_and_saveexec_b64 s[4:5], s[0:1]
	s_cbranch_execz .LBB103_235
; %bb.228:
	ds_read_b128 v[2:5], v11
	s_andn2_b64 vcc, exec, s[6:7]
	s_cbranch_vccnz .LBB103_230
; %bb.229:
	scratch_load_dwordx4 v[132:135], v10, off
	s_waitcnt vmcnt(0) lgkmcnt(0)
	v_mul_f64 v[12:13], v[2:3], v[134:135]
	v_mul_f64 v[6:7], v[4:5], v[134:135]
	v_fmac_f64_e32 v[12:13], v[4:5], v[132:133]
	v_fma_f64 v[2:3], v[2:3], v[132:133], -v[6:7]
	v_mov_b64_e32 v[4:5], v[12:13]
.LBB103_230:
	s_and_saveexec_b64 s[8:9], s[2:3]
	s_cbranch_execz .LBB103_234
; %bb.231:
	v_mov_b32_e32 v7, 0
	v_add_u32_e32 v6, -11, v0
	v_add_u32_e32 v7, 0xb8, v7
	s_movk_i32 s10, 0x330
	s_mov_b64 s[2:3], 0
.LBB103_232:                            ; =>This Inner Loop Header: Depth=1
	v_add_u32_e32 v12, -8, v7
	scratch_load_dwordx4 v[132:135], v12, off
	v_mov_b32_e32 v12, s10
	ds_read_b128 v[136:139], v12
	v_add_u32_e32 v6, -1, v6
	s_add_i32 s10, s10, 16
	v_cmp_eq_u32_e32 vcc, 0, v6
	v_add_u32_e32 v7, 16, v7
	s_or_b64 s[2:3], vcc, s[2:3]
	s_waitcnt vmcnt(0) lgkmcnt(0)
	v_mul_f64 v[12:13], v[138:139], v[134:135]
	v_mul_f64 v[134:135], v[136:137], v[134:135]
	v_fma_f64 v[12:13], v[136:137], v[132:133], -v[12:13]
	v_fmac_f64_e32 v[134:135], v[138:139], v[132:133]
	v_add_f64 v[2:3], v[2:3], v[12:13]
	v_add_f64 v[4:5], v[4:5], v[134:135]
	s_andn2_b64 exec, exec, s[2:3]
	s_cbranch_execnz .LBB103_232
; %bb.233:
	s_or_b64 exec, exec, s[2:3]
.LBB103_234:
	s_or_b64 exec, exec, s[8:9]
	v_mov_b32_e32 v6, 0
	ds_read_b128 v[132:135], v6 offset:160
	s_waitcnt lgkmcnt(0)
	v_mul_f64 v[6:7], v[4:5], v[134:135]
	v_mul_f64 v[136:137], v[2:3], v[134:135]
	v_fma_f64 v[134:135], v[2:3], v[132:133], -v[6:7]
	v_fmac_f64_e32 v[136:137], v[4:5], v[132:133]
	scratch_store_dwordx4 off, v[134:137], off offset:160
.LBB103_235:
	s_or_b64 exec, exec, s[4:5]
	scratch_load_dwordx4 v[2:5], v122, off
	v_cmp_lt_u32_e64 s[2:3], 9, v0
	s_waitcnt vmcnt(0)
	ds_write_b128 v11, v[2:5]
	s_waitcnt lgkmcnt(0)
	; wave barrier
	s_waitcnt lgkmcnt(0)
	s_and_saveexec_b64 s[4:5], s[2:3]
	s_cbranch_execz .LBB103_243
; %bb.236:
	ds_read_b128 v[2:5], v11
	s_andn2_b64 vcc, exec, s[6:7]
	s_cbranch_vccnz .LBB103_238
; %bb.237:
	scratch_load_dwordx4 v[132:135], v10, off
	s_waitcnt vmcnt(0) lgkmcnt(0)
	v_mul_f64 v[12:13], v[2:3], v[134:135]
	v_mul_f64 v[6:7], v[4:5], v[134:135]
	v_fmac_f64_e32 v[12:13], v[4:5], v[132:133]
	v_fma_f64 v[2:3], v[2:3], v[132:133], -v[6:7]
	v_mov_b64_e32 v[4:5], v[12:13]
.LBB103_238:
	s_and_saveexec_b64 s[8:9], s[0:1]
	s_cbranch_execz .LBB103_242
; %bb.239:
	v_mov_b32_e32 v7, 0
	v_add_u32_e32 v6, -10, v0
	v_add_u32_e32 v7, 0xa8, v7
	s_movk_i32 s10, 0x320
	s_mov_b64 s[0:1], 0
.LBB103_240:                            ; =>This Inner Loop Header: Depth=1
	v_add_u32_e32 v12, -8, v7
	scratch_load_dwordx4 v[132:135], v12, off
	v_mov_b32_e32 v12, s10
	ds_read_b128 v[136:139], v12
	v_add_u32_e32 v6, -1, v6
	s_add_i32 s10, s10, 16
	v_cmp_eq_u32_e32 vcc, 0, v6
	v_add_u32_e32 v7, 16, v7
	s_or_b64 s[0:1], vcc, s[0:1]
	s_waitcnt vmcnt(0) lgkmcnt(0)
	v_mul_f64 v[12:13], v[138:139], v[134:135]
	v_mul_f64 v[134:135], v[136:137], v[134:135]
	v_fma_f64 v[12:13], v[136:137], v[132:133], -v[12:13]
	v_fmac_f64_e32 v[134:135], v[138:139], v[132:133]
	v_add_f64 v[2:3], v[2:3], v[12:13]
	v_add_f64 v[4:5], v[4:5], v[134:135]
	s_andn2_b64 exec, exec, s[0:1]
	s_cbranch_execnz .LBB103_240
; %bb.241:
	s_or_b64 exec, exec, s[0:1]
.LBB103_242:
	s_or_b64 exec, exec, s[8:9]
	v_mov_b32_e32 v6, 0
	ds_read_b128 v[132:135], v6 offset:144
	s_waitcnt lgkmcnt(0)
	v_mul_f64 v[6:7], v[4:5], v[134:135]
	v_mul_f64 v[136:137], v[2:3], v[134:135]
	v_fma_f64 v[134:135], v[2:3], v[132:133], -v[6:7]
	v_fmac_f64_e32 v[136:137], v[4:5], v[132:133]
	scratch_store_dwordx4 off, v[134:137], off offset:144
.LBB103_243:
	s_or_b64 exec, exec, s[4:5]
	scratch_load_dwordx4 v[2:5], v123, off
	v_cmp_lt_u32_e64 s[0:1], 8, v0
	s_waitcnt vmcnt(0)
	ds_write_b128 v11, v[2:5]
	s_waitcnt lgkmcnt(0)
	; wave barrier
	s_waitcnt lgkmcnt(0)
	s_and_saveexec_b64 s[4:5], s[0:1]
	s_cbranch_execz .LBB103_251
; %bb.244:
	ds_read_b128 v[2:5], v11
	s_andn2_b64 vcc, exec, s[6:7]
	s_cbranch_vccnz .LBB103_246
; %bb.245:
	scratch_load_dwordx4 v[132:135], v10, off
	s_waitcnt vmcnt(0) lgkmcnt(0)
	v_mul_f64 v[12:13], v[2:3], v[134:135]
	v_mul_f64 v[6:7], v[4:5], v[134:135]
	v_fmac_f64_e32 v[12:13], v[4:5], v[132:133]
	v_fma_f64 v[2:3], v[2:3], v[132:133], -v[6:7]
	v_mov_b64_e32 v[4:5], v[12:13]
.LBB103_246:
	s_and_saveexec_b64 s[8:9], s[2:3]
	s_cbranch_execz .LBB103_250
; %bb.247:
	v_mov_b32_e32 v7, 0
	v_add_u32_e32 v6, -9, v0
	v_add_u32_e32 v7, 0x98, v7
	s_movk_i32 s10, 0x310
	s_mov_b64 s[2:3], 0
.LBB103_248:                            ; =>This Inner Loop Header: Depth=1
	v_add_u32_e32 v12, -8, v7
	scratch_load_dwordx4 v[132:135], v12, off
	v_mov_b32_e32 v12, s10
	ds_read_b128 v[136:139], v12
	v_add_u32_e32 v6, -1, v6
	s_add_i32 s10, s10, 16
	v_cmp_eq_u32_e32 vcc, 0, v6
	v_add_u32_e32 v7, 16, v7
	s_or_b64 s[2:3], vcc, s[2:3]
	s_waitcnt vmcnt(0) lgkmcnt(0)
	v_mul_f64 v[12:13], v[138:139], v[134:135]
	v_mul_f64 v[134:135], v[136:137], v[134:135]
	v_fma_f64 v[12:13], v[136:137], v[132:133], -v[12:13]
	v_fmac_f64_e32 v[134:135], v[138:139], v[132:133]
	v_add_f64 v[2:3], v[2:3], v[12:13]
	v_add_f64 v[4:5], v[4:5], v[134:135]
	s_andn2_b64 exec, exec, s[2:3]
	s_cbranch_execnz .LBB103_248
; %bb.249:
	s_or_b64 exec, exec, s[2:3]
.LBB103_250:
	s_or_b64 exec, exec, s[8:9]
	v_mov_b32_e32 v6, 0
	ds_read_b128 v[132:135], v6 offset:128
	s_waitcnt lgkmcnt(0)
	v_mul_f64 v[6:7], v[4:5], v[134:135]
	v_mul_f64 v[136:137], v[2:3], v[134:135]
	v_fma_f64 v[134:135], v[2:3], v[132:133], -v[6:7]
	v_fmac_f64_e32 v[136:137], v[4:5], v[132:133]
	scratch_store_dwordx4 off, v[134:137], off offset:128
.LBB103_251:
	s_or_b64 exec, exec, s[4:5]
	scratch_load_dwordx4 v[2:5], v124, off
	v_cmp_lt_u32_e64 s[2:3], 7, v0
	s_waitcnt vmcnt(0)
	ds_write_b128 v11, v[2:5]
	s_waitcnt lgkmcnt(0)
	; wave barrier
	s_waitcnt lgkmcnt(0)
	s_and_saveexec_b64 s[4:5], s[2:3]
	s_cbranch_execz .LBB103_259
; %bb.252:
	ds_read_b128 v[2:5], v11
	s_andn2_b64 vcc, exec, s[6:7]
	s_cbranch_vccnz .LBB103_254
; %bb.253:
	scratch_load_dwordx4 v[132:135], v10, off
	s_waitcnt vmcnt(0) lgkmcnt(0)
	v_mul_f64 v[12:13], v[2:3], v[134:135]
	v_mul_f64 v[6:7], v[4:5], v[134:135]
	v_fmac_f64_e32 v[12:13], v[4:5], v[132:133]
	v_fma_f64 v[2:3], v[2:3], v[132:133], -v[6:7]
	v_mov_b64_e32 v[4:5], v[12:13]
.LBB103_254:
	s_and_saveexec_b64 s[8:9], s[0:1]
	s_cbranch_execz .LBB103_258
; %bb.255:
	v_mov_b32_e32 v7, 0
	v_add_u32_e32 v6, -8, v0
	v_add_u32_e32 v7, 0x88, v7
	s_movk_i32 s10, 0x300
	s_mov_b64 s[0:1], 0
.LBB103_256:                            ; =>This Inner Loop Header: Depth=1
	v_add_u32_e32 v12, -8, v7
	scratch_load_dwordx4 v[132:135], v12, off
	v_mov_b32_e32 v12, s10
	ds_read_b128 v[136:139], v12
	v_add_u32_e32 v6, -1, v6
	s_add_i32 s10, s10, 16
	v_cmp_eq_u32_e32 vcc, 0, v6
	v_add_u32_e32 v7, 16, v7
	s_or_b64 s[0:1], vcc, s[0:1]
	s_waitcnt vmcnt(0) lgkmcnt(0)
	v_mul_f64 v[12:13], v[138:139], v[134:135]
	v_mul_f64 v[134:135], v[136:137], v[134:135]
	v_fma_f64 v[12:13], v[136:137], v[132:133], -v[12:13]
	v_fmac_f64_e32 v[134:135], v[138:139], v[132:133]
	v_add_f64 v[2:3], v[2:3], v[12:13]
	v_add_f64 v[4:5], v[4:5], v[134:135]
	s_andn2_b64 exec, exec, s[0:1]
	s_cbranch_execnz .LBB103_256
; %bb.257:
	s_or_b64 exec, exec, s[0:1]
.LBB103_258:
	s_or_b64 exec, exec, s[8:9]
	v_mov_b32_e32 v6, 0
	ds_read_b128 v[132:135], v6 offset:112
	s_waitcnt lgkmcnt(0)
	v_mul_f64 v[6:7], v[4:5], v[134:135]
	v_mul_f64 v[136:137], v[2:3], v[134:135]
	v_fma_f64 v[134:135], v[2:3], v[132:133], -v[6:7]
	v_fmac_f64_e32 v[136:137], v[4:5], v[132:133]
	scratch_store_dwordx4 off, v[134:137], off offset:112
.LBB103_259:
	s_or_b64 exec, exec, s[4:5]
	scratch_load_dwordx4 v[2:5], v125, off
	v_cmp_lt_u32_e64 s[0:1], 6, v0
	s_waitcnt vmcnt(0)
	ds_write_b128 v11, v[2:5]
	s_waitcnt lgkmcnt(0)
	; wave barrier
	s_waitcnt lgkmcnt(0)
	s_and_saveexec_b64 s[4:5], s[0:1]
	s_cbranch_execz .LBB103_267
; %bb.260:
	ds_read_b128 v[2:5], v11
	s_andn2_b64 vcc, exec, s[6:7]
	s_cbranch_vccnz .LBB103_262
; %bb.261:
	scratch_load_dwordx4 v[132:135], v10, off
	s_waitcnt vmcnt(0) lgkmcnt(0)
	v_mul_f64 v[12:13], v[2:3], v[134:135]
	v_mul_f64 v[6:7], v[4:5], v[134:135]
	v_fmac_f64_e32 v[12:13], v[4:5], v[132:133]
	v_fma_f64 v[2:3], v[2:3], v[132:133], -v[6:7]
	v_mov_b64_e32 v[4:5], v[12:13]
.LBB103_262:
	s_and_saveexec_b64 s[8:9], s[2:3]
	s_cbranch_execz .LBB103_266
; %bb.263:
	v_mov_b32_e32 v7, 0
	v_add_u32_e32 v6, -7, v0
	v_add_u32_e32 v7, 0x78, v7
	s_movk_i32 s10, 0x2f0
	s_mov_b64 s[2:3], 0
.LBB103_264:                            ; =>This Inner Loop Header: Depth=1
	v_add_u32_e32 v12, -8, v7
	scratch_load_dwordx4 v[132:135], v12, off
	v_mov_b32_e32 v12, s10
	ds_read_b128 v[136:139], v12
	v_add_u32_e32 v6, -1, v6
	s_add_i32 s10, s10, 16
	v_cmp_eq_u32_e32 vcc, 0, v6
	v_add_u32_e32 v7, 16, v7
	s_or_b64 s[2:3], vcc, s[2:3]
	s_waitcnt vmcnt(0) lgkmcnt(0)
	v_mul_f64 v[12:13], v[138:139], v[134:135]
	v_mul_f64 v[134:135], v[136:137], v[134:135]
	v_fma_f64 v[12:13], v[136:137], v[132:133], -v[12:13]
	v_fmac_f64_e32 v[134:135], v[138:139], v[132:133]
	v_add_f64 v[2:3], v[2:3], v[12:13]
	v_add_f64 v[4:5], v[4:5], v[134:135]
	s_andn2_b64 exec, exec, s[2:3]
	s_cbranch_execnz .LBB103_264
; %bb.265:
	s_or_b64 exec, exec, s[2:3]
.LBB103_266:
	s_or_b64 exec, exec, s[8:9]
	v_mov_b32_e32 v6, 0
	ds_read_b128 v[132:135], v6 offset:96
	s_waitcnt lgkmcnt(0)
	v_mul_f64 v[6:7], v[4:5], v[134:135]
	v_mul_f64 v[136:137], v[2:3], v[134:135]
	v_fma_f64 v[134:135], v[2:3], v[132:133], -v[6:7]
	v_fmac_f64_e32 v[136:137], v[4:5], v[132:133]
	scratch_store_dwordx4 off, v[134:137], off offset:96
.LBB103_267:
	s_or_b64 exec, exec, s[4:5]
	scratch_load_dwordx4 v[2:5], v126, off
	v_cmp_lt_u32_e64 s[2:3], 5, v0
	s_waitcnt vmcnt(0)
	ds_write_b128 v11, v[2:5]
	s_waitcnt lgkmcnt(0)
	; wave barrier
	s_waitcnt lgkmcnt(0)
	s_and_saveexec_b64 s[4:5], s[2:3]
	s_cbranch_execz .LBB103_275
; %bb.268:
	ds_read_b128 v[2:5], v11
	s_andn2_b64 vcc, exec, s[6:7]
	s_cbranch_vccnz .LBB103_270
; %bb.269:
	scratch_load_dwordx4 v[132:135], v10, off
	s_waitcnt vmcnt(0) lgkmcnt(0)
	v_mul_f64 v[12:13], v[2:3], v[134:135]
	v_mul_f64 v[6:7], v[4:5], v[134:135]
	v_fmac_f64_e32 v[12:13], v[4:5], v[132:133]
	v_fma_f64 v[2:3], v[2:3], v[132:133], -v[6:7]
	v_mov_b64_e32 v[4:5], v[12:13]
.LBB103_270:
	s_and_saveexec_b64 s[8:9], s[0:1]
	s_cbranch_execz .LBB103_274
; %bb.271:
	v_mov_b32_e32 v7, 0
	v_add_u32_e32 v6, -6, v0
	v_add_u32_e32 v7, 0x68, v7
	s_movk_i32 s10, 0x2e0
	s_mov_b64 s[0:1], 0
.LBB103_272:                            ; =>This Inner Loop Header: Depth=1
	v_add_u32_e32 v12, -8, v7
	scratch_load_dwordx4 v[132:135], v12, off
	v_mov_b32_e32 v12, s10
	ds_read_b128 v[136:139], v12
	v_add_u32_e32 v6, -1, v6
	s_add_i32 s10, s10, 16
	v_cmp_eq_u32_e32 vcc, 0, v6
	v_add_u32_e32 v7, 16, v7
	s_or_b64 s[0:1], vcc, s[0:1]
	s_waitcnt vmcnt(0) lgkmcnt(0)
	v_mul_f64 v[12:13], v[138:139], v[134:135]
	v_mul_f64 v[134:135], v[136:137], v[134:135]
	v_fma_f64 v[12:13], v[136:137], v[132:133], -v[12:13]
	v_fmac_f64_e32 v[134:135], v[138:139], v[132:133]
	v_add_f64 v[2:3], v[2:3], v[12:13]
	v_add_f64 v[4:5], v[4:5], v[134:135]
	s_andn2_b64 exec, exec, s[0:1]
	s_cbranch_execnz .LBB103_272
; %bb.273:
	s_or_b64 exec, exec, s[0:1]
.LBB103_274:
	s_or_b64 exec, exec, s[8:9]
	v_mov_b32_e32 v6, 0
	ds_read_b128 v[132:135], v6 offset:80
	s_waitcnt lgkmcnt(0)
	v_mul_f64 v[6:7], v[4:5], v[134:135]
	v_mul_f64 v[136:137], v[2:3], v[134:135]
	v_fma_f64 v[134:135], v[2:3], v[132:133], -v[6:7]
	v_fmac_f64_e32 v[136:137], v[4:5], v[132:133]
	scratch_store_dwordx4 off, v[134:137], off offset:80
.LBB103_275:
	s_or_b64 exec, exec, s[4:5]
	scratch_load_dwordx4 v[2:5], v127, off
	v_cmp_lt_u32_e64 s[0:1], 4, v0
	s_waitcnt vmcnt(0)
	ds_write_b128 v11, v[2:5]
	s_waitcnt lgkmcnt(0)
	; wave barrier
	s_waitcnt lgkmcnt(0)
	s_and_saveexec_b64 s[4:5], s[0:1]
	s_cbranch_execz .LBB103_283
; %bb.276:
	ds_read_b128 v[2:5], v11
	s_andn2_b64 vcc, exec, s[6:7]
	s_cbranch_vccnz .LBB103_278
; %bb.277:
	scratch_load_dwordx4 v[132:135], v10, off
	s_waitcnt vmcnt(0) lgkmcnt(0)
	v_mul_f64 v[12:13], v[2:3], v[134:135]
	v_mul_f64 v[6:7], v[4:5], v[134:135]
	v_fmac_f64_e32 v[12:13], v[4:5], v[132:133]
	v_fma_f64 v[2:3], v[2:3], v[132:133], -v[6:7]
	v_mov_b64_e32 v[4:5], v[12:13]
.LBB103_278:
	s_and_saveexec_b64 s[8:9], s[2:3]
	s_cbranch_execz .LBB103_282
; %bb.279:
	v_mov_b32_e32 v7, 0
	v_add_u32_e32 v6, -5, v0
	v_add_u32_e32 v7, 0x58, v7
	s_movk_i32 s10, 0x2d0
	s_mov_b64 s[2:3], 0
.LBB103_280:                            ; =>This Inner Loop Header: Depth=1
	v_add_u32_e32 v12, -8, v7
	scratch_load_dwordx4 v[132:135], v12, off
	v_mov_b32_e32 v12, s10
	ds_read_b128 v[136:139], v12
	v_add_u32_e32 v6, -1, v6
	s_add_i32 s10, s10, 16
	v_cmp_eq_u32_e32 vcc, 0, v6
	v_add_u32_e32 v7, 16, v7
	s_or_b64 s[2:3], vcc, s[2:3]
	s_waitcnt vmcnt(0) lgkmcnt(0)
	v_mul_f64 v[12:13], v[138:139], v[134:135]
	v_mul_f64 v[134:135], v[136:137], v[134:135]
	v_fma_f64 v[12:13], v[136:137], v[132:133], -v[12:13]
	v_fmac_f64_e32 v[134:135], v[138:139], v[132:133]
	v_add_f64 v[2:3], v[2:3], v[12:13]
	v_add_f64 v[4:5], v[4:5], v[134:135]
	s_andn2_b64 exec, exec, s[2:3]
	s_cbranch_execnz .LBB103_280
; %bb.281:
	s_or_b64 exec, exec, s[2:3]
.LBB103_282:
	s_or_b64 exec, exec, s[8:9]
	v_mov_b32_e32 v6, 0
	ds_read_b128 v[132:135], v6 offset:64
	s_waitcnt lgkmcnt(0)
	v_mul_f64 v[6:7], v[4:5], v[134:135]
	v_mul_f64 v[136:137], v[2:3], v[134:135]
	v_fma_f64 v[134:135], v[2:3], v[132:133], -v[6:7]
	v_fmac_f64_e32 v[136:137], v[4:5], v[132:133]
	scratch_store_dwordx4 off, v[134:137], off offset:64
.LBB103_283:
	s_or_b64 exec, exec, s[4:5]
	scratch_load_dwordx4 v[2:5], v128, off
	v_cmp_lt_u32_e64 s[2:3], 3, v0
	s_waitcnt vmcnt(0)
	ds_write_b128 v11, v[2:5]
	s_waitcnt lgkmcnt(0)
	; wave barrier
	s_waitcnt lgkmcnt(0)
	s_and_saveexec_b64 s[4:5], s[2:3]
	s_cbranch_execz .LBB103_291
; %bb.284:
	ds_read_b128 v[2:5], v11
	s_andn2_b64 vcc, exec, s[6:7]
	s_cbranch_vccnz .LBB103_286
; %bb.285:
	scratch_load_dwordx4 v[132:135], v10, off
	s_waitcnt vmcnt(0) lgkmcnt(0)
	v_mul_f64 v[12:13], v[2:3], v[134:135]
	v_mul_f64 v[6:7], v[4:5], v[134:135]
	v_fmac_f64_e32 v[12:13], v[4:5], v[132:133]
	v_fma_f64 v[2:3], v[2:3], v[132:133], -v[6:7]
	v_mov_b64_e32 v[4:5], v[12:13]
.LBB103_286:
	s_and_saveexec_b64 s[8:9], s[0:1]
	s_cbranch_execz .LBB103_290
; %bb.287:
	v_mov_b32_e32 v7, 0
	v_add_u32_e32 v6, -4, v0
	v_add_u32_e32 v7, 0x48, v7
	s_movk_i32 s10, 0x2c0
	s_mov_b64 s[0:1], 0
.LBB103_288:                            ; =>This Inner Loop Header: Depth=1
	v_add_u32_e32 v12, -8, v7
	scratch_load_dwordx4 v[132:135], v12, off
	v_mov_b32_e32 v12, s10
	ds_read_b128 v[136:139], v12
	v_add_u32_e32 v6, -1, v6
	s_add_i32 s10, s10, 16
	v_cmp_eq_u32_e32 vcc, 0, v6
	v_add_u32_e32 v7, 16, v7
	s_or_b64 s[0:1], vcc, s[0:1]
	s_waitcnt vmcnt(0) lgkmcnt(0)
	v_mul_f64 v[12:13], v[138:139], v[134:135]
	v_mul_f64 v[134:135], v[136:137], v[134:135]
	v_fma_f64 v[12:13], v[136:137], v[132:133], -v[12:13]
	v_fmac_f64_e32 v[134:135], v[138:139], v[132:133]
	v_add_f64 v[2:3], v[2:3], v[12:13]
	v_add_f64 v[4:5], v[4:5], v[134:135]
	s_andn2_b64 exec, exec, s[0:1]
	s_cbranch_execnz .LBB103_288
; %bb.289:
	s_or_b64 exec, exec, s[0:1]
.LBB103_290:
	s_or_b64 exec, exec, s[8:9]
	v_mov_b32_e32 v6, 0
	ds_read_b128 v[132:135], v6 offset:48
	s_waitcnt lgkmcnt(0)
	v_mul_f64 v[6:7], v[4:5], v[134:135]
	v_mul_f64 v[136:137], v[2:3], v[134:135]
	v_fma_f64 v[134:135], v[2:3], v[132:133], -v[6:7]
	v_fmac_f64_e32 v[136:137], v[4:5], v[132:133]
	scratch_store_dwordx4 off, v[134:137], off offset:48
.LBB103_291:
	s_or_b64 exec, exec, s[4:5]
	scratch_load_dwordx4 v[2:5], v129, off
	v_cmp_lt_u32_e64 s[4:5], 2, v0
	s_waitcnt vmcnt(0)
	ds_write_b128 v11, v[2:5]
	s_waitcnt lgkmcnt(0)
	; wave barrier
	s_waitcnt lgkmcnt(0)
	s_and_saveexec_b64 s[0:1], s[4:5]
	s_cbranch_execz .LBB103_299
; %bb.292:
	ds_read_b128 v[2:5], v11
	s_andn2_b64 vcc, exec, s[6:7]
	s_cbranch_vccnz .LBB103_294
; %bb.293:
	scratch_load_dwordx4 v[132:135], v10, off
	s_waitcnt vmcnt(0) lgkmcnt(0)
	v_mul_f64 v[12:13], v[2:3], v[134:135]
	v_mul_f64 v[6:7], v[4:5], v[134:135]
	v_fmac_f64_e32 v[12:13], v[4:5], v[132:133]
	v_fma_f64 v[2:3], v[2:3], v[132:133], -v[6:7]
	v_mov_b64_e32 v[4:5], v[12:13]
.LBB103_294:
	s_and_saveexec_b64 s[8:9], s[2:3]
	s_cbranch_execz .LBB103_298
; %bb.295:
	v_mov_b32_e32 v7, 0
	v_add_u32_e32 v6, -3, v0
	v_add_u32_e32 v7, 56, v7
	s_movk_i32 s10, 0x2b0
	s_mov_b64 s[2:3], 0
.LBB103_296:                            ; =>This Inner Loop Header: Depth=1
	v_add_u32_e32 v12, -8, v7
	scratch_load_dwordx4 v[132:135], v12, off
	v_mov_b32_e32 v12, s10
	ds_read_b128 v[136:139], v12
	v_add_u32_e32 v6, -1, v6
	s_add_i32 s10, s10, 16
	v_cmp_eq_u32_e32 vcc, 0, v6
	v_add_u32_e32 v7, 16, v7
	s_or_b64 s[2:3], vcc, s[2:3]
	s_waitcnt vmcnt(0) lgkmcnt(0)
	v_mul_f64 v[12:13], v[138:139], v[134:135]
	v_mul_f64 v[134:135], v[136:137], v[134:135]
	v_fma_f64 v[12:13], v[136:137], v[132:133], -v[12:13]
	v_fmac_f64_e32 v[134:135], v[138:139], v[132:133]
	v_add_f64 v[2:3], v[2:3], v[12:13]
	v_add_f64 v[4:5], v[4:5], v[134:135]
	s_andn2_b64 exec, exec, s[2:3]
	s_cbranch_execnz .LBB103_296
; %bb.297:
	s_or_b64 exec, exec, s[2:3]
.LBB103_298:
	s_or_b64 exec, exec, s[8:9]
	v_mov_b32_e32 v6, 0
	ds_read_b128 v[132:135], v6 offset:32
	s_waitcnt lgkmcnt(0)
	v_mul_f64 v[6:7], v[4:5], v[134:135]
	v_mul_f64 v[136:137], v[2:3], v[134:135]
	v_fma_f64 v[134:135], v[2:3], v[132:133], -v[6:7]
	v_fmac_f64_e32 v[136:137], v[4:5], v[132:133]
	scratch_store_dwordx4 off, v[134:137], off offset:32
.LBB103_299:
	s_or_b64 exec, exec, s[0:1]
	scratch_load_dwordx4 v[2:5], v130, off
	v_cmp_lt_u32_e64 s[0:1], 1, v0
	s_waitcnt vmcnt(0)
	ds_write_b128 v11, v[2:5]
	s_waitcnt lgkmcnt(0)
	; wave barrier
	s_waitcnt lgkmcnt(0)
	s_and_saveexec_b64 s[2:3], s[0:1]
	s_cbranch_execz .LBB103_307
; %bb.300:
	ds_read_b128 v[2:5], v11
	s_andn2_b64 vcc, exec, s[6:7]
	s_cbranch_vccnz .LBB103_302
; %bb.301:
	scratch_load_dwordx4 v[132:135], v10, off
	s_waitcnt vmcnt(0) lgkmcnt(0)
	v_mul_f64 v[12:13], v[2:3], v[134:135]
	v_mul_f64 v[6:7], v[4:5], v[134:135]
	v_fmac_f64_e32 v[12:13], v[4:5], v[132:133]
	v_fma_f64 v[2:3], v[2:3], v[132:133], -v[6:7]
	v_mov_b64_e32 v[4:5], v[12:13]
.LBB103_302:
	s_and_saveexec_b64 s[8:9], s[4:5]
	s_cbranch_execz .LBB103_306
; %bb.303:
	v_mov_b32_e32 v7, 0
	v_add_u32_e32 v6, -2, v0
	v_add_u32_e32 v7, 40, v7
	s_movk_i32 s10, 0x2a0
	s_mov_b64 s[4:5], 0
.LBB103_304:                            ; =>This Inner Loop Header: Depth=1
	v_add_u32_e32 v12, -8, v7
	scratch_load_dwordx4 v[132:135], v12, off
	v_mov_b32_e32 v12, s10
	ds_read_b128 v[136:139], v12
	v_add_u32_e32 v6, -1, v6
	s_add_i32 s10, s10, 16
	v_cmp_eq_u32_e32 vcc, 0, v6
	v_add_u32_e32 v7, 16, v7
	s_or_b64 s[4:5], vcc, s[4:5]
	s_waitcnt vmcnt(0) lgkmcnt(0)
	v_mul_f64 v[12:13], v[138:139], v[134:135]
	v_mul_f64 v[134:135], v[136:137], v[134:135]
	v_fma_f64 v[12:13], v[136:137], v[132:133], -v[12:13]
	v_fmac_f64_e32 v[134:135], v[138:139], v[132:133]
	v_add_f64 v[2:3], v[2:3], v[12:13]
	v_add_f64 v[4:5], v[4:5], v[134:135]
	s_andn2_b64 exec, exec, s[4:5]
	s_cbranch_execnz .LBB103_304
; %bb.305:
	s_or_b64 exec, exec, s[4:5]
.LBB103_306:
	s_or_b64 exec, exec, s[8:9]
	v_mov_b32_e32 v6, 0
	ds_read_b128 v[132:135], v6 offset:16
	s_waitcnt lgkmcnt(0)
	v_mul_f64 v[6:7], v[4:5], v[134:135]
	v_mul_f64 v[136:137], v[2:3], v[134:135]
	v_fma_f64 v[134:135], v[2:3], v[132:133], -v[6:7]
	v_fmac_f64_e32 v[136:137], v[4:5], v[132:133]
	scratch_store_dwordx4 off, v[134:137], off offset:16
.LBB103_307:
	s_or_b64 exec, exec, s[2:3]
	scratch_load_dwordx4 v[2:5], off, off
	v_cmp_ne_u32_e32 vcc, 0, v0
	s_mov_b64 s[2:3], 0
	s_mov_b64 s[4:5], 0
                                        ; implicit-def: $vgpr6_vgpr7
                                        ; implicit-def: $vgpr12
	s_waitcnt vmcnt(0)
	ds_write_b128 v11, v[2:5]
	s_waitcnt lgkmcnt(0)
	; wave barrier
	s_waitcnt lgkmcnt(0)
	s_and_saveexec_b64 s[8:9], vcc
	s_cbranch_execz .LBB103_315
; %bb.308:
	ds_read_b128 v[2:5], v11
	s_andn2_b64 vcc, exec, s[6:7]
	s_cbranch_vccnz .LBB103_310
; %bb.309:
	scratch_load_dwordx4 v[132:135], v10, off
	s_waitcnt vmcnt(0) lgkmcnt(0)
	v_mul_f64 v[12:13], v[2:3], v[134:135]
	v_mul_f64 v[6:7], v[4:5], v[134:135]
	v_fmac_f64_e32 v[12:13], v[4:5], v[132:133]
	v_fma_f64 v[2:3], v[2:3], v[132:133], -v[6:7]
	v_mov_b64_e32 v[4:5], v[12:13]
.LBB103_310:
	s_and_saveexec_b64 s[4:5], s[0:1]
	s_cbranch_execz .LBB103_314
; %bb.311:
	v_mov_b32_e32 v7, 0
	v_add_u32_e32 v6, -1, v0
	v_add_u32_e32 v7, 24, v7
	s_movk_i32 s10, 0x290
	s_mov_b64 s[0:1], 0
.LBB103_312:                            ; =>This Inner Loop Header: Depth=1
	v_add_u32_e32 v12, -8, v7
	scratch_load_dwordx4 v[132:135], v12, off
	v_mov_b32_e32 v12, s10
	ds_read_b128 v[136:139], v12
	v_add_u32_e32 v6, -1, v6
	s_add_i32 s10, s10, 16
	v_cmp_eq_u32_e32 vcc, 0, v6
	v_add_u32_e32 v7, 16, v7
	s_or_b64 s[0:1], vcc, s[0:1]
	s_waitcnt vmcnt(0) lgkmcnt(0)
	v_mul_f64 v[12:13], v[138:139], v[134:135]
	v_mul_f64 v[134:135], v[136:137], v[134:135]
	v_fma_f64 v[12:13], v[136:137], v[132:133], -v[12:13]
	v_fmac_f64_e32 v[134:135], v[138:139], v[132:133]
	v_add_f64 v[2:3], v[2:3], v[12:13]
	v_add_f64 v[4:5], v[4:5], v[134:135]
	s_andn2_b64 exec, exec, s[0:1]
	s_cbranch_execnz .LBB103_312
; %bb.313:
	s_or_b64 exec, exec, s[0:1]
.LBB103_314:
	s_or_b64 exec, exec, s[4:5]
	v_mov_b32_e32 v6, 0
	ds_read_b128 v[132:135], v6
	v_mov_b32_e32 v6, 0
	v_or_b32_e32 v12, 8, v6
	s_mov_b64 s[4:5], exec
	s_waitcnt lgkmcnt(0)
	v_mul_f64 v[136:137], v[4:5], v[134:135]
	v_mul_f64 v[6:7], v[2:3], v[134:135]
	v_fma_f64 v[2:3], v[2:3], v[132:133], -v[136:137]
	v_fmac_f64_e32 v[6:7], v[4:5], v[132:133]
	scratch_store_dwordx2 off, v[2:3], off
.LBB103_315:
	s_or_b64 exec, exec, s[8:9]
	s_and_b64 vcc, exec, s[2:3]
	s_cbranch_vccnz .LBB103_317
	s_branch .LBB103_624
.LBB103_316:
	s_mov_b64 s[4:5], 0
                                        ; implicit-def: $vgpr6_vgpr7
                                        ; implicit-def: $vgpr12
	s_cbranch_execz .LBB103_624
.LBB103_317:
	scratch_load_dwordx4 v[2:5], v130, off
	v_cndmask_b32_e64 v6, 0, 1, s[6:7]
	v_cmp_eq_u32_e64 s[2:3], 0, v0
	v_cmp_ne_u32_e64 s[0:1], 1, v6
	s_waitcnt vmcnt(0)
	ds_write_b128 v11, v[2:5]
	s_waitcnt lgkmcnt(0)
	; wave barrier
	s_waitcnt lgkmcnt(0)
	s_and_saveexec_b64 s[6:7], s[2:3]
	s_cbranch_execz .LBB103_321
; %bb.318:
	ds_read_b128 v[2:5], v11
	s_and_b64 vcc, exec, s[0:1]
	s_cbranch_vccnz .LBB103_320
; %bb.319:
	scratch_load_dwordx4 v[132:135], v10, off
	s_waitcnt vmcnt(0) lgkmcnt(0)
	v_mul_f64 v[12:13], v[2:3], v[134:135]
	v_mul_f64 v[6:7], v[4:5], v[134:135]
	v_fmac_f64_e32 v[12:13], v[4:5], v[132:133]
	v_fma_f64 v[2:3], v[2:3], v[132:133], -v[6:7]
	v_mov_b64_e32 v[4:5], v[12:13]
.LBB103_320:
	v_mov_b32_e32 v6, 0
	ds_read_b128 v[132:135], v6 offset:16
	s_waitcnt lgkmcnt(0)
	v_mul_f64 v[6:7], v[4:5], v[134:135]
	v_mul_f64 v[136:137], v[2:3], v[134:135]
	v_fma_f64 v[134:135], v[2:3], v[132:133], -v[6:7]
	v_fmac_f64_e32 v[136:137], v[4:5], v[132:133]
	scratch_store_dwordx4 off, v[134:137], off offset:16
.LBB103_321:
	s_or_b64 exec, exec, s[6:7]
	scratch_load_dwordx4 v[2:5], v129, off
	v_cmp_gt_u32_e32 vcc, 2, v0
	s_waitcnt vmcnt(0)
	ds_write_b128 v11, v[2:5]
	s_waitcnt lgkmcnt(0)
	; wave barrier
	s_waitcnt lgkmcnt(0)
	s_and_saveexec_b64 s[6:7], vcc
	s_cbranch_execz .LBB103_327
; %bb.322:
	ds_read_b128 v[2:5], v11
	s_and_b64 vcc, exec, s[0:1]
	s_cbranch_vccnz .LBB103_324
; %bb.323:
	scratch_load_dwordx4 v[132:135], v10, off
	s_waitcnt vmcnt(0) lgkmcnt(0)
	v_mul_f64 v[12:13], v[2:3], v[134:135]
	v_mul_f64 v[6:7], v[4:5], v[134:135]
	v_fmac_f64_e32 v[12:13], v[4:5], v[132:133]
	v_fma_f64 v[2:3], v[2:3], v[132:133], -v[6:7]
	v_mov_b64_e32 v[4:5], v[12:13]
.LBB103_324:
	s_and_saveexec_b64 s[8:9], s[2:3]
	s_cbranch_execz .LBB103_326
; %bb.325:
	scratch_load_dwordx4 v[132:135], v10, off offset:16
	ds_read_b128 v[136:139], v11 offset:16
	s_waitcnt vmcnt(0) lgkmcnt(0)
	v_mul_f64 v[6:7], v[138:139], v[134:135]
	v_mul_f64 v[12:13], v[136:137], v[134:135]
	v_fma_f64 v[6:7], v[136:137], v[132:133], -v[6:7]
	v_fmac_f64_e32 v[12:13], v[138:139], v[132:133]
	v_add_f64 v[2:3], v[2:3], v[6:7]
	v_add_f64 v[4:5], v[4:5], v[12:13]
.LBB103_326:
	s_or_b64 exec, exec, s[8:9]
	v_mov_b32_e32 v6, 0
	ds_read_b128 v[132:135], v6 offset:32
	s_waitcnt lgkmcnt(0)
	v_mul_f64 v[6:7], v[4:5], v[134:135]
	v_mul_f64 v[136:137], v[2:3], v[134:135]
	v_fma_f64 v[134:135], v[2:3], v[132:133], -v[6:7]
	v_fmac_f64_e32 v[136:137], v[4:5], v[132:133]
	scratch_store_dwordx4 off, v[134:137], off offset:32
.LBB103_327:
	s_or_b64 exec, exec, s[6:7]
	scratch_load_dwordx4 v[2:5], v128, off
	v_cmp_gt_u32_e32 vcc, 3, v0
	s_waitcnt vmcnt(0)
	ds_write_b128 v11, v[2:5]
	s_waitcnt lgkmcnt(0)
	; wave barrier
	s_waitcnt lgkmcnt(0)
	s_and_saveexec_b64 s[6:7], vcc
	s_cbranch_execz .LBB103_335
; %bb.328:
	ds_read_b128 v[2:5], v11
	s_and_b64 vcc, exec, s[0:1]
	s_cbranch_vccnz .LBB103_330
; %bb.329:
	scratch_load_dwordx4 v[132:135], v10, off
	s_waitcnt vmcnt(0) lgkmcnt(0)
	v_mul_f64 v[12:13], v[2:3], v[134:135]
	v_mul_f64 v[6:7], v[4:5], v[134:135]
	v_fmac_f64_e32 v[12:13], v[4:5], v[132:133]
	v_fma_f64 v[2:3], v[2:3], v[132:133], -v[6:7]
	v_mov_b64_e32 v[4:5], v[12:13]
.LBB103_330:
	v_cmp_ne_u32_e32 vcc, 2, v0
	s_and_saveexec_b64 s[8:9], vcc
	s_cbranch_execz .LBB103_334
; %bb.331:
	scratch_load_dwordx4 v[132:135], v10, off offset:16
	ds_read_b128 v[136:139], v11 offset:16
	s_waitcnt vmcnt(0) lgkmcnt(0)
	v_mul_f64 v[6:7], v[138:139], v[134:135]
	v_mul_f64 v[12:13], v[136:137], v[134:135]
	v_fma_f64 v[6:7], v[136:137], v[132:133], -v[6:7]
	v_fmac_f64_e32 v[12:13], v[138:139], v[132:133]
	v_add_f64 v[2:3], v[2:3], v[6:7]
	v_add_f64 v[4:5], v[4:5], v[12:13]
	s_and_saveexec_b64 s[10:11], s[2:3]
	s_cbranch_execz .LBB103_333
; %bb.332:
	scratch_load_dwordx4 v[132:135], off, off offset:32
	v_mov_b32_e32 v6, 0
	ds_read_b128 v[136:139], v6 offset:672
	s_waitcnt vmcnt(0) lgkmcnt(0)
	v_mul_f64 v[6:7], v[136:137], v[134:135]
	v_mul_f64 v[12:13], v[138:139], v[134:135]
	v_fmac_f64_e32 v[6:7], v[138:139], v[132:133]
	v_fma_f64 v[12:13], v[136:137], v[132:133], -v[12:13]
	v_add_f64 v[4:5], v[4:5], v[6:7]
	v_add_f64 v[2:3], v[2:3], v[12:13]
.LBB103_333:
	s_or_b64 exec, exec, s[10:11]
.LBB103_334:
	s_or_b64 exec, exec, s[8:9]
	v_mov_b32_e32 v6, 0
	ds_read_b128 v[132:135], v6 offset:48
	s_waitcnt lgkmcnt(0)
	v_mul_f64 v[6:7], v[4:5], v[134:135]
	v_mul_f64 v[136:137], v[2:3], v[134:135]
	v_fma_f64 v[134:135], v[2:3], v[132:133], -v[6:7]
	v_fmac_f64_e32 v[136:137], v[4:5], v[132:133]
	scratch_store_dwordx4 off, v[134:137], off offset:48
.LBB103_335:
	s_or_b64 exec, exec, s[6:7]
	scratch_load_dwordx4 v[2:5], v127, off
	v_cmp_gt_u32_e32 vcc, 4, v0
	s_waitcnt vmcnt(0)
	ds_write_b128 v11, v[2:5]
	s_waitcnt lgkmcnt(0)
	; wave barrier
	s_waitcnt lgkmcnt(0)
	s_and_saveexec_b64 s[2:3], vcc
	s_cbranch_execz .LBB103_343
; %bb.336:
	ds_read_b128 v[2:5], v11
	s_and_b64 vcc, exec, s[0:1]
	s_cbranch_vccnz .LBB103_338
; %bb.337:
	scratch_load_dwordx4 v[132:135], v10, off
	s_waitcnt vmcnt(0) lgkmcnt(0)
	v_mul_f64 v[12:13], v[2:3], v[134:135]
	v_mul_f64 v[6:7], v[4:5], v[134:135]
	v_fmac_f64_e32 v[12:13], v[4:5], v[132:133]
	v_fma_f64 v[2:3], v[2:3], v[132:133], -v[6:7]
	v_mov_b64_e32 v[4:5], v[12:13]
.LBB103_338:
	v_cmp_ne_u32_e32 vcc, 3, v0
	s_and_saveexec_b64 s[6:7], vcc
	s_cbranch_execz .LBB103_342
; %bb.339:
	v_mov_b32_e32 v7, 0
	v_add_u32_e32 v6, 0x290, v94
	v_add3_u32 v7, v94, v7, 24
	s_mov_b64 s[8:9], 0
	v_mov_b32_e32 v12, v0
.LBB103_340:                            ; =>This Inner Loop Header: Depth=1
	v_add_u32_e32 v13, -8, v7
	scratch_load_dwordx4 v[132:135], v13, off
	ds_read_b128 v[136:139], v6
	v_add_u32_e32 v12, 1, v12
	v_cmp_lt_u32_e32 vcc, 2, v12
	v_add_u32_e32 v6, 16, v6
	v_add_u32_e32 v7, 16, v7
	s_or_b64 s[8:9], vcc, s[8:9]
	s_waitcnt vmcnt(0) lgkmcnt(0)
	v_mul_f64 v[140:141], v[138:139], v[134:135]
	v_mul_f64 v[134:135], v[136:137], v[134:135]
	v_fma_f64 v[136:137], v[136:137], v[132:133], -v[140:141]
	v_fmac_f64_e32 v[134:135], v[138:139], v[132:133]
	v_add_f64 v[2:3], v[2:3], v[136:137]
	v_add_f64 v[4:5], v[4:5], v[134:135]
	s_andn2_b64 exec, exec, s[8:9]
	s_cbranch_execnz .LBB103_340
; %bb.341:
	s_or_b64 exec, exec, s[8:9]
.LBB103_342:
	s_or_b64 exec, exec, s[6:7]
	v_mov_b32_e32 v6, 0
	ds_read_b128 v[132:135], v6 offset:64
	s_waitcnt lgkmcnt(0)
	v_mul_f64 v[6:7], v[4:5], v[134:135]
	v_mul_f64 v[136:137], v[2:3], v[134:135]
	v_fma_f64 v[134:135], v[2:3], v[132:133], -v[6:7]
	v_fmac_f64_e32 v[136:137], v[4:5], v[132:133]
	scratch_store_dwordx4 off, v[134:137], off offset:64
.LBB103_343:
	s_or_b64 exec, exec, s[2:3]
	scratch_load_dwordx4 v[2:5], v126, off
	v_cmp_gt_u32_e32 vcc, 5, v0
	s_waitcnt vmcnt(0)
	ds_write_b128 v11, v[2:5]
	s_waitcnt lgkmcnt(0)
	; wave barrier
	s_waitcnt lgkmcnt(0)
	s_and_saveexec_b64 s[2:3], vcc
	s_cbranch_execz .LBB103_351
; %bb.344:
	ds_read_b128 v[2:5], v11
	s_and_b64 vcc, exec, s[0:1]
	s_cbranch_vccnz .LBB103_346
; %bb.345:
	scratch_load_dwordx4 v[132:135], v10, off
	s_waitcnt vmcnt(0) lgkmcnt(0)
	v_mul_f64 v[12:13], v[2:3], v[134:135]
	v_mul_f64 v[6:7], v[4:5], v[134:135]
	v_fmac_f64_e32 v[12:13], v[4:5], v[132:133]
	v_fma_f64 v[2:3], v[2:3], v[132:133], -v[6:7]
	v_mov_b64_e32 v[4:5], v[12:13]
.LBB103_346:
	v_cmp_ne_u32_e32 vcc, 4, v0
	s_and_saveexec_b64 s[6:7], vcc
	s_cbranch_execz .LBB103_350
; %bb.347:
	v_mov_b32_e32 v7, 0
	v_add_u32_e32 v6, 0x290, v94
	v_add3_u32 v7, v94, v7, 24
	s_mov_b64 s[8:9], 0
	v_mov_b32_e32 v12, v0
.LBB103_348:                            ; =>This Inner Loop Header: Depth=1
	v_add_u32_e32 v13, -8, v7
	scratch_load_dwordx4 v[132:135], v13, off
	ds_read_b128 v[136:139], v6
	v_add_u32_e32 v12, 1, v12
	v_cmp_lt_u32_e32 vcc, 3, v12
	v_add_u32_e32 v6, 16, v6
	v_add_u32_e32 v7, 16, v7
	s_or_b64 s[8:9], vcc, s[8:9]
	s_waitcnt vmcnt(0) lgkmcnt(0)
	v_mul_f64 v[140:141], v[138:139], v[134:135]
	v_mul_f64 v[134:135], v[136:137], v[134:135]
	v_fma_f64 v[136:137], v[136:137], v[132:133], -v[140:141]
	v_fmac_f64_e32 v[134:135], v[138:139], v[132:133]
	v_add_f64 v[2:3], v[2:3], v[136:137]
	v_add_f64 v[4:5], v[4:5], v[134:135]
	s_andn2_b64 exec, exec, s[8:9]
	s_cbranch_execnz .LBB103_348
; %bb.349:
	s_or_b64 exec, exec, s[8:9]
.LBB103_350:
	s_or_b64 exec, exec, s[6:7]
	v_mov_b32_e32 v6, 0
	ds_read_b128 v[132:135], v6 offset:80
	s_waitcnt lgkmcnt(0)
	v_mul_f64 v[6:7], v[4:5], v[134:135]
	v_mul_f64 v[136:137], v[2:3], v[134:135]
	v_fma_f64 v[134:135], v[2:3], v[132:133], -v[6:7]
	v_fmac_f64_e32 v[136:137], v[4:5], v[132:133]
	scratch_store_dwordx4 off, v[134:137], off offset:80
.LBB103_351:
	;; [unrolled: 63-line block ×34, first 2 shown]
	s_or_b64 exec, exec, s[2:3]
	scratch_load_dwordx4 v[2:5], v8, off
	v_cmp_gt_u32_e64 s[2:3], 38, v0
	s_waitcnt vmcnt(0)
	ds_write_b128 v11, v[2:5]
	s_waitcnt lgkmcnt(0)
	; wave barrier
	s_waitcnt lgkmcnt(0)
	s_and_saveexec_b64 s[6:7], s[2:3]
	s_cbranch_execz .LBB103_615
; %bb.608:
	ds_read_b128 v[2:5], v11
	s_and_b64 vcc, exec, s[0:1]
	s_cbranch_vccnz .LBB103_610
; %bb.609:
	scratch_load_dwordx4 v[132:135], v10, off
	s_waitcnt vmcnt(0) lgkmcnt(0)
	v_mul_f64 v[12:13], v[2:3], v[134:135]
	v_mul_f64 v[6:7], v[4:5], v[134:135]
	v_fmac_f64_e32 v[12:13], v[4:5], v[132:133]
	v_fma_f64 v[2:3], v[2:3], v[132:133], -v[6:7]
	v_mov_b64_e32 v[4:5], v[12:13]
.LBB103_610:
	v_cmp_ne_u32_e32 vcc, 37, v0
	s_and_saveexec_b64 s[8:9], vcc
	s_cbranch_execz .LBB103_614
; %bb.611:
	v_mov_b32_e32 v7, 0
	v_add_u32_e32 v6, 0x290, v94
	v_add3_u32 v7, v94, v7, 24
	s_mov_b64 s[10:11], 0
	v_mov_b32_e32 v12, v0
.LBB103_612:                            ; =>This Inner Loop Header: Depth=1
	v_add_u32_e32 v13, -8, v7
	scratch_load_dwordx4 v[132:135], v13, off
	ds_read_b128 v[136:139], v6
	v_add_u32_e32 v12, 1, v12
	v_cmp_lt_u32_e32 vcc, 36, v12
	v_add_u32_e32 v6, 16, v6
	v_add_u32_e32 v7, 16, v7
	s_or_b64 s[10:11], vcc, s[10:11]
	s_waitcnt vmcnt(0) lgkmcnt(0)
	v_mul_f64 v[140:141], v[138:139], v[134:135]
	v_mul_f64 v[134:135], v[136:137], v[134:135]
	v_fma_f64 v[136:137], v[136:137], v[132:133], -v[140:141]
	v_fmac_f64_e32 v[134:135], v[138:139], v[132:133]
	v_add_f64 v[2:3], v[2:3], v[136:137]
	v_add_f64 v[4:5], v[4:5], v[134:135]
	s_andn2_b64 exec, exec, s[10:11]
	s_cbranch_execnz .LBB103_612
; %bb.613:
	s_or_b64 exec, exec, s[10:11]
.LBB103_614:
	s_or_b64 exec, exec, s[8:9]
	v_mov_b32_e32 v6, 0
	ds_read_b128 v[132:135], v6 offset:608
	s_waitcnt lgkmcnt(0)
	v_mul_f64 v[6:7], v[4:5], v[134:135]
	v_mul_f64 v[136:137], v[2:3], v[134:135]
	v_fma_f64 v[134:135], v[2:3], v[132:133], -v[6:7]
	v_fmac_f64_e32 v[136:137], v[4:5], v[132:133]
	scratch_store_dwordx4 off, v[134:137], off offset:608
.LBB103_615:
	s_or_b64 exec, exec, s[6:7]
	scratch_load_dwordx4 v[2:5], v1, off
	v_cmp_ne_u32_e32 vcc, 39, v0
                                        ; implicit-def: $vgpr6_vgpr7
                                        ; implicit-def: $vgpr12
	s_waitcnt vmcnt(0)
	ds_write_b128 v11, v[2:5]
	s_waitcnt lgkmcnt(0)
	; wave barrier
	s_waitcnt lgkmcnt(0)
	s_and_saveexec_b64 s[6:7], vcc
	s_cbranch_execz .LBB103_623
; %bb.616:
	ds_read_b128 v[2:5], v11
	s_and_b64 vcc, exec, s[0:1]
	s_cbranch_vccnz .LBB103_618
; %bb.617:
	scratch_load_dwordx4 v[10:13], v10, off
	s_waitcnt vmcnt(0) lgkmcnt(0)
	v_mul_f64 v[6:7], v[4:5], v[12:13]
	v_mul_f64 v[12:13], v[2:3], v[12:13]
	v_fmac_f64_e32 v[12:13], v[4:5], v[10:11]
	v_fma_f64 v[2:3], v[2:3], v[10:11], -v[6:7]
	v_mov_b64_e32 v[4:5], v[12:13]
.LBB103_618:
	s_and_saveexec_b64 s[0:1], s[2:3]
	s_cbranch_execz .LBB103_622
; %bb.619:
	v_mov_b32_e32 v7, 0
	v_add_u32_e32 v6, 0x290, v94
	v_add3_u32 v7, v94, v7, 24
	s_mov_b64 s[2:3], 0
.LBB103_620:                            ; =>This Inner Loop Header: Depth=1
	v_add_u32_e32 v10, -8, v7
	scratch_load_dwordx4 v[10:13], v10, off
	ds_read_b128 v[132:135], v6
	v_add_u32_e32 v0, 1, v0
	v_cmp_lt_u32_e32 vcc, 37, v0
	v_add_u32_e32 v6, 16, v6
	v_add_u32_e32 v7, 16, v7
	s_or_b64 s[2:3], vcc, s[2:3]
	s_waitcnt vmcnt(0) lgkmcnt(0)
	v_mul_f64 v[136:137], v[134:135], v[12:13]
	v_mul_f64 v[12:13], v[132:133], v[12:13]
	v_fma_f64 v[132:133], v[132:133], v[10:11], -v[136:137]
	v_fmac_f64_e32 v[12:13], v[134:135], v[10:11]
	v_add_f64 v[2:3], v[2:3], v[132:133]
	v_add_f64 v[4:5], v[4:5], v[12:13]
	s_andn2_b64 exec, exec, s[2:3]
	s_cbranch_execnz .LBB103_620
; %bb.621:
	s_or_b64 exec, exec, s[2:3]
.LBB103_622:
	s_or_b64 exec, exec, s[0:1]
	v_mov_b32_e32 v0, 0
	ds_read_b128 v[132:135], v0 offset:624
	v_mov_b32_e32 v0, 0
	v_add_u32_e32 v12, 0x278, v0
	s_or_b64 s[4:5], s[4:5], exec
	s_waitcnt lgkmcnt(0)
	v_mul_f64 v[10:11], v[4:5], v[134:135]
	v_mul_f64 v[6:7], v[2:3], v[134:135]
	v_fma_f64 v[2:3], v[2:3], v[132:133], -v[10:11]
	v_fmac_f64_e32 v[6:7], v[4:5], v[132:133]
	scratch_store_dwordx2 off, v[2:3], off offset:624
.LBB103_623:
	s_or_b64 exec, exec, s[6:7]
.LBB103_624:
	s_and_saveexec_b64 s[0:1], s[4:5]
	s_cbranch_execz .LBB103_626
; %bb.625:
	scratch_store_dwordx2 v12, v[6:7], off
.LBB103_626:
	s_or_b64 exec, exec, s[0:1]
	scratch_load_dwordx4 v[2:5], off, off
	scratch_load_dwordx4 v[10:13], v130, off
	s_nop 0
	scratch_load_dwordx4 v[130:133], v129, off
	scratch_load_dwordx4 v[134:137], v128, off
	scratch_load_dwordx4 v[138:141], v127, off
	s_nop 0
	scratch_load_dwordx4 v[126:129], v126, off
	s_nop 0
	scratch_load_dwordx4 v[142:145], v125, off
	scratch_load_dwordx4 v[146:149], v124, off
	scratch_load_dwordx4 v[150:153], v123, off
	s_nop 0
	;; [unrolled: 6-line block ×3, first 2 shown]
	scratch_load_dwordx4 v[118:121], v118, off
	s_waitcnt vmcnt(13)
	global_store_dwordx4 v[52:53], v[2:5], off
	scratch_load_dwordx4 v[2:5], v117, off
	s_nop 0
	scratch_load_dwordx4 v[166:169], v116, off
	s_waitcnt vmcnt(15)
	global_store_dwordx4 v[50:51], v[10:13], off
	scratch_load_dwordx4 v[10:13], v115, off
	s_nop 0
	;; [unrolled: 5-line block ×13, first 2 shown]
	scratch_load_dwordx4 v[162:165], v1, off
	s_waitcnt vmcnt(39)
	global_store_dwordx4 v[18:19], v[118:121], off
	s_waitcnt vmcnt(38)
	global_store_dwordx4 v[22:23], v[2:5], off
	;; [unrolled: 2-line block ×27, first 2 shown]
.LBB103_627:
	s_endpgm
	.section	.rodata,"a",@progbits
	.p2align	6, 0x0
	.amdhsa_kernel _ZN9rocsolver6v33100L18trti2_kernel_smallILi40E19rocblas_complex_numIdEPKPS3_EEv13rocblas_fill_17rocblas_diagonal_T1_iil
		.amdhsa_group_segment_fixed_size 1280
		.amdhsa_private_segment_fixed_size 656
		.amdhsa_kernarg_size 32
		.amdhsa_user_sgpr_count 2
		.amdhsa_user_sgpr_dispatch_ptr 0
		.amdhsa_user_sgpr_queue_ptr 0
		.amdhsa_user_sgpr_kernarg_segment_ptr 1
		.amdhsa_user_sgpr_dispatch_id 0
		.amdhsa_user_sgpr_kernarg_preload_length 0
		.amdhsa_user_sgpr_kernarg_preload_offset 0
		.amdhsa_user_sgpr_private_segment_size 0
		.amdhsa_uses_dynamic_stack 0
		.amdhsa_enable_private_segment 1
		.amdhsa_system_sgpr_workgroup_id_x 1
		.amdhsa_system_sgpr_workgroup_id_y 0
		.amdhsa_system_sgpr_workgroup_id_z 0
		.amdhsa_system_sgpr_workgroup_info 0
		.amdhsa_system_vgpr_workitem_id 0
		.amdhsa_next_free_vgpr 170
		.amdhsa_next_free_sgpr 12
		.amdhsa_accum_offset 172
		.amdhsa_reserve_vcc 1
		.amdhsa_float_round_mode_32 0
		.amdhsa_float_round_mode_16_64 0
		.amdhsa_float_denorm_mode_32 3
		.amdhsa_float_denorm_mode_16_64 3
		.amdhsa_dx10_clamp 1
		.amdhsa_ieee_mode 1
		.amdhsa_fp16_overflow 0
		.amdhsa_tg_split 0
		.amdhsa_exception_fp_ieee_invalid_op 0
		.amdhsa_exception_fp_denorm_src 0
		.amdhsa_exception_fp_ieee_div_zero 0
		.amdhsa_exception_fp_ieee_overflow 0
		.amdhsa_exception_fp_ieee_underflow 0
		.amdhsa_exception_fp_ieee_inexact 0
		.amdhsa_exception_int_div_zero 0
	.end_amdhsa_kernel
	.section	.text._ZN9rocsolver6v33100L18trti2_kernel_smallILi40E19rocblas_complex_numIdEPKPS3_EEv13rocblas_fill_17rocblas_diagonal_T1_iil,"axG",@progbits,_ZN9rocsolver6v33100L18trti2_kernel_smallILi40E19rocblas_complex_numIdEPKPS3_EEv13rocblas_fill_17rocblas_diagonal_T1_iil,comdat
.Lfunc_end103:
	.size	_ZN9rocsolver6v33100L18trti2_kernel_smallILi40E19rocblas_complex_numIdEPKPS3_EEv13rocblas_fill_17rocblas_diagonal_T1_iil, .Lfunc_end103-_ZN9rocsolver6v33100L18trti2_kernel_smallILi40E19rocblas_complex_numIdEPKPS3_EEv13rocblas_fill_17rocblas_diagonal_T1_iil
                                        ; -- End function
	.section	.AMDGPU.csdata,"",@progbits
; Kernel info:
; codeLenInByte = 26332
; NumSgprs: 18
; NumVgprs: 170
; NumAgprs: 0
; TotalNumVgprs: 170
; ScratchSize: 656
; MemoryBound: 0
; FloatMode: 240
; IeeeMode: 1
; LDSByteSize: 1280 bytes/workgroup (compile time only)
; SGPRBlocks: 2
; VGPRBlocks: 21
; NumSGPRsForWavesPerEU: 18
; NumVGPRsForWavesPerEU: 170
; AccumOffset: 172
; Occupancy: 2
; WaveLimiterHint : 1
; COMPUTE_PGM_RSRC2:SCRATCH_EN: 1
; COMPUTE_PGM_RSRC2:USER_SGPR: 2
; COMPUTE_PGM_RSRC2:TRAP_HANDLER: 0
; COMPUTE_PGM_RSRC2:TGID_X_EN: 1
; COMPUTE_PGM_RSRC2:TGID_Y_EN: 0
; COMPUTE_PGM_RSRC2:TGID_Z_EN: 0
; COMPUTE_PGM_RSRC2:TIDIG_COMP_CNT: 0
; COMPUTE_PGM_RSRC3_GFX90A:ACCUM_OFFSET: 42
; COMPUTE_PGM_RSRC3_GFX90A:TG_SPLIT: 0
	.section	.text._ZN9rocsolver6v33100L18trti2_kernel_smallILi41E19rocblas_complex_numIdEPKPS3_EEv13rocblas_fill_17rocblas_diagonal_T1_iil,"axG",@progbits,_ZN9rocsolver6v33100L18trti2_kernel_smallILi41E19rocblas_complex_numIdEPKPS3_EEv13rocblas_fill_17rocblas_diagonal_T1_iil,comdat
	.globl	_ZN9rocsolver6v33100L18trti2_kernel_smallILi41E19rocblas_complex_numIdEPKPS3_EEv13rocblas_fill_17rocblas_diagonal_T1_iil ; -- Begin function _ZN9rocsolver6v33100L18trti2_kernel_smallILi41E19rocblas_complex_numIdEPKPS3_EEv13rocblas_fill_17rocblas_diagonal_T1_iil
	.p2align	8
	.type	_ZN9rocsolver6v33100L18trti2_kernel_smallILi41E19rocblas_complex_numIdEPKPS3_EEv13rocblas_fill_17rocblas_diagonal_T1_iil,@function
_ZN9rocsolver6v33100L18trti2_kernel_smallILi41E19rocblas_complex_numIdEPKPS3_EEv13rocblas_fill_17rocblas_diagonal_T1_iil: ; @_ZN9rocsolver6v33100L18trti2_kernel_smallILi41E19rocblas_complex_numIdEPKPS3_EEv13rocblas_fill_17rocblas_diagonal_T1_iil
; %bb.0:
	v_cmp_gt_u32_e32 vcc, 41, v0
	s_and_saveexec_b64 s[4:5], vcc
	s_cbranch_execz .LBB104_643
; %bb.1:
	s_load_dwordx2 s[8:9], s[0:1], 0x10
	s_load_dwordx4 s[4:7], s[0:1], 0x0
	s_ashr_i32 s3, s2, 31
	s_lshl_b64 s[0:1], s[2:3], 3
	v_lshlrev_b32_e32 v58, 4, v0
	s_waitcnt lgkmcnt(0)
	s_ashr_i32 s3, s8, 31
	s_add_u32 s0, s6, s0
	s_addc_u32 s1, s7, s1
	s_load_dwordx2 s[0:1], s[0:1], 0x0
	s_mov_b32 s2, s8
	s_lshl_b64 s[2:3], s[2:3], 4
	v_mov_b32_e32 v59, 0
	v_mov_b32_e32 v1, 0
	s_waitcnt lgkmcnt(0)
	s_add_u32 s0, s0, s2
	s_addc_u32 s1, s1, s3
	v_lshl_add_u64 v[14:15], s[0:1], 0, v[58:59]
	s_ashr_i32 s3, s9, 31
	s_mov_b32 s2, s9
	v_lshl_add_u64 v[16:17], s[2:3], 4, v[14:15]
	s_add_i32 s2, s9, s9
	v_add_u32_e32 v20, s2, v0
	v_add_u32_e32 v22, s9, v20
	;; [unrolled: 1-line block ×6, first 2 shown]
	v_ashrrev_i32_e32 v21, 31, v20
	v_ashrrev_i32_e32 v23, 31, v22
	;; [unrolled: 1-line block ×6, first 2 shown]
	v_lshl_add_u64 v[18:19], v[20:21], 4, s[0:1]
	v_lshl_add_u64 v[20:21], v[22:23], 4, s[0:1]
	;; [unrolled: 1-line block ×6, first 2 shown]
	v_add_u32_e32 v30, s9, v30
	v_add_u32_e32 v32, s9, v30
	;; [unrolled: 1-line block ×6, first 2 shown]
	v_ashrrev_i32_e32 v43, 31, v42
	v_lshl_add_u64 v[40:41], v[42:43], 4, s[0:1]
	v_add_u32_e32 v42, s9, v42
	v_add_u32_e32 v44, s9, v42
	;; [unrolled: 1-line block ×4, first 2 shown]
	v_ashrrev_i32_e32 v51, 31, v50
	v_lshl_add_u64 v[48:49], v[50:51], 4, s[0:1]
	v_add_u32_e32 v50, s9, v50
	v_add_u32_e32 v52, s9, v50
	v_ashrrev_i32_e32 v33, 31, v32
	v_ashrrev_i32_e32 v37, 31, v36
	;; [unrolled: 1-line block ×4, first 2 shown]
	v_add_u32_e32 v56, s9, v52
	v_ashrrev_i32_e32 v31, 31, v30
	v_lshl_add_u64 v[32:33], v[32:33], 4, s[0:1]
	v_ashrrev_i32_e32 v35, 31, v34
	v_lshl_add_u64 v[36:37], v[36:37], 4, s[0:1]
	v_ashrrev_i32_e32 v39, 31, v38
	v_ashrrev_i32_e32 v43, 31, v42
	v_lshl_add_u64 v[44:45], v[44:45], 4, s[0:1]
	v_ashrrev_i32_e32 v47, 31, v46
	;; [unrolled: 3-line block ×3, first 2 shown]
	global_load_dwordx4 v[2:5], v58, s[0:1]
	global_load_dwordx4 v[6:9], v[16:17], off
	global_load_dwordx4 v[10:13], v[18:19], off
	;; [unrolled: 1-line block ×6, first 2 shown]
	v_lshl_add_u64 v[30:31], v[30:31], 4, s[0:1]
	global_load_dwordx4 v[76:79], v[28:29], off
	global_load_dwordx4 v[80:83], v[30:31], off
	v_lshl_add_u64 v[34:35], v[34:35], 4, s[0:1]
	global_load_dwordx4 v[84:87], v[32:33], off
	global_load_dwordx4 v[88:91], v[34:35], off
	;; [unrolled: 3-line block ×7, first 2 shown]
	v_add_u32_e32 v136, s9, v56
	v_ashrrev_i32_e32 v137, 31, v136
	v_lshl_add_u64 v[56:57], v[136:137], 4, s[0:1]
	global_load_dwordx4 v[132:135], v[56:57], off
	s_cmpk_lg_i32 s5, 0x84
	s_cselect_b64 s[6:7], -1, 0
	s_cmpk_eq_i32 s5, 0x84
	s_waitcnt vmcnt(21)
	scratch_store_dwordx4 off, v[2:5], off
	s_waitcnt vmcnt(21)
	scratch_store_dwordx4 off, v[6:9], off offset:16
	s_waitcnt vmcnt(21)
	scratch_store_dwordx4 off, v[10:13], off offset:32
	;; [unrolled: 2-line block ×20, first 2 shown]
	v_add_u32_e32 v6, s9, v136
	v_ashrrev_i32_e32 v7, 31, v6
	v_lshl_add_u64 v[60:61], v[6:7], 4, s[0:1]
	v_add_u32_e32 v6, s9, v6
	v_add_u32_e32 v66, s9, v6
	;; [unrolled: 1-line block ×17, first 2 shown]
	v_ashrrev_i32_e32 v67, 31, v66
	v_ashrrev_i32_e32 v69, 31, v68
	;; [unrolled: 1-line block ×17, first 2 shown]
	v_lshl_add_u64 v[64:65], v[66:67], 4, s[0:1]
	v_lshl_add_u64 v[66:67], v[68:69], 4, s[0:1]
	;; [unrolled: 1-line block ×16, first 2 shown]
	v_add_u32_e32 v96, s9, v96
	s_waitcnt vmcnt(21)
	scratch_store_dwordx4 off, v[132:135], off offset:336
	v_lshl_add_u64 v[62:63], v[6:7], 4, s[0:1]
	v_ashrrev_i32_e32 v97, 31, v96
	global_load_dwordx4 v[2:5], v[60:61], off
	global_load_dwordx4 v[6:9], v[62:63], off
	;; [unrolled: 1-line block ×17, first 2 shown]
	v_lshl_add_u64 v[96:97], v[96:97], 4, s[0:1]
	global_load_dwordx4 v[154:157], v[94:95], off
	global_load_dwordx4 v[158:161], v[96:97], off
	s_waitcnt vmcnt(18)
	scratch_store_dwordx4 off, v[2:5], off offset:352
	s_waitcnt vmcnt(18)
	scratch_store_dwordx4 off, v[6:9], off offset:368
	;; [unrolled: 2-line block ×19, first 2 shown]
	s_cbranch_scc1 .LBB104_7
; %bb.2:
	scratch_load_dwordx4 v[6:9], v58, off
                                        ; implicit-def: $vgpr10_vgpr11
	s_waitcnt vmcnt(0)
	v_xor_b32_e32 v3, 0x80000000, v7
	v_cmp_gt_f64_e32 vcc, 0, v[6:7]
	v_xor_b32_e32 v4, 0x80000000, v9
	v_mov_b32_e32 v2, v6
	v_cndmask_b32_e32 v3, v7, v3, vcc
	v_cmp_gt_f64_e32 vcc, 0, v[8:9]
	s_nop 1
	v_cndmask_b32_e32 v5, v9, v4, vcc
	v_mov_b32_e32 v4, v8
	v_cmp_ngt_f64_e32 vcc, v[2:3], v[4:5]
                                        ; implicit-def: $vgpr2_vgpr3
	s_and_saveexec_b64 s[0:1], vcc
	s_xor_b64 s[0:1], exec, s[0:1]
	s_cbranch_execz .LBB104_4
; %bb.3:
	v_div_scale_f64 v[2:3], s[2:3], v[8:9], v[8:9], v[6:7]
	v_rcp_f64_e32 v[4:5], v[2:3]
	v_div_scale_f64 v[10:11], vcc, v[6:7], v[8:9], v[6:7]
	v_fma_f64 v[12:13], -v[2:3], v[4:5], 1.0
	v_fmac_f64_e32 v[4:5], v[4:5], v[12:13]
	v_fma_f64 v[12:13], -v[2:3], v[4:5], 1.0
	v_fmac_f64_e32 v[4:5], v[4:5], v[12:13]
	v_mul_f64 v[12:13], v[10:11], v[4:5]
	v_fma_f64 v[2:3], -v[2:3], v[12:13], v[10:11]
	v_div_fmas_f64 v[2:3], v[2:3], v[4:5], v[12:13]
	v_div_fixup_f64 v[2:3], v[2:3], v[8:9], v[6:7]
	v_fmac_f64_e32 v[8:9], v[6:7], v[2:3]
	v_div_scale_f64 v[4:5], s[2:3], v[8:9], v[8:9], 1.0
	v_rcp_f64_e32 v[6:7], v[4:5]
	s_nop 0
	v_fma_f64 v[10:11], -v[4:5], v[6:7], 1.0
	v_fmac_f64_e32 v[6:7], v[6:7], v[10:11]
	v_fma_f64 v[10:11], -v[4:5], v[6:7], 1.0
	v_fmac_f64_e32 v[6:7], v[6:7], v[10:11]
	v_div_scale_f64 v[10:11], vcc, 1.0, v[8:9], 1.0
	v_mul_f64 v[12:13], v[10:11], v[6:7]
	v_fma_f64 v[4:5], -v[4:5], v[12:13], v[10:11]
	s_nop 1
	v_div_fmas_f64 v[4:5], v[4:5], v[6:7], v[12:13]
	v_div_fixup_f64 v[4:5], v[4:5], v[8:9], 1.0
	v_mul_f64 v[2:3], v[2:3], v[4:5]
	v_xor_b32_e32 v5, 0x80000000, v5
	v_xor_b32_e32 v11, 0x80000000, v3
	v_mov_b32_e32 v10, v2
                                        ; implicit-def: $vgpr6_vgpr7
.LBB104_4:
	s_or_saveexec_b64 s[0:1], s[0:1]
	v_add_u32_e32 v12, 0, v58
	s_xor_b64 exec, exec, s[0:1]
	s_cbranch_execz .LBB104_6
; %bb.5:
	v_div_scale_f64 v[2:3], s[2:3], v[6:7], v[6:7], v[8:9]
	v_rcp_f64_e32 v[4:5], v[2:3]
	v_div_scale_f64 v[10:11], vcc, v[8:9], v[6:7], v[8:9]
	v_fma_f64 v[98:99], -v[2:3], v[4:5], 1.0
	v_fmac_f64_e32 v[4:5], v[4:5], v[98:99]
	v_fma_f64 v[98:99], -v[2:3], v[4:5], 1.0
	v_fmac_f64_e32 v[4:5], v[4:5], v[98:99]
	v_mul_f64 v[98:99], v[10:11], v[4:5]
	v_fma_f64 v[2:3], -v[2:3], v[98:99], v[10:11]
	v_div_fmas_f64 v[2:3], v[2:3], v[4:5], v[98:99]
	v_div_fixup_f64 v[4:5], v[2:3], v[6:7], v[8:9]
	v_fmac_f64_e32 v[6:7], v[8:9], v[4:5]
	v_div_scale_f64 v[2:3], s[2:3], v[6:7], v[6:7], 1.0
	v_rcp_f64_e32 v[8:9], v[2:3]
	s_nop 0
	v_fma_f64 v[10:11], -v[2:3], v[8:9], 1.0
	v_fmac_f64_e32 v[8:9], v[8:9], v[10:11]
	v_fma_f64 v[10:11], -v[2:3], v[8:9], 1.0
	v_fmac_f64_e32 v[8:9], v[8:9], v[10:11]
	v_div_scale_f64 v[10:11], vcc, 1.0, v[6:7], 1.0
	v_mul_f64 v[98:99], v[10:11], v[8:9]
	v_fma_f64 v[2:3], -v[2:3], v[98:99], v[10:11]
	s_nop 1
	v_div_fmas_f64 v[2:3], v[2:3], v[8:9], v[98:99]
	v_div_fixup_f64 v[2:3], v[2:3], v[6:7], 1.0
	v_xor_b32_e32 v11, 0x80000000, v3
	v_mov_b32_e32 v10, v2
	v_mul_f64 v[4:5], v[4:5], -v[2:3]
.LBB104_6:
	s_or_b64 exec, exec, s[0:1]
	scratch_store_dwordx4 v12, v[2:5], off
	s_nop 1
	v_xor_b32_e32 v5, 0x80000000, v5
	s_branch .LBB104_8
.LBB104_7:
	v_mov_b64_e32 v[4:5], 0
	v_mov_b64_e32 v[10:11], -1.0
.LBB104_8:
	v_mov_b32_e32 v12, v4
	v_mov_b32_e32 v13, v5
	v_add_u32_e32 v133, 16, v1
	v_add_u32_e32 v132, 32, v1
	;; [unrolled: 1-line block ×40, first 2 shown]
	ds_write_b128 v58, v[10:13]
	s_cmpk_eq_i32 s4, 0x79
	v_add_u32_e32 v11, 0x290, v58
	v_add_u32_e32 v10, 0, v58
	s_cbranch_scc1 .LBB104_324
; %bb.9:
	scratch_load_dwordx4 v[2:5], v8, off
	v_cmp_eq_u32_e64 s[0:1], 40, v0
	s_waitcnt vmcnt(0)
	ds_write_b128 v11, v[2:5]
	s_waitcnt lgkmcnt(0)
	; wave barrier
	s_waitcnt lgkmcnt(0)
	s_and_saveexec_b64 s[2:3], s[0:1]
	s_cbranch_execz .LBB104_13
; %bb.10:
	ds_read_b128 v[2:5], v11
	s_andn2_b64 vcc, exec, s[6:7]
	s_cbranch_vccnz .LBB104_12
; %bb.11:
	scratch_load_dwordx4 v[134:137], v10, off
	s_waitcnt vmcnt(0) lgkmcnt(0)
	v_mul_f64 v[12:13], v[2:3], v[136:137]
	v_mul_f64 v[6:7], v[4:5], v[136:137]
	v_fmac_f64_e32 v[12:13], v[4:5], v[134:135]
	v_fma_f64 v[2:3], v[2:3], v[134:135], -v[6:7]
	v_mov_b64_e32 v[4:5], v[12:13]
.LBB104_12:
	v_mov_b32_e32 v6, 0
	ds_read_b128 v[134:137], v6 offset:624
	s_waitcnt lgkmcnt(0)
	v_mul_f64 v[6:7], v[4:5], v[136:137]
	v_mul_f64 v[138:139], v[2:3], v[136:137]
	v_fma_f64 v[136:137], v[2:3], v[134:135], -v[6:7]
	v_fmac_f64_e32 v[138:139], v[4:5], v[134:135]
	scratch_store_dwordx4 off, v[136:139], off offset:624
.LBB104_13:
	s_or_b64 exec, exec, s[2:3]
	scratch_load_dwordx4 v[2:5], v9, off
	v_cmp_lt_u32_e64 s[2:3], 38, v0
	s_waitcnt vmcnt(0)
	ds_write_b128 v11, v[2:5]
	s_waitcnt lgkmcnt(0)
	; wave barrier
	s_waitcnt lgkmcnt(0)
	s_and_saveexec_b64 s[4:5], s[2:3]
	s_cbranch_execz .LBB104_19
; %bb.14:
	ds_read_b128 v[2:5], v11
	s_andn2_b64 vcc, exec, s[6:7]
	s_cbranch_vccnz .LBB104_16
; %bb.15:
	scratch_load_dwordx4 v[134:137], v10, off
	s_waitcnt vmcnt(0) lgkmcnt(0)
	v_mul_f64 v[12:13], v[2:3], v[136:137]
	v_mul_f64 v[6:7], v[4:5], v[136:137]
	v_fmac_f64_e32 v[12:13], v[4:5], v[134:135]
	v_fma_f64 v[2:3], v[2:3], v[134:135], -v[6:7]
	v_mov_b64_e32 v[4:5], v[12:13]
.LBB104_16:
	s_and_saveexec_b64 s[8:9], s[0:1]
	s_cbranch_execz .LBB104_18
; %bb.17:
	scratch_load_dwordx4 v[134:137], off, off offset:624
	v_mov_b32_e32 v6, 0
	ds_read_b128 v[138:141], v6 offset:1280
	s_waitcnt vmcnt(0) lgkmcnt(0)
	v_mul_f64 v[6:7], v[138:139], v[136:137]
	v_mul_f64 v[12:13], v[140:141], v[136:137]
	v_fmac_f64_e32 v[6:7], v[140:141], v[134:135]
	v_fma_f64 v[12:13], v[138:139], v[134:135], -v[12:13]
	v_add_f64 v[4:5], v[4:5], v[6:7]
	v_add_f64 v[2:3], v[2:3], v[12:13]
.LBB104_18:
	s_or_b64 exec, exec, s[8:9]
	v_mov_b32_e32 v6, 0
	ds_read_b128 v[134:137], v6 offset:608
	s_waitcnt lgkmcnt(0)
	v_mul_f64 v[6:7], v[4:5], v[136:137]
	v_mul_f64 v[138:139], v[2:3], v[136:137]
	v_fma_f64 v[136:137], v[2:3], v[134:135], -v[6:7]
	v_fmac_f64_e32 v[138:139], v[4:5], v[134:135]
	scratch_store_dwordx4 off, v[136:139], off offset:608
.LBB104_19:
	s_or_b64 exec, exec, s[4:5]
	scratch_load_dwordx4 v[2:5], v59, off
	v_cmp_lt_u32_e64 s[0:1], 37, v0
	s_waitcnt vmcnt(0)
	ds_write_b128 v11, v[2:5]
	s_waitcnt lgkmcnt(0)
	; wave barrier
	s_waitcnt lgkmcnt(0)
	s_and_saveexec_b64 s[4:5], s[0:1]
	s_cbranch_execz .LBB104_27
; %bb.20:
	ds_read_b128 v[2:5], v11
	s_andn2_b64 vcc, exec, s[6:7]
	s_cbranch_vccnz .LBB104_22
; %bb.21:
	scratch_load_dwordx4 v[134:137], v10, off
	s_waitcnt vmcnt(0) lgkmcnt(0)
	v_mul_f64 v[12:13], v[2:3], v[136:137]
	v_mul_f64 v[6:7], v[4:5], v[136:137]
	v_fmac_f64_e32 v[12:13], v[4:5], v[134:135]
	v_fma_f64 v[2:3], v[2:3], v[134:135], -v[6:7]
	v_mov_b64_e32 v[4:5], v[12:13]
.LBB104_22:
	s_and_saveexec_b64 s[8:9], s[2:3]
	s_cbranch_execz .LBB104_26
; %bb.23:
	v_mov_b32_e32 v7, 0
	v_subrev_u32_e32 v6, 38, v0
	v_add_u32_e32 v7, 0x268, v7
	s_movk_i32 s10, 0x4f0
	s_mov_b64 s[2:3], 0
.LBB104_24:                             ; =>This Inner Loop Header: Depth=1
	v_add_u32_e32 v12, -8, v7
	scratch_load_dwordx4 v[134:137], v12, off
	v_mov_b32_e32 v12, s10
	ds_read_b128 v[138:141], v12
	v_add_u32_e32 v6, -1, v6
	s_add_i32 s10, s10, 16
	v_cmp_eq_u32_e32 vcc, 0, v6
	v_add_u32_e32 v7, 16, v7
	s_or_b64 s[2:3], vcc, s[2:3]
	s_waitcnt vmcnt(0) lgkmcnt(0)
	v_mul_f64 v[12:13], v[140:141], v[136:137]
	v_mul_f64 v[136:137], v[138:139], v[136:137]
	v_fma_f64 v[12:13], v[138:139], v[134:135], -v[12:13]
	v_fmac_f64_e32 v[136:137], v[140:141], v[134:135]
	v_add_f64 v[2:3], v[2:3], v[12:13]
	v_add_f64 v[4:5], v[4:5], v[136:137]
	s_andn2_b64 exec, exec, s[2:3]
	s_cbranch_execnz .LBB104_24
; %bb.25:
	s_or_b64 exec, exec, s[2:3]
.LBB104_26:
	s_or_b64 exec, exec, s[8:9]
	v_mov_b32_e32 v6, 0
	ds_read_b128 v[134:137], v6 offset:592
	s_waitcnt lgkmcnt(0)
	v_mul_f64 v[6:7], v[4:5], v[136:137]
	v_mul_f64 v[138:139], v[2:3], v[136:137]
	v_fma_f64 v[136:137], v[2:3], v[134:135], -v[6:7]
	v_fmac_f64_e32 v[138:139], v[4:5], v[134:135]
	scratch_store_dwordx4 off, v[136:139], off offset:592
.LBB104_27:
	s_or_b64 exec, exec, s[4:5]
	scratch_load_dwordx4 v[2:5], v98, off
	v_cmp_lt_u32_e64 s[2:3], 36, v0
	s_waitcnt vmcnt(0)
	ds_write_b128 v11, v[2:5]
	s_waitcnt lgkmcnt(0)
	; wave barrier
	s_waitcnt lgkmcnt(0)
	s_and_saveexec_b64 s[4:5], s[2:3]
	s_cbranch_execz .LBB104_35
; %bb.28:
	ds_read_b128 v[2:5], v11
	s_andn2_b64 vcc, exec, s[6:7]
	s_cbranch_vccnz .LBB104_30
; %bb.29:
	scratch_load_dwordx4 v[134:137], v10, off
	s_waitcnt vmcnt(0) lgkmcnt(0)
	v_mul_f64 v[12:13], v[2:3], v[136:137]
	v_mul_f64 v[6:7], v[4:5], v[136:137]
	v_fmac_f64_e32 v[12:13], v[4:5], v[134:135]
	v_fma_f64 v[2:3], v[2:3], v[134:135], -v[6:7]
	v_mov_b64_e32 v[4:5], v[12:13]
.LBB104_30:
	s_and_saveexec_b64 s[8:9], s[0:1]
	s_cbranch_execz .LBB104_34
; %bb.31:
	v_mov_b32_e32 v7, 0
	v_subrev_u32_e32 v6, 37, v0
	v_add_u32_e32 v7, 0x258, v7
	s_movk_i32 s10, 0x4e0
	s_mov_b64 s[0:1], 0
.LBB104_32:                             ; =>This Inner Loop Header: Depth=1
	v_add_u32_e32 v12, -8, v7
	scratch_load_dwordx4 v[134:137], v12, off
	v_mov_b32_e32 v12, s10
	ds_read_b128 v[138:141], v12
	v_add_u32_e32 v6, -1, v6
	s_add_i32 s10, s10, 16
	v_cmp_eq_u32_e32 vcc, 0, v6
	v_add_u32_e32 v7, 16, v7
	s_or_b64 s[0:1], vcc, s[0:1]
	s_waitcnt vmcnt(0) lgkmcnt(0)
	v_mul_f64 v[12:13], v[140:141], v[136:137]
	v_mul_f64 v[136:137], v[138:139], v[136:137]
	v_fma_f64 v[12:13], v[138:139], v[134:135], -v[12:13]
	v_fmac_f64_e32 v[136:137], v[140:141], v[134:135]
	v_add_f64 v[2:3], v[2:3], v[12:13]
	v_add_f64 v[4:5], v[4:5], v[136:137]
	s_andn2_b64 exec, exec, s[0:1]
	s_cbranch_execnz .LBB104_32
; %bb.33:
	s_or_b64 exec, exec, s[0:1]
.LBB104_34:
	s_or_b64 exec, exec, s[8:9]
	v_mov_b32_e32 v6, 0
	ds_read_b128 v[134:137], v6 offset:576
	s_waitcnt lgkmcnt(0)
	v_mul_f64 v[6:7], v[4:5], v[136:137]
	v_mul_f64 v[138:139], v[2:3], v[136:137]
	v_fma_f64 v[136:137], v[2:3], v[134:135], -v[6:7]
	v_fmac_f64_e32 v[138:139], v[4:5], v[134:135]
	scratch_store_dwordx4 off, v[136:139], off offset:576
.LBB104_35:
	;; [unrolled: 63-line block ×10, first 2 shown]
	s_or_b64 exec, exec, s[4:5]
	scratch_load_dwordx4 v[2:5], v107, off
	v_cmp_lt_u32_e64 s[0:1], 27, v0
	s_waitcnt vmcnt(0)
	ds_write_b128 v11, v[2:5]
	s_waitcnt lgkmcnt(0)
	; wave barrier
	s_waitcnt lgkmcnt(0)
	s_and_saveexec_b64 s[4:5], s[0:1]
	s_cbranch_execz .LBB104_107
; %bb.100:
	ds_read_b128 v[2:5], v11
	s_andn2_b64 vcc, exec, s[6:7]
	s_cbranch_vccnz .LBB104_102
; %bb.101:
	scratch_load_dwordx4 v[134:137], v10, off
	s_waitcnt vmcnt(0) lgkmcnt(0)
	v_mul_f64 v[12:13], v[2:3], v[136:137]
	v_mul_f64 v[6:7], v[4:5], v[136:137]
	v_fmac_f64_e32 v[12:13], v[4:5], v[134:135]
	v_fma_f64 v[2:3], v[2:3], v[134:135], -v[6:7]
	v_mov_b64_e32 v[4:5], v[12:13]
.LBB104_102:
	s_and_saveexec_b64 s[8:9], s[2:3]
	s_cbranch_execz .LBB104_106
; %bb.103:
	v_mov_b32_e32 v7, 0
	v_subrev_u32_e32 v6, 28, v0
	v_add_u32_e32 v7, 0x1c8, v7
	s_movk_i32 s10, 0x450
	s_mov_b64 s[2:3], 0
.LBB104_104:                            ; =>This Inner Loop Header: Depth=1
	v_add_u32_e32 v12, -8, v7
	scratch_load_dwordx4 v[134:137], v12, off
	v_mov_b32_e32 v12, s10
	ds_read_b128 v[138:141], v12
	v_add_u32_e32 v6, -1, v6
	s_add_i32 s10, s10, 16
	v_cmp_eq_u32_e32 vcc, 0, v6
	v_add_u32_e32 v7, 16, v7
	s_or_b64 s[2:3], vcc, s[2:3]
	s_waitcnt vmcnt(0) lgkmcnt(0)
	v_mul_f64 v[12:13], v[140:141], v[136:137]
	v_mul_f64 v[136:137], v[138:139], v[136:137]
	v_fma_f64 v[12:13], v[138:139], v[134:135], -v[12:13]
	v_fmac_f64_e32 v[136:137], v[140:141], v[134:135]
	v_add_f64 v[2:3], v[2:3], v[12:13]
	v_add_f64 v[4:5], v[4:5], v[136:137]
	s_andn2_b64 exec, exec, s[2:3]
	s_cbranch_execnz .LBB104_104
; %bb.105:
	s_or_b64 exec, exec, s[2:3]
.LBB104_106:
	s_or_b64 exec, exec, s[8:9]
	v_mov_b32_e32 v6, 0
	ds_read_b128 v[134:137], v6 offset:432
	s_waitcnt lgkmcnt(0)
	v_mul_f64 v[6:7], v[4:5], v[136:137]
	v_mul_f64 v[138:139], v[2:3], v[136:137]
	v_fma_f64 v[136:137], v[2:3], v[134:135], -v[6:7]
	v_fmac_f64_e32 v[138:139], v[4:5], v[134:135]
	scratch_store_dwordx4 off, v[136:139], off offset:432
.LBB104_107:
	s_or_b64 exec, exec, s[4:5]
	scratch_load_dwordx4 v[2:5], v108, off
	v_cmp_lt_u32_e64 s[2:3], 26, v0
	s_waitcnt vmcnt(0)
	ds_write_b128 v11, v[2:5]
	s_waitcnt lgkmcnt(0)
	; wave barrier
	s_waitcnt lgkmcnt(0)
	s_and_saveexec_b64 s[4:5], s[2:3]
	s_cbranch_execz .LBB104_115
; %bb.108:
	ds_read_b128 v[2:5], v11
	s_andn2_b64 vcc, exec, s[6:7]
	s_cbranch_vccnz .LBB104_110
; %bb.109:
	scratch_load_dwordx4 v[134:137], v10, off
	s_waitcnt vmcnt(0) lgkmcnt(0)
	v_mul_f64 v[12:13], v[2:3], v[136:137]
	v_mul_f64 v[6:7], v[4:5], v[136:137]
	v_fmac_f64_e32 v[12:13], v[4:5], v[134:135]
	v_fma_f64 v[2:3], v[2:3], v[134:135], -v[6:7]
	v_mov_b64_e32 v[4:5], v[12:13]
.LBB104_110:
	s_and_saveexec_b64 s[8:9], s[0:1]
	s_cbranch_execz .LBB104_114
; %bb.111:
	v_mov_b32_e32 v7, 0
	v_subrev_u32_e32 v6, 27, v0
	v_add_u32_e32 v7, 0x1b8, v7
	s_movk_i32 s10, 0x440
	s_mov_b64 s[0:1], 0
.LBB104_112:                            ; =>This Inner Loop Header: Depth=1
	v_add_u32_e32 v12, -8, v7
	scratch_load_dwordx4 v[134:137], v12, off
	v_mov_b32_e32 v12, s10
	ds_read_b128 v[138:141], v12
	v_add_u32_e32 v6, -1, v6
	s_add_i32 s10, s10, 16
	v_cmp_eq_u32_e32 vcc, 0, v6
	v_add_u32_e32 v7, 16, v7
	s_or_b64 s[0:1], vcc, s[0:1]
	s_waitcnt vmcnt(0) lgkmcnt(0)
	v_mul_f64 v[12:13], v[140:141], v[136:137]
	v_mul_f64 v[136:137], v[138:139], v[136:137]
	v_fma_f64 v[12:13], v[138:139], v[134:135], -v[12:13]
	v_fmac_f64_e32 v[136:137], v[140:141], v[134:135]
	v_add_f64 v[2:3], v[2:3], v[12:13]
	v_add_f64 v[4:5], v[4:5], v[136:137]
	s_andn2_b64 exec, exec, s[0:1]
	s_cbranch_execnz .LBB104_112
; %bb.113:
	s_or_b64 exec, exec, s[0:1]
.LBB104_114:
	s_or_b64 exec, exec, s[8:9]
	v_mov_b32_e32 v6, 0
	ds_read_b128 v[134:137], v6 offset:416
	s_waitcnt lgkmcnt(0)
	v_mul_f64 v[6:7], v[4:5], v[136:137]
	v_mul_f64 v[138:139], v[2:3], v[136:137]
	v_fma_f64 v[136:137], v[2:3], v[134:135], -v[6:7]
	v_fmac_f64_e32 v[138:139], v[4:5], v[134:135]
	scratch_store_dwordx4 off, v[136:139], off offset:416
.LBB104_115:
	;; [unrolled: 63-line block ×12, first 2 shown]
	s_or_b64 exec, exec, s[4:5]
	scratch_load_dwordx4 v[2:5], v119, off
	v_cmp_lt_u32_e64 s[0:1], 15, v0
	s_waitcnt vmcnt(0)
	ds_write_b128 v11, v[2:5]
	s_waitcnt lgkmcnt(0)
	; wave barrier
	s_waitcnt lgkmcnt(0)
	s_and_saveexec_b64 s[4:5], s[0:1]
	s_cbranch_execz .LBB104_203
; %bb.196:
	ds_read_b128 v[2:5], v11
	s_andn2_b64 vcc, exec, s[6:7]
	s_cbranch_vccnz .LBB104_198
; %bb.197:
	scratch_load_dwordx4 v[134:137], v10, off
	s_waitcnt vmcnt(0) lgkmcnt(0)
	v_mul_f64 v[12:13], v[2:3], v[136:137]
	v_mul_f64 v[6:7], v[4:5], v[136:137]
	v_fmac_f64_e32 v[12:13], v[4:5], v[134:135]
	v_fma_f64 v[2:3], v[2:3], v[134:135], -v[6:7]
	v_mov_b64_e32 v[4:5], v[12:13]
.LBB104_198:
	s_and_saveexec_b64 s[8:9], s[2:3]
	s_cbranch_execz .LBB104_202
; %bb.199:
	v_mov_b32_e32 v7, 0
	v_add_u32_e32 v6, -16, v0
	v_add_u32_e32 v7, 0x108, v7
	s_movk_i32 s10, 0x390
	s_mov_b64 s[2:3], 0
.LBB104_200:                            ; =>This Inner Loop Header: Depth=1
	v_add_u32_e32 v12, -8, v7
	scratch_load_dwordx4 v[134:137], v12, off
	v_mov_b32_e32 v12, s10
	ds_read_b128 v[138:141], v12
	v_add_u32_e32 v6, -1, v6
	s_add_i32 s10, s10, 16
	v_cmp_eq_u32_e32 vcc, 0, v6
	v_add_u32_e32 v7, 16, v7
	s_or_b64 s[2:3], vcc, s[2:3]
	s_waitcnt vmcnt(0) lgkmcnt(0)
	v_mul_f64 v[12:13], v[140:141], v[136:137]
	v_mul_f64 v[136:137], v[138:139], v[136:137]
	v_fma_f64 v[12:13], v[138:139], v[134:135], -v[12:13]
	v_fmac_f64_e32 v[136:137], v[140:141], v[134:135]
	v_add_f64 v[2:3], v[2:3], v[12:13]
	v_add_f64 v[4:5], v[4:5], v[136:137]
	s_andn2_b64 exec, exec, s[2:3]
	s_cbranch_execnz .LBB104_200
; %bb.201:
	s_or_b64 exec, exec, s[2:3]
.LBB104_202:
	s_or_b64 exec, exec, s[8:9]
	v_mov_b32_e32 v6, 0
	ds_read_b128 v[134:137], v6 offset:240
	s_waitcnt lgkmcnt(0)
	v_mul_f64 v[6:7], v[4:5], v[136:137]
	v_mul_f64 v[138:139], v[2:3], v[136:137]
	v_fma_f64 v[136:137], v[2:3], v[134:135], -v[6:7]
	v_fmac_f64_e32 v[138:139], v[4:5], v[134:135]
	scratch_store_dwordx4 off, v[136:139], off offset:240
.LBB104_203:
	s_or_b64 exec, exec, s[4:5]
	scratch_load_dwordx4 v[2:5], v120, off
	v_cmp_lt_u32_e64 s[2:3], 14, v0
	s_waitcnt vmcnt(0)
	ds_write_b128 v11, v[2:5]
	s_waitcnt lgkmcnt(0)
	; wave barrier
	s_waitcnt lgkmcnt(0)
	s_and_saveexec_b64 s[4:5], s[2:3]
	s_cbranch_execz .LBB104_211
; %bb.204:
	ds_read_b128 v[2:5], v11
	s_andn2_b64 vcc, exec, s[6:7]
	s_cbranch_vccnz .LBB104_206
; %bb.205:
	scratch_load_dwordx4 v[134:137], v10, off
	s_waitcnt vmcnt(0) lgkmcnt(0)
	v_mul_f64 v[12:13], v[2:3], v[136:137]
	v_mul_f64 v[6:7], v[4:5], v[136:137]
	v_fmac_f64_e32 v[12:13], v[4:5], v[134:135]
	v_fma_f64 v[2:3], v[2:3], v[134:135], -v[6:7]
	v_mov_b64_e32 v[4:5], v[12:13]
.LBB104_206:
	s_and_saveexec_b64 s[8:9], s[0:1]
	s_cbranch_execz .LBB104_210
; %bb.207:
	v_mov_b32_e32 v7, 0
	v_add_u32_e32 v6, -15, v0
	v_add_u32_e32 v7, 0xf8, v7
	s_movk_i32 s10, 0x380
	s_mov_b64 s[0:1], 0
.LBB104_208:                            ; =>This Inner Loop Header: Depth=1
	v_add_u32_e32 v12, -8, v7
	scratch_load_dwordx4 v[134:137], v12, off
	v_mov_b32_e32 v12, s10
	ds_read_b128 v[138:141], v12
	v_add_u32_e32 v6, -1, v6
	s_add_i32 s10, s10, 16
	v_cmp_eq_u32_e32 vcc, 0, v6
	v_add_u32_e32 v7, 16, v7
	s_or_b64 s[0:1], vcc, s[0:1]
	s_waitcnt vmcnt(0) lgkmcnt(0)
	v_mul_f64 v[12:13], v[140:141], v[136:137]
	v_mul_f64 v[136:137], v[138:139], v[136:137]
	v_fma_f64 v[12:13], v[138:139], v[134:135], -v[12:13]
	v_fmac_f64_e32 v[136:137], v[140:141], v[134:135]
	v_add_f64 v[2:3], v[2:3], v[12:13]
	v_add_f64 v[4:5], v[4:5], v[136:137]
	s_andn2_b64 exec, exec, s[0:1]
	s_cbranch_execnz .LBB104_208
; %bb.209:
	s_or_b64 exec, exec, s[0:1]
.LBB104_210:
	s_or_b64 exec, exec, s[8:9]
	v_mov_b32_e32 v6, 0
	ds_read_b128 v[134:137], v6 offset:224
	s_waitcnt lgkmcnt(0)
	v_mul_f64 v[6:7], v[4:5], v[136:137]
	v_mul_f64 v[138:139], v[2:3], v[136:137]
	v_fma_f64 v[136:137], v[2:3], v[134:135], -v[6:7]
	v_fmac_f64_e32 v[138:139], v[4:5], v[134:135]
	scratch_store_dwordx4 off, v[136:139], off offset:224
.LBB104_211:
	;; [unrolled: 63-line block ×15, first 2 shown]
	s_or_b64 exec, exec, s[4:5]
	scratch_load_dwordx4 v[2:5], off, off
	v_cmp_ne_u32_e32 vcc, 0, v0
	s_mov_b64 s[2:3], 0
	s_mov_b64 s[4:5], 0
                                        ; implicit-def: $vgpr6_vgpr7
                                        ; implicit-def: $vgpr12
	s_waitcnt vmcnt(0)
	ds_write_b128 v11, v[2:5]
	s_waitcnt lgkmcnt(0)
	; wave barrier
	s_waitcnt lgkmcnt(0)
	s_and_saveexec_b64 s[8:9], vcc
	s_cbranch_execz .LBB104_323
; %bb.316:
	ds_read_b128 v[2:5], v11
	s_andn2_b64 vcc, exec, s[6:7]
	s_cbranch_vccnz .LBB104_318
; %bb.317:
	scratch_load_dwordx4 v[134:137], v10, off
	s_waitcnt vmcnt(0) lgkmcnt(0)
	v_mul_f64 v[12:13], v[2:3], v[136:137]
	v_mul_f64 v[6:7], v[4:5], v[136:137]
	v_fmac_f64_e32 v[12:13], v[4:5], v[134:135]
	v_fma_f64 v[2:3], v[2:3], v[134:135], -v[6:7]
	v_mov_b64_e32 v[4:5], v[12:13]
.LBB104_318:
	s_and_saveexec_b64 s[4:5], s[0:1]
	s_cbranch_execz .LBB104_322
; %bb.319:
	v_mov_b32_e32 v7, 0
	v_add_u32_e32 v6, -1, v0
	v_add_u32_e32 v7, 24, v7
	s_movk_i32 s10, 0x2a0
	s_mov_b64 s[0:1], 0
.LBB104_320:                            ; =>This Inner Loop Header: Depth=1
	v_add_u32_e32 v12, -8, v7
	scratch_load_dwordx4 v[134:137], v12, off
	v_mov_b32_e32 v12, s10
	ds_read_b128 v[138:141], v12
	v_add_u32_e32 v6, -1, v6
	s_add_i32 s10, s10, 16
	v_cmp_eq_u32_e32 vcc, 0, v6
	v_add_u32_e32 v7, 16, v7
	s_or_b64 s[0:1], vcc, s[0:1]
	s_waitcnt vmcnt(0) lgkmcnt(0)
	v_mul_f64 v[12:13], v[140:141], v[136:137]
	v_mul_f64 v[136:137], v[138:139], v[136:137]
	v_fma_f64 v[12:13], v[138:139], v[134:135], -v[12:13]
	v_fmac_f64_e32 v[136:137], v[140:141], v[134:135]
	v_add_f64 v[2:3], v[2:3], v[12:13]
	v_add_f64 v[4:5], v[4:5], v[136:137]
	s_andn2_b64 exec, exec, s[0:1]
	s_cbranch_execnz .LBB104_320
; %bb.321:
	s_or_b64 exec, exec, s[0:1]
.LBB104_322:
	s_or_b64 exec, exec, s[4:5]
	v_mov_b32_e32 v6, 0
	ds_read_b128 v[134:137], v6
	v_mov_b32_e32 v6, 0
	v_or_b32_e32 v12, 8, v6
	s_mov_b64 s[4:5], exec
	s_waitcnt lgkmcnt(0)
	v_mul_f64 v[138:139], v[4:5], v[136:137]
	v_mul_f64 v[6:7], v[2:3], v[136:137]
	v_fma_f64 v[2:3], v[2:3], v[134:135], -v[138:139]
	v_fmac_f64_e32 v[6:7], v[4:5], v[134:135]
	scratch_store_dwordx2 off, v[2:3], off
.LBB104_323:
	s_or_b64 exec, exec, s[8:9]
	s_and_b64 vcc, exec, s[2:3]
	s_cbranch_vccnz .LBB104_325
	s_branch .LBB104_640
.LBB104_324:
	s_mov_b64 s[4:5], 0
                                        ; implicit-def: $vgpr6_vgpr7
                                        ; implicit-def: $vgpr12
	s_cbranch_execz .LBB104_640
.LBB104_325:
	scratch_load_dwordx4 v[2:5], v133, off
	v_cndmask_b32_e64 v6, 0, 1, s[6:7]
	v_cmp_eq_u32_e64 s[2:3], 0, v0
	v_cmp_ne_u32_e64 s[0:1], 1, v6
	s_waitcnt vmcnt(0)
	ds_write_b128 v11, v[2:5]
	s_waitcnt lgkmcnt(0)
	; wave barrier
	s_waitcnt lgkmcnt(0)
	s_and_saveexec_b64 s[6:7], s[2:3]
	s_cbranch_execz .LBB104_329
; %bb.326:
	ds_read_b128 v[2:5], v11
	s_and_b64 vcc, exec, s[0:1]
	s_cbranch_vccnz .LBB104_328
; %bb.327:
	scratch_load_dwordx4 v[134:137], v10, off
	s_waitcnt vmcnt(0) lgkmcnt(0)
	v_mul_f64 v[12:13], v[2:3], v[136:137]
	v_mul_f64 v[6:7], v[4:5], v[136:137]
	v_fmac_f64_e32 v[12:13], v[4:5], v[134:135]
	v_fma_f64 v[2:3], v[2:3], v[134:135], -v[6:7]
	v_mov_b64_e32 v[4:5], v[12:13]
.LBB104_328:
	v_mov_b32_e32 v6, 0
	ds_read_b128 v[134:137], v6 offset:16
	s_waitcnt lgkmcnt(0)
	v_mul_f64 v[6:7], v[4:5], v[136:137]
	v_mul_f64 v[138:139], v[2:3], v[136:137]
	v_fma_f64 v[136:137], v[2:3], v[134:135], -v[6:7]
	v_fmac_f64_e32 v[138:139], v[4:5], v[134:135]
	scratch_store_dwordx4 off, v[136:139], off offset:16
.LBB104_329:
	s_or_b64 exec, exec, s[6:7]
	scratch_load_dwordx4 v[2:5], v132, off
	v_cmp_gt_u32_e32 vcc, 2, v0
	s_waitcnt vmcnt(0)
	ds_write_b128 v11, v[2:5]
	s_waitcnt lgkmcnt(0)
	; wave barrier
	s_waitcnt lgkmcnt(0)
	s_and_saveexec_b64 s[6:7], vcc
	s_cbranch_execz .LBB104_335
; %bb.330:
	ds_read_b128 v[2:5], v11
	s_and_b64 vcc, exec, s[0:1]
	s_cbranch_vccnz .LBB104_332
; %bb.331:
	scratch_load_dwordx4 v[134:137], v10, off
	s_waitcnt vmcnt(0) lgkmcnt(0)
	v_mul_f64 v[12:13], v[2:3], v[136:137]
	v_mul_f64 v[6:7], v[4:5], v[136:137]
	v_fmac_f64_e32 v[12:13], v[4:5], v[134:135]
	v_fma_f64 v[2:3], v[2:3], v[134:135], -v[6:7]
	v_mov_b64_e32 v[4:5], v[12:13]
.LBB104_332:
	s_and_saveexec_b64 s[8:9], s[2:3]
	s_cbranch_execz .LBB104_334
; %bb.333:
	scratch_load_dwordx4 v[134:137], v10, off offset:16
	ds_read_b128 v[138:141], v11 offset:16
	s_waitcnt vmcnt(0) lgkmcnt(0)
	v_mul_f64 v[6:7], v[140:141], v[136:137]
	v_mul_f64 v[12:13], v[138:139], v[136:137]
	v_fma_f64 v[6:7], v[138:139], v[134:135], -v[6:7]
	v_fmac_f64_e32 v[12:13], v[140:141], v[134:135]
	v_add_f64 v[2:3], v[2:3], v[6:7]
	v_add_f64 v[4:5], v[4:5], v[12:13]
.LBB104_334:
	s_or_b64 exec, exec, s[8:9]
	v_mov_b32_e32 v6, 0
	ds_read_b128 v[134:137], v6 offset:32
	s_waitcnt lgkmcnt(0)
	v_mul_f64 v[6:7], v[4:5], v[136:137]
	v_mul_f64 v[138:139], v[2:3], v[136:137]
	v_fma_f64 v[136:137], v[2:3], v[134:135], -v[6:7]
	v_fmac_f64_e32 v[138:139], v[4:5], v[134:135]
	scratch_store_dwordx4 off, v[136:139], off offset:32
.LBB104_335:
	s_or_b64 exec, exec, s[6:7]
	scratch_load_dwordx4 v[2:5], v131, off
	v_cmp_gt_u32_e32 vcc, 3, v0
	s_waitcnt vmcnt(0)
	ds_write_b128 v11, v[2:5]
	s_waitcnt lgkmcnt(0)
	; wave barrier
	s_waitcnt lgkmcnt(0)
	s_and_saveexec_b64 s[6:7], vcc
	s_cbranch_execz .LBB104_343
; %bb.336:
	ds_read_b128 v[2:5], v11
	s_and_b64 vcc, exec, s[0:1]
	s_cbranch_vccnz .LBB104_338
; %bb.337:
	scratch_load_dwordx4 v[134:137], v10, off
	s_waitcnt vmcnt(0) lgkmcnt(0)
	v_mul_f64 v[12:13], v[2:3], v[136:137]
	v_mul_f64 v[6:7], v[4:5], v[136:137]
	v_fmac_f64_e32 v[12:13], v[4:5], v[134:135]
	v_fma_f64 v[2:3], v[2:3], v[134:135], -v[6:7]
	v_mov_b64_e32 v[4:5], v[12:13]
.LBB104_338:
	v_cmp_ne_u32_e32 vcc, 2, v0
	s_and_saveexec_b64 s[8:9], vcc
	s_cbranch_execz .LBB104_342
; %bb.339:
	scratch_load_dwordx4 v[134:137], v10, off offset:16
	ds_read_b128 v[138:141], v11 offset:16
	s_waitcnt vmcnt(0) lgkmcnt(0)
	v_mul_f64 v[6:7], v[140:141], v[136:137]
	v_mul_f64 v[12:13], v[138:139], v[136:137]
	v_fma_f64 v[6:7], v[138:139], v[134:135], -v[6:7]
	v_fmac_f64_e32 v[12:13], v[140:141], v[134:135]
	v_add_f64 v[2:3], v[2:3], v[6:7]
	v_add_f64 v[4:5], v[4:5], v[12:13]
	s_and_saveexec_b64 s[10:11], s[2:3]
	s_cbranch_execz .LBB104_341
; %bb.340:
	scratch_load_dwordx4 v[134:137], off, off offset:32
	v_mov_b32_e32 v6, 0
	ds_read_b128 v[138:141], v6 offset:688
	s_waitcnt vmcnt(0) lgkmcnt(0)
	v_mul_f64 v[6:7], v[138:139], v[136:137]
	v_mul_f64 v[12:13], v[140:141], v[136:137]
	v_fmac_f64_e32 v[6:7], v[140:141], v[134:135]
	v_fma_f64 v[12:13], v[138:139], v[134:135], -v[12:13]
	v_add_f64 v[4:5], v[4:5], v[6:7]
	v_add_f64 v[2:3], v[2:3], v[12:13]
.LBB104_341:
	s_or_b64 exec, exec, s[10:11]
.LBB104_342:
	s_or_b64 exec, exec, s[8:9]
	v_mov_b32_e32 v6, 0
	ds_read_b128 v[134:137], v6 offset:48
	s_waitcnt lgkmcnt(0)
	v_mul_f64 v[6:7], v[4:5], v[136:137]
	v_mul_f64 v[138:139], v[2:3], v[136:137]
	v_fma_f64 v[136:137], v[2:3], v[134:135], -v[6:7]
	v_fmac_f64_e32 v[138:139], v[4:5], v[134:135]
	scratch_store_dwordx4 off, v[136:139], off offset:48
.LBB104_343:
	s_or_b64 exec, exec, s[6:7]
	scratch_load_dwordx4 v[2:5], v130, off
	v_cmp_gt_u32_e32 vcc, 4, v0
	s_waitcnt vmcnt(0)
	ds_write_b128 v11, v[2:5]
	s_waitcnt lgkmcnt(0)
	; wave barrier
	s_waitcnt lgkmcnt(0)
	s_and_saveexec_b64 s[2:3], vcc
	s_cbranch_execz .LBB104_351
; %bb.344:
	ds_read_b128 v[2:5], v11
	s_and_b64 vcc, exec, s[0:1]
	s_cbranch_vccnz .LBB104_346
; %bb.345:
	scratch_load_dwordx4 v[134:137], v10, off
	s_waitcnt vmcnt(0) lgkmcnt(0)
	v_mul_f64 v[12:13], v[2:3], v[136:137]
	v_mul_f64 v[6:7], v[4:5], v[136:137]
	v_fmac_f64_e32 v[12:13], v[4:5], v[134:135]
	v_fma_f64 v[2:3], v[2:3], v[134:135], -v[6:7]
	v_mov_b64_e32 v[4:5], v[12:13]
.LBB104_346:
	v_cmp_ne_u32_e32 vcc, 3, v0
	s_and_saveexec_b64 s[6:7], vcc
	s_cbranch_execz .LBB104_350
; %bb.347:
	v_mov_b32_e32 v7, 0
	v_add_u32_e32 v6, 0x2a0, v58
	v_add3_u32 v7, v58, v7, 24
	s_mov_b64 s[8:9], 0
	v_mov_b32_e32 v12, v0
.LBB104_348:                            ; =>This Inner Loop Header: Depth=1
	v_add_u32_e32 v13, -8, v7
	scratch_load_dwordx4 v[134:137], v13, off
	ds_read_b128 v[138:141], v6
	v_add_u32_e32 v12, 1, v12
	v_cmp_lt_u32_e32 vcc, 2, v12
	v_add_u32_e32 v6, 16, v6
	v_add_u32_e32 v7, 16, v7
	s_or_b64 s[8:9], vcc, s[8:9]
	s_waitcnt vmcnt(0) lgkmcnt(0)
	v_mul_f64 v[142:143], v[140:141], v[136:137]
	v_mul_f64 v[136:137], v[138:139], v[136:137]
	v_fma_f64 v[138:139], v[138:139], v[134:135], -v[142:143]
	v_fmac_f64_e32 v[136:137], v[140:141], v[134:135]
	v_add_f64 v[2:3], v[2:3], v[138:139]
	v_add_f64 v[4:5], v[4:5], v[136:137]
	s_andn2_b64 exec, exec, s[8:9]
	s_cbranch_execnz .LBB104_348
; %bb.349:
	s_or_b64 exec, exec, s[8:9]
.LBB104_350:
	s_or_b64 exec, exec, s[6:7]
	v_mov_b32_e32 v6, 0
	ds_read_b128 v[134:137], v6 offset:64
	s_waitcnt lgkmcnt(0)
	v_mul_f64 v[6:7], v[4:5], v[136:137]
	v_mul_f64 v[138:139], v[2:3], v[136:137]
	v_fma_f64 v[136:137], v[2:3], v[134:135], -v[6:7]
	v_fmac_f64_e32 v[138:139], v[4:5], v[134:135]
	scratch_store_dwordx4 off, v[136:139], off offset:64
.LBB104_351:
	s_or_b64 exec, exec, s[2:3]
	scratch_load_dwordx4 v[2:5], v129, off
	v_cmp_gt_u32_e32 vcc, 5, v0
	s_waitcnt vmcnt(0)
	ds_write_b128 v11, v[2:5]
	s_waitcnt lgkmcnt(0)
	; wave barrier
	s_waitcnt lgkmcnt(0)
	s_and_saveexec_b64 s[2:3], vcc
	s_cbranch_execz .LBB104_359
; %bb.352:
	ds_read_b128 v[2:5], v11
	s_and_b64 vcc, exec, s[0:1]
	s_cbranch_vccnz .LBB104_354
; %bb.353:
	scratch_load_dwordx4 v[134:137], v10, off
	s_waitcnt vmcnt(0) lgkmcnt(0)
	v_mul_f64 v[12:13], v[2:3], v[136:137]
	v_mul_f64 v[6:7], v[4:5], v[136:137]
	v_fmac_f64_e32 v[12:13], v[4:5], v[134:135]
	v_fma_f64 v[2:3], v[2:3], v[134:135], -v[6:7]
	v_mov_b64_e32 v[4:5], v[12:13]
.LBB104_354:
	v_cmp_ne_u32_e32 vcc, 4, v0
	s_and_saveexec_b64 s[6:7], vcc
	s_cbranch_execz .LBB104_358
; %bb.355:
	v_mov_b32_e32 v7, 0
	v_add_u32_e32 v6, 0x2a0, v58
	v_add3_u32 v7, v58, v7, 24
	s_mov_b64 s[8:9], 0
	v_mov_b32_e32 v12, v0
.LBB104_356:                            ; =>This Inner Loop Header: Depth=1
	v_add_u32_e32 v13, -8, v7
	scratch_load_dwordx4 v[134:137], v13, off
	ds_read_b128 v[138:141], v6
	v_add_u32_e32 v12, 1, v12
	v_cmp_lt_u32_e32 vcc, 3, v12
	v_add_u32_e32 v6, 16, v6
	v_add_u32_e32 v7, 16, v7
	s_or_b64 s[8:9], vcc, s[8:9]
	s_waitcnt vmcnt(0) lgkmcnt(0)
	v_mul_f64 v[142:143], v[140:141], v[136:137]
	v_mul_f64 v[136:137], v[138:139], v[136:137]
	v_fma_f64 v[138:139], v[138:139], v[134:135], -v[142:143]
	v_fmac_f64_e32 v[136:137], v[140:141], v[134:135]
	v_add_f64 v[2:3], v[2:3], v[138:139]
	v_add_f64 v[4:5], v[4:5], v[136:137]
	s_andn2_b64 exec, exec, s[8:9]
	s_cbranch_execnz .LBB104_356
; %bb.357:
	s_or_b64 exec, exec, s[8:9]
.LBB104_358:
	s_or_b64 exec, exec, s[6:7]
	v_mov_b32_e32 v6, 0
	ds_read_b128 v[134:137], v6 offset:80
	s_waitcnt lgkmcnt(0)
	v_mul_f64 v[6:7], v[4:5], v[136:137]
	v_mul_f64 v[138:139], v[2:3], v[136:137]
	v_fma_f64 v[136:137], v[2:3], v[134:135], -v[6:7]
	v_fmac_f64_e32 v[138:139], v[4:5], v[134:135]
	scratch_store_dwordx4 off, v[136:139], off offset:80
.LBB104_359:
	;; [unrolled: 63-line block ×35, first 2 shown]
	s_or_b64 exec, exec, s[2:3]
	scratch_load_dwordx4 v[2:5], v8, off
	v_cmp_gt_u32_e64 s[2:3], 39, v0
	s_waitcnt vmcnt(0)
	ds_write_b128 v11, v[2:5]
	s_waitcnt lgkmcnt(0)
	; wave barrier
	s_waitcnt lgkmcnt(0)
	s_and_saveexec_b64 s[6:7], s[2:3]
	s_cbranch_execz .LBB104_631
; %bb.624:
	ds_read_b128 v[2:5], v11
	s_and_b64 vcc, exec, s[0:1]
	s_cbranch_vccnz .LBB104_626
; %bb.625:
	scratch_load_dwordx4 v[134:137], v10, off
	s_waitcnt vmcnt(0) lgkmcnt(0)
	v_mul_f64 v[12:13], v[2:3], v[136:137]
	v_mul_f64 v[6:7], v[4:5], v[136:137]
	v_fmac_f64_e32 v[12:13], v[4:5], v[134:135]
	v_fma_f64 v[2:3], v[2:3], v[134:135], -v[6:7]
	v_mov_b64_e32 v[4:5], v[12:13]
.LBB104_626:
	v_cmp_ne_u32_e32 vcc, 38, v0
	s_and_saveexec_b64 s[8:9], vcc
	s_cbranch_execz .LBB104_630
; %bb.627:
	v_mov_b32_e32 v7, 0
	v_add_u32_e32 v6, 0x2a0, v58
	v_add3_u32 v7, v58, v7, 24
	s_mov_b64 s[10:11], 0
	v_mov_b32_e32 v12, v0
.LBB104_628:                            ; =>This Inner Loop Header: Depth=1
	v_add_u32_e32 v13, -8, v7
	scratch_load_dwordx4 v[134:137], v13, off
	ds_read_b128 v[138:141], v6
	v_add_u32_e32 v12, 1, v12
	v_cmp_lt_u32_e32 vcc, 37, v12
	v_add_u32_e32 v6, 16, v6
	v_add_u32_e32 v7, 16, v7
	s_or_b64 s[10:11], vcc, s[10:11]
	s_waitcnt vmcnt(0) lgkmcnt(0)
	v_mul_f64 v[142:143], v[140:141], v[136:137]
	v_mul_f64 v[136:137], v[138:139], v[136:137]
	v_fma_f64 v[138:139], v[138:139], v[134:135], -v[142:143]
	v_fmac_f64_e32 v[136:137], v[140:141], v[134:135]
	v_add_f64 v[2:3], v[2:3], v[138:139]
	v_add_f64 v[4:5], v[4:5], v[136:137]
	s_andn2_b64 exec, exec, s[10:11]
	s_cbranch_execnz .LBB104_628
; %bb.629:
	s_or_b64 exec, exec, s[10:11]
.LBB104_630:
	s_or_b64 exec, exec, s[8:9]
	v_mov_b32_e32 v6, 0
	ds_read_b128 v[134:137], v6 offset:624
	s_waitcnt lgkmcnt(0)
	v_mul_f64 v[6:7], v[4:5], v[136:137]
	v_mul_f64 v[138:139], v[2:3], v[136:137]
	v_fma_f64 v[136:137], v[2:3], v[134:135], -v[6:7]
	v_fmac_f64_e32 v[138:139], v[4:5], v[134:135]
	scratch_store_dwordx4 off, v[136:139], off offset:624
.LBB104_631:
	s_or_b64 exec, exec, s[6:7]
	scratch_load_dwordx4 v[2:5], v1, off
	v_cmp_ne_u32_e32 vcc, 40, v0
                                        ; implicit-def: $vgpr6_vgpr7
                                        ; implicit-def: $vgpr12
	s_waitcnt vmcnt(0)
	ds_write_b128 v11, v[2:5]
	s_waitcnt lgkmcnt(0)
	; wave barrier
	s_waitcnt lgkmcnt(0)
	s_and_saveexec_b64 s[6:7], vcc
	s_cbranch_execz .LBB104_639
; %bb.632:
	ds_read_b128 v[2:5], v11
	s_and_b64 vcc, exec, s[0:1]
	s_cbranch_vccnz .LBB104_634
; %bb.633:
	scratch_load_dwordx4 v[10:13], v10, off
	s_waitcnt vmcnt(0) lgkmcnt(0)
	v_mul_f64 v[6:7], v[4:5], v[12:13]
	v_mul_f64 v[12:13], v[2:3], v[12:13]
	v_fmac_f64_e32 v[12:13], v[4:5], v[10:11]
	v_fma_f64 v[2:3], v[2:3], v[10:11], -v[6:7]
	v_mov_b64_e32 v[4:5], v[12:13]
.LBB104_634:
	s_and_saveexec_b64 s[0:1], s[2:3]
	s_cbranch_execz .LBB104_638
; %bb.635:
	v_mov_b32_e32 v7, 0
	v_add_u32_e32 v6, 0x2a0, v58
	v_add3_u32 v7, v58, v7, 24
	s_mov_b64 s[2:3], 0
.LBB104_636:                            ; =>This Inner Loop Header: Depth=1
	v_add_u32_e32 v10, -8, v7
	scratch_load_dwordx4 v[10:13], v10, off
	ds_read_b128 v[134:137], v6
	v_add_u32_e32 v0, 1, v0
	v_cmp_lt_u32_e32 vcc, 38, v0
	v_add_u32_e32 v6, 16, v6
	v_add_u32_e32 v7, 16, v7
	s_or_b64 s[2:3], vcc, s[2:3]
	s_waitcnt vmcnt(0) lgkmcnt(0)
	v_mul_f64 v[138:139], v[136:137], v[12:13]
	v_mul_f64 v[12:13], v[134:135], v[12:13]
	v_fma_f64 v[134:135], v[134:135], v[10:11], -v[138:139]
	v_fmac_f64_e32 v[12:13], v[136:137], v[10:11]
	v_add_f64 v[2:3], v[2:3], v[134:135]
	v_add_f64 v[4:5], v[4:5], v[12:13]
	s_andn2_b64 exec, exec, s[2:3]
	s_cbranch_execnz .LBB104_636
; %bb.637:
	s_or_b64 exec, exec, s[2:3]
.LBB104_638:
	s_or_b64 exec, exec, s[0:1]
	v_mov_b32_e32 v0, 0
	ds_read_b128 v[134:137], v0 offset:640
	v_mov_b32_e32 v0, 0
	v_add_u32_e32 v12, 0x288, v0
	s_or_b64 s[4:5], s[4:5], exec
	s_waitcnt lgkmcnt(0)
	v_mul_f64 v[10:11], v[4:5], v[136:137]
	v_mul_f64 v[6:7], v[2:3], v[136:137]
	v_fma_f64 v[2:3], v[2:3], v[134:135], -v[10:11]
	v_fmac_f64_e32 v[6:7], v[4:5], v[134:135]
	scratch_store_dwordx2 off, v[2:3], off offset:640
.LBB104_639:
	s_or_b64 exec, exec, s[6:7]
.LBB104_640:
	s_and_saveexec_b64 s[0:1], s[4:5]
	s_cbranch_execz .LBB104_642
; %bb.641:
	scratch_store_dwordx2 v12, v[6:7], off
.LBB104_642:
	s_or_b64 exec, exec, s[0:1]
	scratch_load_dwordx4 v[2:5], off, off
	scratch_load_dwordx4 v[10:13], v133, off
	s_nop 0
	scratch_load_dwordx4 v[132:135], v132, off
	s_nop 0
	scratch_load_dwordx4 v[136:139], v131, off
	scratch_load_dwordx4 v[140:143], v130, off
	scratch_load_dwordx4 v[144:147], v129, off
	s_nop 0
	scratch_load_dwordx4 v[128:131], v128, off
	s_nop 0
	scratch_load_dwordx4 v[148:151], v127, off
	scratch_load_dwordx4 v[152:155], v126, off
	;; [unrolled: 6-line block ×3, first 2 shown]
	s_waitcnt vmcnt(12)
	global_store_dwordx4 v[14:15], v[2:5], off
	scratch_load_dwordx4 v[2:5], v121, off
	s_nop 0
	scratch_load_dwordx4 v[120:123], v120, off
	s_waitcnt vmcnt(14)
	global_store_dwordx4 v[16:17], v[10:13], off
	scratch_load_dwordx4 v[10:13], v119, off
	s_nop 0
	scratch_load_dwordx4 v[14:17], v118, off
	;; [unrolled: 5-line block ×14, first 2 shown]
	s_waitcnt vmcnt(39)
	global_store_dwordx4 v[42:43], v[120:123], off
	s_waitcnt vmcnt(38)
	global_store_dwordx4 v[44:45], v[10:13], off
	;; [unrolled: 2-line block ×27, first 2 shown]
.LBB104_643:
	s_endpgm
	.section	.rodata,"a",@progbits
	.p2align	6, 0x0
	.amdhsa_kernel _ZN9rocsolver6v33100L18trti2_kernel_smallILi41E19rocblas_complex_numIdEPKPS3_EEv13rocblas_fill_17rocblas_diagonal_T1_iil
		.amdhsa_group_segment_fixed_size 1312
		.amdhsa_private_segment_fixed_size 672
		.amdhsa_kernarg_size 32
		.amdhsa_user_sgpr_count 2
		.amdhsa_user_sgpr_dispatch_ptr 0
		.amdhsa_user_sgpr_queue_ptr 0
		.amdhsa_user_sgpr_kernarg_segment_ptr 1
		.amdhsa_user_sgpr_dispatch_id 0
		.amdhsa_user_sgpr_kernarg_preload_length 0
		.amdhsa_user_sgpr_kernarg_preload_offset 0
		.amdhsa_user_sgpr_private_segment_size 0
		.amdhsa_uses_dynamic_stack 0
		.amdhsa_enable_private_segment 1
		.amdhsa_system_sgpr_workgroup_id_x 1
		.amdhsa_system_sgpr_workgroup_id_y 0
		.amdhsa_system_sgpr_workgroup_id_z 0
		.amdhsa_system_sgpr_workgroup_info 0
		.amdhsa_system_vgpr_workitem_id 0
		.amdhsa_next_free_vgpr 172
		.amdhsa_next_free_sgpr 12
		.amdhsa_accum_offset 172
		.amdhsa_reserve_vcc 1
		.amdhsa_float_round_mode_32 0
		.amdhsa_float_round_mode_16_64 0
		.amdhsa_float_denorm_mode_32 3
		.amdhsa_float_denorm_mode_16_64 3
		.amdhsa_dx10_clamp 1
		.amdhsa_ieee_mode 1
		.amdhsa_fp16_overflow 0
		.amdhsa_tg_split 0
		.amdhsa_exception_fp_ieee_invalid_op 0
		.amdhsa_exception_fp_denorm_src 0
		.amdhsa_exception_fp_ieee_div_zero 0
		.amdhsa_exception_fp_ieee_overflow 0
		.amdhsa_exception_fp_ieee_underflow 0
		.amdhsa_exception_fp_ieee_inexact 0
		.amdhsa_exception_int_div_zero 0
	.end_amdhsa_kernel
	.section	.text._ZN9rocsolver6v33100L18trti2_kernel_smallILi41E19rocblas_complex_numIdEPKPS3_EEv13rocblas_fill_17rocblas_diagonal_T1_iil,"axG",@progbits,_ZN9rocsolver6v33100L18trti2_kernel_smallILi41E19rocblas_complex_numIdEPKPS3_EEv13rocblas_fill_17rocblas_diagonal_T1_iil,comdat
.Lfunc_end104:
	.size	_ZN9rocsolver6v33100L18trti2_kernel_smallILi41E19rocblas_complex_numIdEPKPS3_EEv13rocblas_fill_17rocblas_diagonal_T1_iil, .Lfunc_end104-_ZN9rocsolver6v33100L18trti2_kernel_smallILi41E19rocblas_complex_numIdEPKPS3_EEv13rocblas_fill_17rocblas_diagonal_T1_iil
                                        ; -- End function
	.section	.AMDGPU.csdata,"",@progbits
; Kernel info:
; codeLenInByte = 27004
; NumSgprs: 18
; NumVgprs: 172
; NumAgprs: 0
; TotalNumVgprs: 172
; ScratchSize: 672
; MemoryBound: 0
; FloatMode: 240
; IeeeMode: 1
; LDSByteSize: 1312 bytes/workgroup (compile time only)
; SGPRBlocks: 2
; VGPRBlocks: 21
; NumSGPRsForWavesPerEU: 18
; NumVGPRsForWavesPerEU: 172
; AccumOffset: 172
; Occupancy: 2
; WaveLimiterHint : 1
; COMPUTE_PGM_RSRC2:SCRATCH_EN: 1
; COMPUTE_PGM_RSRC2:USER_SGPR: 2
; COMPUTE_PGM_RSRC2:TRAP_HANDLER: 0
; COMPUTE_PGM_RSRC2:TGID_X_EN: 1
; COMPUTE_PGM_RSRC2:TGID_Y_EN: 0
; COMPUTE_PGM_RSRC2:TGID_Z_EN: 0
; COMPUTE_PGM_RSRC2:TIDIG_COMP_CNT: 0
; COMPUTE_PGM_RSRC3_GFX90A:ACCUM_OFFSET: 42
; COMPUTE_PGM_RSRC3_GFX90A:TG_SPLIT: 0
	.section	.text._ZN9rocsolver6v33100L18trti2_kernel_smallILi42E19rocblas_complex_numIdEPKPS3_EEv13rocblas_fill_17rocblas_diagonal_T1_iil,"axG",@progbits,_ZN9rocsolver6v33100L18trti2_kernel_smallILi42E19rocblas_complex_numIdEPKPS3_EEv13rocblas_fill_17rocblas_diagonal_T1_iil,comdat
	.globl	_ZN9rocsolver6v33100L18trti2_kernel_smallILi42E19rocblas_complex_numIdEPKPS3_EEv13rocblas_fill_17rocblas_diagonal_T1_iil ; -- Begin function _ZN9rocsolver6v33100L18trti2_kernel_smallILi42E19rocblas_complex_numIdEPKPS3_EEv13rocblas_fill_17rocblas_diagonal_T1_iil
	.p2align	8
	.type	_ZN9rocsolver6v33100L18trti2_kernel_smallILi42E19rocblas_complex_numIdEPKPS3_EEv13rocblas_fill_17rocblas_diagonal_T1_iil,@function
_ZN9rocsolver6v33100L18trti2_kernel_smallILi42E19rocblas_complex_numIdEPKPS3_EEv13rocblas_fill_17rocblas_diagonal_T1_iil: ; @_ZN9rocsolver6v33100L18trti2_kernel_smallILi42E19rocblas_complex_numIdEPKPS3_EEv13rocblas_fill_17rocblas_diagonal_T1_iil
; %bb.0:
	v_cmp_gt_u32_e32 vcc, 42, v0
	s_and_saveexec_b64 s[4:5], vcc
	s_cbranch_execz .LBB105_659
; %bb.1:
	s_load_dwordx2 s[8:9], s[0:1], 0x10
	s_load_dwordx4 s[4:7], s[0:1], 0x0
	s_ashr_i32 s3, s2, 31
	s_lshl_b64 s[2:3], s[2:3], 3
	v_lshlrev_b32_e32 v96, 4, v0
	s_waitcnt lgkmcnt(0)
	s_ashr_i32 s1, s8, 31
	s_add_u32 s2, s6, s2
	s_addc_u32 s3, s7, s3
	s_load_dwordx2 s[2:3], s[2:3], 0x0
	s_mov_b32 s0, s8
	s_lshl_b64 s[0:1], s[0:1], 4
	v_mov_b32_e32 v97, 0
	v_mov_b32_e32 v1, 0
	s_waitcnt lgkmcnt(0)
	s_add_u32 s0, s2, s0
	s_addc_u32 s1, s3, s1
	s_add_i32 s2, s9, s9
	v_add_u32_e32 v6, s2, v0
	v_add_u32_e32 v10, s9, v6
	;; [unrolled: 1-line block ×3, first 2 shown]
	s_mov_b32 s2, s9
	s_ashr_i32 s3, s9, 31
	v_lshl_add_u64 v[38:39], s[0:1], 0, v[96:97]
	v_ashrrev_i32_e32 v11, 31, v10
	v_ashrrev_i32_e32 v7, 31, v6
	v_lshl_add_u64 v[30:31], s[2:3], 4, v[38:39]
	v_lshl_add_u64 v[20:21], v[10:11], 4, s[0:1]
	v_ashrrev_i32_e32 v13, 31, v12
	global_load_dwordx4 v[2:5], v96, s[0:1]
	v_lshl_add_u64 v[14:15], v[6:7], 4, s[0:1]
	global_load_dwordx4 v[6:9], v[30:31], off
	global_load_dwordx4 v[40:43], v[14:15], off
	v_lshl_add_u64 v[16:17], v[12:13], 4, s[0:1]
	global_load_dwordx4 v[44:47], v[20:21], off
	global_load_dwordx4 v[48:51], v[16:17], off
	v_add_u32_e32 v10, s9, v12
	v_add_u32_e32 v12, s9, v10
	v_ashrrev_i32_e32 v11, 31, v10
	v_add_u32_e32 v24, s9, v12
	v_lshl_add_u64 v[22:23], v[10:11], 4, s[0:1]
	v_ashrrev_i32_e32 v13, 31, v12
	v_add_u32_e32 v10, s9, v24
	v_lshl_add_u64 v[18:19], v[12:13], 4, s[0:1]
	v_add_u32_e32 v12, s9, v10
	v_ashrrev_i32_e32 v25, 31, v24
	v_ashrrev_i32_e32 v11, 31, v10
	v_add_u32_e32 v28, s9, v12
	v_lshl_add_u64 v[26:27], v[24:25], 4, s[0:1]
	v_lshl_add_u64 v[24:25], v[10:11], 4, s[0:1]
	v_ashrrev_i32_e32 v13, 31, v12
	v_add_u32_e32 v10, s9, v28
	v_lshl_add_u64 v[32:33], v[12:13], 4, s[0:1]
	v_add_u32_e32 v12, s9, v10
	v_ashrrev_i32_e32 v11, 31, v10
	v_add_u32_e32 v52, s9, v12
	v_lshl_add_u64 v[36:37], v[10:11], 4, s[0:1]
	v_add_u32_e32 v10, s9, v52
	v_add_u32_e32 v54, s9, v10
	;; [unrolled: 1-line block ×26, first 2 shown]
	v_ashrrev_i32_e32 v13, 31, v12
	v_add_u32_e32 v164, s9, v162
	v_lshl_add_u64 v[34:35], v[12:13], 4, s[0:1]
	v_add_u32_e32 v12, s9, v164
	v_ashrrev_i32_e32 v13, 31, v12
	v_ashrrev_i32_e32 v29, 31, v28
	v_lshl_add_u64 v[12:13], v[12:13], 4, s[0:1]
	v_ashrrev_i32_e32 v53, 31, v52
	v_ashrrev_i32_e32 v55, 31, v54
	;; [unrolled: 1-line block ×6, first 2 shown]
	global_load_dwordx4 v[60:63], v[22:23], off
	global_load_dwordx4 v[64:67], v[18:19], off
	;; [unrolled: 1-line block ×4, first 2 shown]
	v_lshl_add_u64 v[28:29], v[28:29], 4, s[0:1]
	global_load_dwordx4 v[76:79], v[32:33], off
	global_load_dwordx4 v[80:83], v[28:29], off
	global_load_dwordx4 v[98:101], v[12:13], off
	v_ashrrev_i32_e32 v11, 31, v10
	v_ashrrev_i32_e32 v107, 31, v106
	s_waitcnt vmcnt(11)
	scratch_store_dwordx4 off, v[2:5], off
	s_waitcnt vmcnt(11)
	scratch_store_dwordx4 off, v[6:9], off offset:16
	s_waitcnt vmcnt(11)
	scratch_store_dwordx4 off, v[40:43], off offset:32
	;; [unrolled: 2-line block ×4, first 2 shown]
	v_lshl_add_u64 v[46:47], v[52:53], 4, s[0:1]
	v_lshl_add_u64 v[42:43], v[54:55], 4, s[0:1]
	;; [unrolled: 1-line block ×5, first 2 shown]
	v_ashrrev_i32_e32 v117, 31, v116
	v_lshl_add_u64 v[56:57], v[122:123], 4, s[0:1]
	v_ashrrev_i32_e32 v125, 31, v124
	global_load_dwordx4 v[2:5], v[36:37], off
	global_load_dwordx4 v[6:9], v[34:35], off
	v_lshl_add_u64 v[40:41], v[10:11], 4, s[0:1]
	global_load_dwordx4 v[84:87], v[46:47], off
	global_load_dwordx4 v[88:91], v[40:41], off
	global_load_dwordx4 v[92:95], v[42:43], off
	global_load_dwordx4 v[102:105], v[44:45], off
	v_lshl_add_u64 v[50:51], v[106:107], 4, s[0:1]
	global_load_dwordx4 v[106:109], v[48:49], off
	global_load_dwordx4 v[110:113], v[50:51], off
	v_lshl_add_u64 v[54:55], v[116:117], 4, s[0:1]
	global_load_dwordx4 v[114:117], v[52:53], off
	global_load_dwordx4 v[118:121], v[54:55], off
	;; [unrolled: 3-line block ×3, first 2 shown]
	v_ashrrev_i32_e32 v131, 31, v130
	v_ashrrev_i32_e32 v135, 31, v134
	;; [unrolled: 1-line block ×18, first 2 shown]
	s_cmpk_lg_i32 s5, 0x84
	s_cselect_b64 s[6:7], -1, 0
	s_cmpk_eq_i32 s5, 0x84
	s_waitcnt vmcnt(23)
	scratch_store_dwordx4 off, v[60:63], off offset:80
	s_waitcnt vmcnt(23)
	scratch_store_dwordx4 off, v[64:67], off offset:96
	;; [unrolled: 2-line block ×18, first 2 shown]
	v_lshl_add_u64 v[60:61], v[130:131], 4, s[0:1]
	v_lshl_add_u64 v[64:65], v[134:135], 4, s[0:1]
	;; [unrolled: 1-line block ×10, first 2 shown]
	global_load_dwordx4 v[2:5], v[60:61], off
	global_load_dwordx4 v[6:9], v[62:63], off
	v_lshl_add_u64 v[66:67], v[136:137], 4, s[0:1]
	global_load_dwordx4 v[102:105], v[64:65], off
	global_load_dwordx4 v[106:109], v[66:67], off
	v_lshl_add_u64 v[70:71], v[140:141], 4, s[0:1]
	global_load_dwordx4 v[110:113], v[68:69], off
	global_load_dwordx4 v[114:117], v[70:71], off
	v_lshl_add_u64 v[74:75], v[144:145], 4, s[0:1]
	global_load_dwordx4 v[118:121], v[72:73], off
	global_load_dwordx4 v[122:125], v[74:75], off
	v_lshl_add_u64 v[78:79], v[148:149], 4, s[0:1]
	global_load_dwordx4 v[126:129], v[76:77], off
	global_load_dwordx4 v[130:133], v[78:79], off
	v_lshl_add_u64 v[82:83], v[152:153], 4, s[0:1]
	global_load_dwordx4 v[134:137], v[80:81], off
	global_load_dwordx4 v[138:141], v[82:83], off
	v_lshl_add_u64 v[86:87], v[156:157], 4, s[0:1]
	global_load_dwordx4 v[142:145], v[84:85], off
	global_load_dwordx4 v[146:149], v[86:87], off
	v_lshl_add_u64 v[90:91], v[160:161], 4, s[0:1]
	global_load_dwordx4 v[150:153], v[88:89], off
	global_load_dwordx4 v[154:157], v[90:91], off
	v_lshl_add_u64 v[94:95], v[164:165], 4, s[0:1]
	global_load_dwordx4 v[158:161], v[92:93], off
	global_load_dwordx4 v[162:165], v[94:95], off
	s_waitcnt vmcnt(17)
	scratch_store_dwordx4 off, v[2:5], off offset:368
	s_waitcnt vmcnt(17)
	scratch_store_dwordx4 off, v[6:9], off offset:384
	s_waitcnt vmcnt(17)
	scratch_store_dwordx4 off, v[102:105], off offset:400
	s_waitcnt vmcnt(17)
	scratch_store_dwordx4 off, v[106:109], off offset:416
	s_waitcnt vmcnt(17)
	scratch_store_dwordx4 off, v[110:113], off offset:432
	s_waitcnt vmcnt(17)
	scratch_store_dwordx4 off, v[114:117], off offset:448
	s_waitcnt vmcnt(17)
	scratch_store_dwordx4 off, v[118:121], off offset:464
	s_waitcnt vmcnt(17)
	scratch_store_dwordx4 off, v[122:125], off offset:480
	s_waitcnt vmcnt(17)
	scratch_store_dwordx4 off, v[126:129], off offset:496
	s_waitcnt vmcnt(17)
	scratch_store_dwordx4 off, v[130:133], off offset:512
	s_waitcnt vmcnt(17)
	scratch_store_dwordx4 off, v[134:137], off offset:528
	s_waitcnt vmcnt(17)
	scratch_store_dwordx4 off, v[138:141], off offset:544
	s_waitcnt vmcnt(17)
	scratch_store_dwordx4 off, v[142:145], off offset:560
	s_waitcnt vmcnt(17)
	scratch_store_dwordx4 off, v[146:149], off offset:576
	s_waitcnt vmcnt(17)
	scratch_store_dwordx4 off, v[150:153], off offset:592
	s_waitcnt vmcnt(17)
	scratch_store_dwordx4 off, v[154:157], off offset:608
	s_waitcnt vmcnt(17)
	scratch_store_dwordx4 off, v[158:161], off offset:624
	s_waitcnt vmcnt(17)
	scratch_store_dwordx4 off, v[162:165], off offset:640
	scratch_store_dwordx4 off, v[98:101], off offset:656
	s_cbranch_scc1 .LBB105_7
; %bb.2:
	scratch_load_dwordx4 v[8:11], v96, off
                                        ; implicit-def: $vgpr6_vgpr7
	s_waitcnt vmcnt(0)
	v_xor_b32_e32 v3, 0x80000000, v9
	v_cmp_gt_f64_e32 vcc, 0, v[8:9]
	v_xor_b32_e32 v4, 0x80000000, v11
	v_mov_b32_e32 v2, v8
	v_cndmask_b32_e32 v3, v9, v3, vcc
	v_cmp_gt_f64_e32 vcc, 0, v[10:11]
	s_nop 1
	v_cndmask_b32_e32 v5, v11, v4, vcc
	v_mov_b32_e32 v4, v10
	v_cmp_ngt_f64_e32 vcc, v[2:3], v[4:5]
                                        ; implicit-def: $vgpr2_vgpr3
	s_and_saveexec_b64 s[0:1], vcc
	s_xor_b64 s[0:1], exec, s[0:1]
	s_cbranch_execz .LBB105_4
; %bb.3:
	v_div_scale_f64 v[2:3], s[2:3], v[10:11], v[10:11], v[8:9]
	v_rcp_f64_e32 v[4:5], v[2:3]
	v_div_scale_f64 v[6:7], vcc, v[8:9], v[10:11], v[8:9]
	v_fma_f64 v[98:99], -v[2:3], v[4:5], 1.0
	v_fmac_f64_e32 v[4:5], v[4:5], v[98:99]
	v_fma_f64 v[98:99], -v[2:3], v[4:5], 1.0
	v_fmac_f64_e32 v[4:5], v[4:5], v[98:99]
	v_mul_f64 v[98:99], v[6:7], v[4:5]
	v_fma_f64 v[2:3], -v[2:3], v[98:99], v[6:7]
	v_div_fmas_f64 v[2:3], v[2:3], v[4:5], v[98:99]
	v_div_fixup_f64 v[2:3], v[2:3], v[10:11], v[8:9]
	v_fmac_f64_e32 v[10:11], v[8:9], v[2:3]
	v_div_scale_f64 v[4:5], s[2:3], v[10:11], v[10:11], 1.0
	v_rcp_f64_e32 v[6:7], v[4:5]
	s_nop 0
	v_fma_f64 v[8:9], -v[4:5], v[6:7], 1.0
	v_fmac_f64_e32 v[6:7], v[6:7], v[8:9]
	v_fma_f64 v[8:9], -v[4:5], v[6:7], 1.0
	v_fmac_f64_e32 v[6:7], v[6:7], v[8:9]
	v_div_scale_f64 v[8:9], vcc, 1.0, v[10:11], 1.0
	v_mul_f64 v[98:99], v[8:9], v[6:7]
	v_fma_f64 v[4:5], -v[4:5], v[98:99], v[8:9]
                                        ; implicit-def: $vgpr8_vgpr9
	s_nop 1
	v_div_fmas_f64 v[4:5], v[4:5], v[6:7], v[98:99]
	v_div_fixup_f64 v[4:5], v[4:5], v[10:11], 1.0
	v_mul_f64 v[2:3], v[2:3], v[4:5]
	v_xor_b32_e32 v5, 0x80000000, v5
	v_xor_b32_e32 v7, 0x80000000, v3
	v_mov_b32_e32 v6, v2
.LBB105_4:
	s_or_saveexec_b64 s[0:1], s[0:1]
	v_add_u32_e32 v97, 0, v96
	s_xor_b64 exec, exec, s[0:1]
	s_cbranch_execz .LBB105_6
; %bb.5:
	v_div_scale_f64 v[2:3], s[2:3], v[8:9], v[8:9], v[10:11]
	v_rcp_f64_e32 v[4:5], v[2:3]
	v_div_scale_f64 v[6:7], vcc, v[10:11], v[8:9], v[10:11]
	v_fma_f64 v[98:99], -v[2:3], v[4:5], 1.0
	v_fmac_f64_e32 v[4:5], v[4:5], v[98:99]
	v_fma_f64 v[98:99], -v[2:3], v[4:5], 1.0
	v_fmac_f64_e32 v[4:5], v[4:5], v[98:99]
	v_mul_f64 v[98:99], v[6:7], v[4:5]
	v_fma_f64 v[2:3], -v[2:3], v[98:99], v[6:7]
	v_div_fmas_f64 v[2:3], v[2:3], v[4:5], v[98:99]
	v_div_fixup_f64 v[4:5], v[2:3], v[8:9], v[10:11]
	v_fmac_f64_e32 v[8:9], v[10:11], v[4:5]
	v_div_scale_f64 v[2:3], s[2:3], v[8:9], v[8:9], 1.0
	v_rcp_f64_e32 v[6:7], v[2:3]
	s_nop 0
	v_fma_f64 v[10:11], -v[2:3], v[6:7], 1.0
	v_fmac_f64_e32 v[6:7], v[6:7], v[10:11]
	v_fma_f64 v[10:11], -v[2:3], v[6:7], 1.0
	v_fmac_f64_e32 v[6:7], v[6:7], v[10:11]
	v_div_scale_f64 v[10:11], vcc, 1.0, v[8:9], 1.0
	v_mul_f64 v[98:99], v[10:11], v[6:7]
	v_fma_f64 v[2:3], -v[2:3], v[98:99], v[10:11]
	s_nop 1
	v_div_fmas_f64 v[2:3], v[2:3], v[6:7], v[98:99]
	v_div_fixup_f64 v[2:3], v[2:3], v[8:9], 1.0
	v_xor_b32_e32 v7, 0x80000000, v3
	v_mov_b32_e32 v6, v2
	v_mul_f64 v[4:5], v[4:5], -v[2:3]
.LBB105_6:
	s_or_b64 exec, exec, s[0:1]
	scratch_store_dwordx4 v97, v[2:5], off
	s_nop 1
	v_xor_b32_e32 v5, 0x80000000, v5
	s_branch .LBB105_8
.LBB105_7:
	v_mov_b64_e32 v[4:5], 0
	v_mov_b64_e32 v[6:7], -1.0
.LBB105_8:
	v_mov_b32_e32 v8, v4
	v_mov_b32_e32 v9, v5
	v_add_u32_e32 v134, 16, v1
	v_add_u32_e32 v133, 32, v1
	v_add_u32_e32 v132, 48, v1
	v_add_u32_e32 v131, 64, v1
	v_add_u32_e32 v130, 0x50, v1
	v_add_u32_e32 v129, 0x60, v1
	v_add_u32_e32 v128, 0x70, v1
	v_add_u32_e32 v127, 0x80, v1
	v_add_u32_e32 v126, 0x90, v1
	v_add_u32_e32 v125, 0xa0, v1
	v_add_u32_e32 v124, 0xb0, v1
	v_add_u32_e32 v123, 0xc0, v1
	v_add_u32_e32 v122, 0xd0, v1
	v_add_u32_e32 v121, 0xe0, v1
	v_add_u32_e32 v120, 0xf0, v1
	v_add_u32_e32 v119, 0x100, v1
	v_add_u32_e32 v118, 0x110, v1
	v_add_u32_e32 v117, 0x120, v1
	v_add_u32_e32 v116, 0x130, v1
	v_add_u32_e32 v115, 0x140, v1
	v_add_u32_e32 v114, 0x150, v1
	v_add_u32_e32 v113, 0x160, v1
	v_add_u32_e32 v112, 0x170, v1
	v_add_u32_e32 v111, 0x180, v1
	v_add_u32_e32 v110, 0x190, v1
	v_add_u32_e32 v109, 0x1a0, v1
	v_add_u32_e32 v108, 0x1b0, v1
	v_add_u32_e32 v107, 0x1c0, v1
	v_add_u32_e32 v106, 0x1d0, v1
	v_add_u32_e32 v105, 0x1e0, v1
	v_add_u32_e32 v104, 0x1f0, v1
	v_add_u32_e32 v103, 0x200, v1
	v_add_u32_e32 v102, 0x210, v1
	v_add_u32_e32 v101, 0x220, v1
	v_add_u32_e32 v100, 0x230, v1
	v_add_u32_e32 v99, 0x240, v1
	v_add_u32_e32 v98, 0x250, v1
	v_add_u32_e32 v97, 0x260, v1
	v_add_u32_e32 v11, 0x270, v1
	v_add_u32_e32 v10, 0x280, v1
	v_add_u32_e32 v1, 0x290, v1
	ds_write_b128 v96, v[6:9]
	s_cmpk_eq_i32 s4, 0x79
	v_add_u32_e32 v9, 0x2a0, v96
	v_add_u32_e32 v8, 0, v96
	s_cbranch_scc1 .LBB105_332
; %bb.9:
	scratch_load_dwordx4 v[2:5], v10, off
	v_cmp_eq_u32_e64 s[0:1], 41, v0
	s_waitcnt vmcnt(0)
	ds_write_b128 v9, v[2:5]
	s_waitcnt lgkmcnt(0)
	; wave barrier
	s_waitcnt lgkmcnt(0)
	s_and_saveexec_b64 s[2:3], s[0:1]
	s_cbranch_execz .LBB105_13
; %bb.10:
	ds_read_b128 v[2:5], v9
	s_andn2_b64 vcc, exec, s[6:7]
	s_cbranch_vccnz .LBB105_12
; %bb.11:
	scratch_load_dwordx4 v[136:139], v8, off
	s_waitcnt vmcnt(0) lgkmcnt(0)
	v_mul_f64 v[6:7], v[4:5], v[138:139]
	v_mul_f64 v[138:139], v[2:3], v[138:139]
	v_fmac_f64_e32 v[138:139], v[4:5], v[136:137]
	v_fma_f64 v[2:3], v[2:3], v[136:137], -v[6:7]
	v_mov_b64_e32 v[4:5], v[138:139]
.LBB105_12:
	v_mov_b32_e32 v6, 0
	ds_read_b128 v[136:139], v6 offset:640
	s_waitcnt lgkmcnt(0)
	v_mul_f64 v[6:7], v[4:5], v[138:139]
	v_mul_f64 v[140:141], v[2:3], v[138:139]
	v_fma_f64 v[138:139], v[2:3], v[136:137], -v[6:7]
	v_fmac_f64_e32 v[140:141], v[4:5], v[136:137]
	scratch_store_dwordx4 off, v[138:141], off offset:640
.LBB105_13:
	s_or_b64 exec, exec, s[2:3]
	scratch_load_dwordx4 v[2:5], v11, off
	v_cmp_lt_u32_e64 s[2:3], 39, v0
	s_waitcnt vmcnt(0)
	ds_write_b128 v9, v[2:5]
	s_waitcnt lgkmcnt(0)
	; wave barrier
	s_waitcnt lgkmcnt(0)
	s_and_saveexec_b64 s[4:5], s[2:3]
	s_cbranch_execz .LBB105_19
; %bb.14:
	ds_read_b128 v[2:5], v9
	s_andn2_b64 vcc, exec, s[6:7]
	s_cbranch_vccnz .LBB105_16
; %bb.15:
	scratch_load_dwordx4 v[136:139], v8, off
	s_waitcnt vmcnt(0) lgkmcnt(0)
	v_mul_f64 v[6:7], v[4:5], v[138:139]
	v_mul_f64 v[138:139], v[2:3], v[138:139]
	v_fmac_f64_e32 v[138:139], v[4:5], v[136:137]
	v_fma_f64 v[2:3], v[2:3], v[136:137], -v[6:7]
	v_mov_b64_e32 v[4:5], v[138:139]
.LBB105_16:
	s_and_saveexec_b64 s[8:9], s[0:1]
	s_cbranch_execz .LBB105_18
; %bb.17:
	scratch_load_dwordx4 v[136:139], off, off offset:640
	v_mov_b32_e32 v6, 0
	ds_read_b128 v[140:143], v6 offset:1312
	s_waitcnt vmcnt(0) lgkmcnt(0)
	v_mul_f64 v[6:7], v[140:141], v[138:139]
	v_mul_f64 v[138:139], v[142:143], v[138:139]
	v_fmac_f64_e32 v[6:7], v[142:143], v[136:137]
	v_fma_f64 v[136:137], v[140:141], v[136:137], -v[138:139]
	v_add_f64 v[4:5], v[4:5], v[6:7]
	v_add_f64 v[2:3], v[2:3], v[136:137]
.LBB105_18:
	s_or_b64 exec, exec, s[8:9]
	v_mov_b32_e32 v6, 0
	ds_read_b128 v[136:139], v6 offset:624
	s_waitcnt lgkmcnt(0)
	v_mul_f64 v[6:7], v[4:5], v[138:139]
	v_mul_f64 v[140:141], v[2:3], v[138:139]
	v_fma_f64 v[138:139], v[2:3], v[136:137], -v[6:7]
	v_fmac_f64_e32 v[140:141], v[4:5], v[136:137]
	scratch_store_dwordx4 off, v[138:141], off offset:624
.LBB105_19:
	s_or_b64 exec, exec, s[4:5]
	scratch_load_dwordx4 v[2:5], v97, off
	v_cmp_lt_u32_e64 s[0:1], 38, v0
	s_waitcnt vmcnt(0)
	ds_write_b128 v9, v[2:5]
	s_waitcnt lgkmcnt(0)
	; wave barrier
	s_waitcnt lgkmcnt(0)
	s_and_saveexec_b64 s[4:5], s[0:1]
	s_cbranch_execz .LBB105_27
; %bb.20:
	ds_read_b128 v[2:5], v9
	s_andn2_b64 vcc, exec, s[6:7]
	s_cbranch_vccnz .LBB105_22
; %bb.21:
	scratch_load_dwordx4 v[136:139], v8, off
	s_waitcnt vmcnt(0) lgkmcnt(0)
	v_mul_f64 v[6:7], v[4:5], v[138:139]
	v_mul_f64 v[138:139], v[2:3], v[138:139]
	v_fmac_f64_e32 v[138:139], v[4:5], v[136:137]
	v_fma_f64 v[2:3], v[2:3], v[136:137], -v[6:7]
	v_mov_b64_e32 v[4:5], v[138:139]
.LBB105_22:
	s_and_saveexec_b64 s[8:9], s[2:3]
	s_cbranch_execz .LBB105_26
; %bb.23:
	v_mov_b32_e32 v7, 0
	v_subrev_u32_e32 v6, 39, v0
	v_add_u32_e32 v7, 0x278, v7
	s_movk_i32 s10, 0x510
	s_mov_b64 s[2:3], 0
.LBB105_24:                             ; =>This Inner Loop Header: Depth=1
	v_add_u32_e32 v135, -8, v7
	scratch_load_dwordx4 v[136:139], v135, off
	v_mov_b32_e32 v135, s10
	ds_read_b128 v[140:143], v135
	v_add_u32_e32 v6, -1, v6
	s_add_i32 s10, s10, 16
	v_cmp_eq_u32_e32 vcc, 0, v6
	v_add_u32_e32 v7, 16, v7
	s_or_b64 s[2:3], vcc, s[2:3]
	s_waitcnt vmcnt(0) lgkmcnt(0)
	v_mul_f64 v[144:145], v[142:143], v[138:139]
	v_mul_f64 v[138:139], v[140:141], v[138:139]
	v_fma_f64 v[140:141], v[140:141], v[136:137], -v[144:145]
	v_fmac_f64_e32 v[138:139], v[142:143], v[136:137]
	v_add_f64 v[2:3], v[2:3], v[140:141]
	v_add_f64 v[4:5], v[4:5], v[138:139]
	s_andn2_b64 exec, exec, s[2:3]
	s_cbranch_execnz .LBB105_24
; %bb.25:
	s_or_b64 exec, exec, s[2:3]
.LBB105_26:
	s_or_b64 exec, exec, s[8:9]
	v_mov_b32_e32 v6, 0
	ds_read_b128 v[136:139], v6 offset:608
	s_waitcnt lgkmcnt(0)
	v_mul_f64 v[6:7], v[4:5], v[138:139]
	v_mul_f64 v[140:141], v[2:3], v[138:139]
	v_fma_f64 v[138:139], v[2:3], v[136:137], -v[6:7]
	v_fmac_f64_e32 v[140:141], v[4:5], v[136:137]
	scratch_store_dwordx4 off, v[138:141], off offset:608
.LBB105_27:
	s_or_b64 exec, exec, s[4:5]
	scratch_load_dwordx4 v[2:5], v98, off
	v_cmp_lt_u32_e64 s[2:3], 37, v0
	s_waitcnt vmcnt(0)
	ds_write_b128 v9, v[2:5]
	s_waitcnt lgkmcnt(0)
	; wave barrier
	s_waitcnt lgkmcnt(0)
	s_and_saveexec_b64 s[4:5], s[2:3]
	s_cbranch_execz .LBB105_35
; %bb.28:
	ds_read_b128 v[2:5], v9
	s_andn2_b64 vcc, exec, s[6:7]
	s_cbranch_vccnz .LBB105_30
; %bb.29:
	scratch_load_dwordx4 v[136:139], v8, off
	s_waitcnt vmcnt(0) lgkmcnt(0)
	v_mul_f64 v[6:7], v[4:5], v[138:139]
	v_mul_f64 v[138:139], v[2:3], v[138:139]
	v_fmac_f64_e32 v[138:139], v[4:5], v[136:137]
	v_fma_f64 v[2:3], v[2:3], v[136:137], -v[6:7]
	v_mov_b64_e32 v[4:5], v[138:139]
.LBB105_30:
	s_and_saveexec_b64 s[8:9], s[0:1]
	s_cbranch_execz .LBB105_34
; %bb.31:
	v_mov_b32_e32 v7, 0
	v_subrev_u32_e32 v6, 38, v0
	v_add_u32_e32 v7, 0x268, v7
	s_movk_i32 s10, 0x500
	s_mov_b64 s[0:1], 0
.LBB105_32:                             ; =>This Inner Loop Header: Depth=1
	v_add_u32_e32 v135, -8, v7
	scratch_load_dwordx4 v[136:139], v135, off
	v_mov_b32_e32 v135, s10
	ds_read_b128 v[140:143], v135
	v_add_u32_e32 v6, -1, v6
	s_add_i32 s10, s10, 16
	v_cmp_eq_u32_e32 vcc, 0, v6
	v_add_u32_e32 v7, 16, v7
	s_or_b64 s[0:1], vcc, s[0:1]
	s_waitcnt vmcnt(0) lgkmcnt(0)
	v_mul_f64 v[144:145], v[142:143], v[138:139]
	v_mul_f64 v[138:139], v[140:141], v[138:139]
	v_fma_f64 v[140:141], v[140:141], v[136:137], -v[144:145]
	v_fmac_f64_e32 v[138:139], v[142:143], v[136:137]
	v_add_f64 v[2:3], v[2:3], v[140:141]
	v_add_f64 v[4:5], v[4:5], v[138:139]
	s_andn2_b64 exec, exec, s[0:1]
	s_cbranch_execnz .LBB105_32
; %bb.33:
	s_or_b64 exec, exec, s[0:1]
.LBB105_34:
	s_or_b64 exec, exec, s[8:9]
	v_mov_b32_e32 v6, 0
	ds_read_b128 v[136:139], v6 offset:592
	s_waitcnt lgkmcnt(0)
	v_mul_f64 v[6:7], v[4:5], v[138:139]
	v_mul_f64 v[140:141], v[2:3], v[138:139]
	v_fma_f64 v[138:139], v[2:3], v[136:137], -v[6:7]
	v_fmac_f64_e32 v[140:141], v[4:5], v[136:137]
	scratch_store_dwordx4 off, v[138:141], off offset:592
.LBB105_35:
	;; [unrolled: 63-line block ×10, first 2 shown]
	s_or_b64 exec, exec, s[4:5]
	scratch_load_dwordx4 v[2:5], v107, off
	v_cmp_lt_u32_e64 s[0:1], 28, v0
	s_waitcnt vmcnt(0)
	ds_write_b128 v9, v[2:5]
	s_waitcnt lgkmcnt(0)
	; wave barrier
	s_waitcnt lgkmcnt(0)
	s_and_saveexec_b64 s[4:5], s[0:1]
	s_cbranch_execz .LBB105_107
; %bb.100:
	ds_read_b128 v[2:5], v9
	s_andn2_b64 vcc, exec, s[6:7]
	s_cbranch_vccnz .LBB105_102
; %bb.101:
	scratch_load_dwordx4 v[136:139], v8, off
	s_waitcnt vmcnt(0) lgkmcnt(0)
	v_mul_f64 v[6:7], v[4:5], v[138:139]
	v_mul_f64 v[138:139], v[2:3], v[138:139]
	v_fmac_f64_e32 v[138:139], v[4:5], v[136:137]
	v_fma_f64 v[2:3], v[2:3], v[136:137], -v[6:7]
	v_mov_b64_e32 v[4:5], v[138:139]
.LBB105_102:
	s_and_saveexec_b64 s[8:9], s[2:3]
	s_cbranch_execz .LBB105_106
; %bb.103:
	v_mov_b32_e32 v7, 0
	v_subrev_u32_e32 v6, 29, v0
	v_add_u32_e32 v7, 0x1d8, v7
	s_movk_i32 s10, 0x470
	s_mov_b64 s[2:3], 0
.LBB105_104:                            ; =>This Inner Loop Header: Depth=1
	v_add_u32_e32 v135, -8, v7
	scratch_load_dwordx4 v[136:139], v135, off
	v_mov_b32_e32 v135, s10
	ds_read_b128 v[140:143], v135
	v_add_u32_e32 v6, -1, v6
	s_add_i32 s10, s10, 16
	v_cmp_eq_u32_e32 vcc, 0, v6
	v_add_u32_e32 v7, 16, v7
	s_or_b64 s[2:3], vcc, s[2:3]
	s_waitcnt vmcnt(0) lgkmcnt(0)
	v_mul_f64 v[144:145], v[142:143], v[138:139]
	v_mul_f64 v[138:139], v[140:141], v[138:139]
	v_fma_f64 v[140:141], v[140:141], v[136:137], -v[144:145]
	v_fmac_f64_e32 v[138:139], v[142:143], v[136:137]
	v_add_f64 v[2:3], v[2:3], v[140:141]
	v_add_f64 v[4:5], v[4:5], v[138:139]
	s_andn2_b64 exec, exec, s[2:3]
	s_cbranch_execnz .LBB105_104
; %bb.105:
	s_or_b64 exec, exec, s[2:3]
.LBB105_106:
	s_or_b64 exec, exec, s[8:9]
	v_mov_b32_e32 v6, 0
	ds_read_b128 v[136:139], v6 offset:448
	s_waitcnt lgkmcnt(0)
	v_mul_f64 v[6:7], v[4:5], v[138:139]
	v_mul_f64 v[140:141], v[2:3], v[138:139]
	v_fma_f64 v[138:139], v[2:3], v[136:137], -v[6:7]
	v_fmac_f64_e32 v[140:141], v[4:5], v[136:137]
	scratch_store_dwordx4 off, v[138:141], off offset:448
.LBB105_107:
	s_or_b64 exec, exec, s[4:5]
	scratch_load_dwordx4 v[2:5], v108, off
	v_cmp_lt_u32_e64 s[2:3], 27, v0
	s_waitcnt vmcnt(0)
	ds_write_b128 v9, v[2:5]
	s_waitcnt lgkmcnt(0)
	; wave barrier
	s_waitcnt lgkmcnt(0)
	s_and_saveexec_b64 s[4:5], s[2:3]
	s_cbranch_execz .LBB105_115
; %bb.108:
	ds_read_b128 v[2:5], v9
	s_andn2_b64 vcc, exec, s[6:7]
	s_cbranch_vccnz .LBB105_110
; %bb.109:
	scratch_load_dwordx4 v[136:139], v8, off
	s_waitcnt vmcnt(0) lgkmcnt(0)
	v_mul_f64 v[6:7], v[4:5], v[138:139]
	v_mul_f64 v[138:139], v[2:3], v[138:139]
	v_fmac_f64_e32 v[138:139], v[4:5], v[136:137]
	v_fma_f64 v[2:3], v[2:3], v[136:137], -v[6:7]
	v_mov_b64_e32 v[4:5], v[138:139]
.LBB105_110:
	s_and_saveexec_b64 s[8:9], s[0:1]
	s_cbranch_execz .LBB105_114
; %bb.111:
	v_mov_b32_e32 v7, 0
	v_subrev_u32_e32 v6, 28, v0
	v_add_u32_e32 v7, 0x1c8, v7
	s_movk_i32 s10, 0x460
	s_mov_b64 s[0:1], 0
.LBB105_112:                            ; =>This Inner Loop Header: Depth=1
	v_add_u32_e32 v135, -8, v7
	scratch_load_dwordx4 v[136:139], v135, off
	v_mov_b32_e32 v135, s10
	ds_read_b128 v[140:143], v135
	v_add_u32_e32 v6, -1, v6
	s_add_i32 s10, s10, 16
	v_cmp_eq_u32_e32 vcc, 0, v6
	v_add_u32_e32 v7, 16, v7
	s_or_b64 s[0:1], vcc, s[0:1]
	s_waitcnt vmcnt(0) lgkmcnt(0)
	v_mul_f64 v[144:145], v[142:143], v[138:139]
	v_mul_f64 v[138:139], v[140:141], v[138:139]
	v_fma_f64 v[140:141], v[140:141], v[136:137], -v[144:145]
	v_fmac_f64_e32 v[138:139], v[142:143], v[136:137]
	v_add_f64 v[2:3], v[2:3], v[140:141]
	v_add_f64 v[4:5], v[4:5], v[138:139]
	s_andn2_b64 exec, exec, s[0:1]
	s_cbranch_execnz .LBB105_112
; %bb.113:
	s_or_b64 exec, exec, s[0:1]
.LBB105_114:
	s_or_b64 exec, exec, s[8:9]
	v_mov_b32_e32 v6, 0
	ds_read_b128 v[136:139], v6 offset:432
	s_waitcnt lgkmcnt(0)
	v_mul_f64 v[6:7], v[4:5], v[138:139]
	v_mul_f64 v[140:141], v[2:3], v[138:139]
	v_fma_f64 v[138:139], v[2:3], v[136:137], -v[6:7]
	v_fmac_f64_e32 v[140:141], v[4:5], v[136:137]
	scratch_store_dwordx4 off, v[138:141], off offset:432
.LBB105_115:
	;; [unrolled: 63-line block ×13, first 2 shown]
	s_or_b64 exec, exec, s[4:5]
	scratch_load_dwordx4 v[2:5], v120, off
	v_cmp_lt_u32_e64 s[2:3], 15, v0
	s_waitcnt vmcnt(0)
	ds_write_b128 v9, v[2:5]
	s_waitcnt lgkmcnt(0)
	; wave barrier
	s_waitcnt lgkmcnt(0)
	s_and_saveexec_b64 s[4:5], s[2:3]
	s_cbranch_execz .LBB105_211
; %bb.204:
	ds_read_b128 v[2:5], v9
	s_andn2_b64 vcc, exec, s[6:7]
	s_cbranch_vccnz .LBB105_206
; %bb.205:
	scratch_load_dwordx4 v[136:139], v8, off
	s_waitcnt vmcnt(0) lgkmcnt(0)
	v_mul_f64 v[6:7], v[4:5], v[138:139]
	v_mul_f64 v[138:139], v[2:3], v[138:139]
	v_fmac_f64_e32 v[138:139], v[4:5], v[136:137]
	v_fma_f64 v[2:3], v[2:3], v[136:137], -v[6:7]
	v_mov_b64_e32 v[4:5], v[138:139]
.LBB105_206:
	s_and_saveexec_b64 s[8:9], s[0:1]
	s_cbranch_execz .LBB105_210
; %bb.207:
	v_mov_b32_e32 v7, 0
	v_add_u32_e32 v6, -16, v0
	v_add_u32_e32 v7, 0x108, v7
	s_movk_i32 s10, 0x3a0
	s_mov_b64 s[0:1], 0
.LBB105_208:                            ; =>This Inner Loop Header: Depth=1
	v_add_u32_e32 v135, -8, v7
	scratch_load_dwordx4 v[136:139], v135, off
	v_mov_b32_e32 v135, s10
	ds_read_b128 v[140:143], v135
	v_add_u32_e32 v6, -1, v6
	s_add_i32 s10, s10, 16
	v_cmp_eq_u32_e32 vcc, 0, v6
	v_add_u32_e32 v7, 16, v7
	s_or_b64 s[0:1], vcc, s[0:1]
	s_waitcnt vmcnt(0) lgkmcnt(0)
	v_mul_f64 v[144:145], v[142:143], v[138:139]
	v_mul_f64 v[138:139], v[140:141], v[138:139]
	v_fma_f64 v[140:141], v[140:141], v[136:137], -v[144:145]
	v_fmac_f64_e32 v[138:139], v[142:143], v[136:137]
	v_add_f64 v[2:3], v[2:3], v[140:141]
	v_add_f64 v[4:5], v[4:5], v[138:139]
	s_andn2_b64 exec, exec, s[0:1]
	s_cbranch_execnz .LBB105_208
; %bb.209:
	s_or_b64 exec, exec, s[0:1]
.LBB105_210:
	s_or_b64 exec, exec, s[8:9]
	v_mov_b32_e32 v6, 0
	ds_read_b128 v[136:139], v6 offset:240
	s_waitcnt lgkmcnt(0)
	v_mul_f64 v[6:7], v[4:5], v[138:139]
	v_mul_f64 v[140:141], v[2:3], v[138:139]
	v_fma_f64 v[138:139], v[2:3], v[136:137], -v[6:7]
	v_fmac_f64_e32 v[140:141], v[4:5], v[136:137]
	scratch_store_dwordx4 off, v[138:141], off offset:240
.LBB105_211:
	s_or_b64 exec, exec, s[4:5]
	scratch_load_dwordx4 v[2:5], v121, off
	v_cmp_lt_u32_e64 s[0:1], 14, v0
	s_waitcnt vmcnt(0)
	ds_write_b128 v9, v[2:5]
	s_waitcnt lgkmcnt(0)
	; wave barrier
	s_waitcnt lgkmcnt(0)
	s_and_saveexec_b64 s[4:5], s[0:1]
	s_cbranch_execz .LBB105_219
; %bb.212:
	ds_read_b128 v[2:5], v9
	s_andn2_b64 vcc, exec, s[6:7]
	s_cbranch_vccnz .LBB105_214
; %bb.213:
	scratch_load_dwordx4 v[136:139], v8, off
	s_waitcnt vmcnt(0) lgkmcnt(0)
	v_mul_f64 v[6:7], v[4:5], v[138:139]
	v_mul_f64 v[138:139], v[2:3], v[138:139]
	v_fmac_f64_e32 v[138:139], v[4:5], v[136:137]
	v_fma_f64 v[2:3], v[2:3], v[136:137], -v[6:7]
	v_mov_b64_e32 v[4:5], v[138:139]
.LBB105_214:
	s_and_saveexec_b64 s[8:9], s[2:3]
	s_cbranch_execz .LBB105_218
; %bb.215:
	v_mov_b32_e32 v7, 0
	v_add_u32_e32 v6, -15, v0
	v_add_u32_e32 v7, 0xf8, v7
	s_movk_i32 s10, 0x390
	s_mov_b64 s[2:3], 0
.LBB105_216:                            ; =>This Inner Loop Header: Depth=1
	v_add_u32_e32 v135, -8, v7
	scratch_load_dwordx4 v[136:139], v135, off
	v_mov_b32_e32 v135, s10
	ds_read_b128 v[140:143], v135
	v_add_u32_e32 v6, -1, v6
	s_add_i32 s10, s10, 16
	v_cmp_eq_u32_e32 vcc, 0, v6
	v_add_u32_e32 v7, 16, v7
	s_or_b64 s[2:3], vcc, s[2:3]
	s_waitcnt vmcnt(0) lgkmcnt(0)
	v_mul_f64 v[144:145], v[142:143], v[138:139]
	v_mul_f64 v[138:139], v[140:141], v[138:139]
	v_fma_f64 v[140:141], v[140:141], v[136:137], -v[144:145]
	v_fmac_f64_e32 v[138:139], v[142:143], v[136:137]
	v_add_f64 v[2:3], v[2:3], v[140:141]
	v_add_f64 v[4:5], v[4:5], v[138:139]
	s_andn2_b64 exec, exec, s[2:3]
	s_cbranch_execnz .LBB105_216
; %bb.217:
	s_or_b64 exec, exec, s[2:3]
.LBB105_218:
	s_or_b64 exec, exec, s[8:9]
	v_mov_b32_e32 v6, 0
	ds_read_b128 v[136:139], v6 offset:224
	s_waitcnt lgkmcnt(0)
	v_mul_f64 v[6:7], v[4:5], v[138:139]
	v_mul_f64 v[140:141], v[2:3], v[138:139]
	v_fma_f64 v[138:139], v[2:3], v[136:137], -v[6:7]
	v_fmac_f64_e32 v[140:141], v[4:5], v[136:137]
	scratch_store_dwordx4 off, v[138:141], off offset:224
.LBB105_219:
	;; [unrolled: 63-line block ×15, first 2 shown]
	s_or_b64 exec, exec, s[2:3]
	scratch_load_dwordx4 v[2:5], off, off
	v_cmp_ne_u32_e32 vcc, 0, v0
	s_mov_b64 s[2:3], 0
	s_mov_b64 s[4:5], 0
                                        ; implicit-def: $vgpr6_vgpr7
                                        ; implicit-def: $vgpr135
	s_waitcnt vmcnt(0)
	ds_write_b128 v9, v[2:5]
	s_waitcnt lgkmcnt(0)
	; wave barrier
	s_waitcnt lgkmcnt(0)
	s_and_saveexec_b64 s[8:9], vcc
	s_cbranch_execz .LBB105_331
; %bb.324:
	ds_read_b128 v[2:5], v9
	s_andn2_b64 vcc, exec, s[6:7]
	s_cbranch_vccnz .LBB105_326
; %bb.325:
	scratch_load_dwordx4 v[136:139], v8, off
	s_waitcnt vmcnt(0) lgkmcnt(0)
	v_mul_f64 v[6:7], v[4:5], v[138:139]
	v_mul_f64 v[138:139], v[2:3], v[138:139]
	v_fmac_f64_e32 v[138:139], v[4:5], v[136:137]
	v_fma_f64 v[2:3], v[2:3], v[136:137], -v[6:7]
	v_mov_b64_e32 v[4:5], v[138:139]
.LBB105_326:
	s_and_saveexec_b64 s[4:5], s[0:1]
	s_cbranch_execz .LBB105_330
; %bb.327:
	v_mov_b32_e32 v7, 0
	v_add_u32_e32 v6, -1, v0
	v_add_u32_e32 v7, 24, v7
	s_movk_i32 s10, 0x2b0
	s_mov_b64 s[0:1], 0
.LBB105_328:                            ; =>This Inner Loop Header: Depth=1
	v_add_u32_e32 v135, -8, v7
	scratch_load_dwordx4 v[136:139], v135, off
	v_mov_b32_e32 v135, s10
	ds_read_b128 v[140:143], v135
	v_add_u32_e32 v6, -1, v6
	s_add_i32 s10, s10, 16
	v_cmp_eq_u32_e32 vcc, 0, v6
	v_add_u32_e32 v7, 16, v7
	s_or_b64 s[0:1], vcc, s[0:1]
	s_waitcnt vmcnt(0) lgkmcnt(0)
	v_mul_f64 v[144:145], v[142:143], v[138:139]
	v_mul_f64 v[138:139], v[140:141], v[138:139]
	v_fma_f64 v[140:141], v[140:141], v[136:137], -v[144:145]
	v_fmac_f64_e32 v[138:139], v[142:143], v[136:137]
	v_add_f64 v[2:3], v[2:3], v[140:141]
	v_add_f64 v[4:5], v[4:5], v[138:139]
	s_andn2_b64 exec, exec, s[0:1]
	s_cbranch_execnz .LBB105_328
; %bb.329:
	s_or_b64 exec, exec, s[0:1]
.LBB105_330:
	s_or_b64 exec, exec, s[4:5]
	v_mov_b32_e32 v6, 0
	ds_read_b128 v[136:139], v6
	v_mov_b32_e32 v6, 0
	v_or_b32_e32 v135, 8, v6
	s_mov_b64 s[4:5], exec
	s_waitcnt lgkmcnt(0)
	v_mul_f64 v[140:141], v[4:5], v[138:139]
	v_mul_f64 v[6:7], v[2:3], v[138:139]
	v_fma_f64 v[2:3], v[2:3], v[136:137], -v[140:141]
	v_fmac_f64_e32 v[6:7], v[4:5], v[136:137]
	scratch_store_dwordx2 off, v[2:3], off
.LBB105_331:
	s_or_b64 exec, exec, s[8:9]
	s_and_b64 vcc, exec, s[2:3]
	s_cbranch_vccnz .LBB105_333
	s_branch .LBB105_656
.LBB105_332:
	s_mov_b64 s[4:5], 0
                                        ; implicit-def: $vgpr6_vgpr7
                                        ; implicit-def: $vgpr135
	s_cbranch_execz .LBB105_656
.LBB105_333:
	scratch_load_dwordx4 v[2:5], v134, off
	v_cndmask_b32_e64 v6, 0, 1, s[6:7]
	v_cmp_eq_u32_e64 s[2:3], 0, v0
	v_cmp_ne_u32_e64 s[0:1], 1, v6
	s_waitcnt vmcnt(0)
	ds_write_b128 v9, v[2:5]
	s_waitcnt lgkmcnt(0)
	; wave barrier
	s_waitcnt lgkmcnt(0)
	s_and_saveexec_b64 s[6:7], s[2:3]
	s_cbranch_execz .LBB105_337
; %bb.334:
	ds_read_b128 v[2:5], v9
	s_and_b64 vcc, exec, s[0:1]
	s_cbranch_vccnz .LBB105_336
; %bb.335:
	scratch_load_dwordx4 v[136:139], v8, off
	s_waitcnt vmcnt(0) lgkmcnt(0)
	v_mul_f64 v[6:7], v[4:5], v[138:139]
	v_mul_f64 v[138:139], v[2:3], v[138:139]
	v_fmac_f64_e32 v[138:139], v[4:5], v[136:137]
	v_fma_f64 v[2:3], v[2:3], v[136:137], -v[6:7]
	v_mov_b64_e32 v[4:5], v[138:139]
.LBB105_336:
	v_mov_b32_e32 v6, 0
	ds_read_b128 v[136:139], v6 offset:16
	s_waitcnt lgkmcnt(0)
	v_mul_f64 v[6:7], v[4:5], v[138:139]
	v_mul_f64 v[140:141], v[2:3], v[138:139]
	v_fma_f64 v[138:139], v[2:3], v[136:137], -v[6:7]
	v_fmac_f64_e32 v[140:141], v[4:5], v[136:137]
	scratch_store_dwordx4 off, v[138:141], off offset:16
.LBB105_337:
	s_or_b64 exec, exec, s[6:7]
	scratch_load_dwordx4 v[2:5], v133, off
	v_cmp_gt_u32_e32 vcc, 2, v0
	s_waitcnt vmcnt(0)
	ds_write_b128 v9, v[2:5]
	s_waitcnt lgkmcnt(0)
	; wave barrier
	s_waitcnt lgkmcnt(0)
	s_and_saveexec_b64 s[6:7], vcc
	s_cbranch_execz .LBB105_343
; %bb.338:
	ds_read_b128 v[2:5], v9
	s_and_b64 vcc, exec, s[0:1]
	s_cbranch_vccnz .LBB105_340
; %bb.339:
	scratch_load_dwordx4 v[136:139], v8, off
	s_waitcnt vmcnt(0) lgkmcnt(0)
	v_mul_f64 v[6:7], v[4:5], v[138:139]
	v_mul_f64 v[138:139], v[2:3], v[138:139]
	v_fmac_f64_e32 v[138:139], v[4:5], v[136:137]
	v_fma_f64 v[2:3], v[2:3], v[136:137], -v[6:7]
	v_mov_b64_e32 v[4:5], v[138:139]
.LBB105_340:
	s_and_saveexec_b64 s[8:9], s[2:3]
	s_cbranch_execz .LBB105_342
; %bb.341:
	scratch_load_dwordx4 v[136:139], v8, off offset:16
	ds_read_b128 v[140:143], v9 offset:16
	s_waitcnt vmcnt(0) lgkmcnt(0)
	v_mul_f64 v[6:7], v[142:143], v[138:139]
	v_mul_f64 v[138:139], v[140:141], v[138:139]
	v_fma_f64 v[6:7], v[140:141], v[136:137], -v[6:7]
	v_fmac_f64_e32 v[138:139], v[142:143], v[136:137]
	v_add_f64 v[2:3], v[2:3], v[6:7]
	v_add_f64 v[4:5], v[4:5], v[138:139]
.LBB105_342:
	s_or_b64 exec, exec, s[8:9]
	v_mov_b32_e32 v6, 0
	ds_read_b128 v[136:139], v6 offset:32
	s_waitcnt lgkmcnt(0)
	v_mul_f64 v[6:7], v[4:5], v[138:139]
	v_mul_f64 v[140:141], v[2:3], v[138:139]
	v_fma_f64 v[138:139], v[2:3], v[136:137], -v[6:7]
	v_fmac_f64_e32 v[140:141], v[4:5], v[136:137]
	scratch_store_dwordx4 off, v[138:141], off offset:32
.LBB105_343:
	s_or_b64 exec, exec, s[6:7]
	scratch_load_dwordx4 v[2:5], v132, off
	v_cmp_gt_u32_e32 vcc, 3, v0
	s_waitcnt vmcnt(0)
	ds_write_b128 v9, v[2:5]
	s_waitcnt lgkmcnt(0)
	; wave barrier
	s_waitcnt lgkmcnt(0)
	s_and_saveexec_b64 s[6:7], vcc
	s_cbranch_execz .LBB105_351
; %bb.344:
	ds_read_b128 v[2:5], v9
	s_and_b64 vcc, exec, s[0:1]
	s_cbranch_vccnz .LBB105_346
; %bb.345:
	scratch_load_dwordx4 v[136:139], v8, off
	s_waitcnt vmcnt(0) lgkmcnt(0)
	v_mul_f64 v[6:7], v[4:5], v[138:139]
	v_mul_f64 v[138:139], v[2:3], v[138:139]
	v_fmac_f64_e32 v[138:139], v[4:5], v[136:137]
	v_fma_f64 v[2:3], v[2:3], v[136:137], -v[6:7]
	v_mov_b64_e32 v[4:5], v[138:139]
.LBB105_346:
	v_cmp_ne_u32_e32 vcc, 2, v0
	s_and_saveexec_b64 s[8:9], vcc
	s_cbranch_execz .LBB105_350
; %bb.347:
	scratch_load_dwordx4 v[136:139], v8, off offset:16
	ds_read_b128 v[140:143], v9 offset:16
	s_waitcnt vmcnt(0) lgkmcnt(0)
	v_mul_f64 v[6:7], v[142:143], v[138:139]
	v_mul_f64 v[138:139], v[140:141], v[138:139]
	v_fma_f64 v[6:7], v[140:141], v[136:137], -v[6:7]
	v_fmac_f64_e32 v[138:139], v[142:143], v[136:137]
	v_add_f64 v[2:3], v[2:3], v[6:7]
	v_add_f64 v[4:5], v[4:5], v[138:139]
	s_and_saveexec_b64 s[10:11], s[2:3]
	s_cbranch_execz .LBB105_349
; %bb.348:
	scratch_load_dwordx4 v[136:139], off, off offset:32
	v_mov_b32_e32 v6, 0
	ds_read_b128 v[140:143], v6 offset:704
	s_waitcnt vmcnt(0) lgkmcnt(0)
	v_mul_f64 v[6:7], v[140:141], v[138:139]
	v_mul_f64 v[138:139], v[142:143], v[138:139]
	v_fmac_f64_e32 v[6:7], v[142:143], v[136:137]
	v_fma_f64 v[136:137], v[140:141], v[136:137], -v[138:139]
	v_add_f64 v[4:5], v[4:5], v[6:7]
	v_add_f64 v[2:3], v[2:3], v[136:137]
.LBB105_349:
	s_or_b64 exec, exec, s[10:11]
.LBB105_350:
	s_or_b64 exec, exec, s[8:9]
	v_mov_b32_e32 v6, 0
	ds_read_b128 v[136:139], v6 offset:48
	s_waitcnt lgkmcnt(0)
	v_mul_f64 v[6:7], v[4:5], v[138:139]
	v_mul_f64 v[140:141], v[2:3], v[138:139]
	v_fma_f64 v[138:139], v[2:3], v[136:137], -v[6:7]
	v_fmac_f64_e32 v[140:141], v[4:5], v[136:137]
	scratch_store_dwordx4 off, v[138:141], off offset:48
.LBB105_351:
	s_or_b64 exec, exec, s[6:7]
	scratch_load_dwordx4 v[2:5], v131, off
	v_cmp_gt_u32_e32 vcc, 4, v0
	s_waitcnt vmcnt(0)
	ds_write_b128 v9, v[2:5]
	s_waitcnt lgkmcnt(0)
	; wave barrier
	s_waitcnt lgkmcnt(0)
	s_and_saveexec_b64 s[2:3], vcc
	s_cbranch_execz .LBB105_359
; %bb.352:
	ds_read_b128 v[2:5], v9
	s_and_b64 vcc, exec, s[0:1]
	s_cbranch_vccnz .LBB105_354
; %bb.353:
	scratch_load_dwordx4 v[136:139], v8, off
	s_waitcnt vmcnt(0) lgkmcnt(0)
	v_mul_f64 v[6:7], v[4:5], v[138:139]
	v_mul_f64 v[138:139], v[2:3], v[138:139]
	v_fmac_f64_e32 v[138:139], v[4:5], v[136:137]
	v_fma_f64 v[2:3], v[2:3], v[136:137], -v[6:7]
	v_mov_b64_e32 v[4:5], v[138:139]
.LBB105_354:
	v_cmp_ne_u32_e32 vcc, 3, v0
	s_and_saveexec_b64 s[6:7], vcc
	s_cbranch_execz .LBB105_358
; %bb.355:
	v_mov_b32_e32 v7, 0
	v_add_u32_e32 v6, 0x2b0, v96
	v_add3_u32 v7, v96, v7, 24
	s_mov_b64 s[8:9], 0
	v_mov_b32_e32 v135, v0
.LBB105_356:                            ; =>This Inner Loop Header: Depth=1
	v_add_u32_e32 v136, -8, v7
	scratch_load_dwordx4 v[136:139], v136, off
	ds_read_b128 v[140:143], v6
	v_add_u32_e32 v135, 1, v135
	v_cmp_lt_u32_e32 vcc, 2, v135
	v_add_u32_e32 v6, 16, v6
	v_add_u32_e32 v7, 16, v7
	s_or_b64 s[8:9], vcc, s[8:9]
	s_waitcnt vmcnt(0) lgkmcnt(0)
	v_mul_f64 v[144:145], v[142:143], v[138:139]
	v_mul_f64 v[138:139], v[140:141], v[138:139]
	v_fma_f64 v[140:141], v[140:141], v[136:137], -v[144:145]
	v_fmac_f64_e32 v[138:139], v[142:143], v[136:137]
	v_add_f64 v[2:3], v[2:3], v[140:141]
	v_add_f64 v[4:5], v[4:5], v[138:139]
	s_andn2_b64 exec, exec, s[8:9]
	s_cbranch_execnz .LBB105_356
; %bb.357:
	s_or_b64 exec, exec, s[8:9]
.LBB105_358:
	s_or_b64 exec, exec, s[6:7]
	v_mov_b32_e32 v6, 0
	ds_read_b128 v[136:139], v6 offset:64
	s_waitcnt lgkmcnt(0)
	v_mul_f64 v[6:7], v[4:5], v[138:139]
	v_mul_f64 v[140:141], v[2:3], v[138:139]
	v_fma_f64 v[138:139], v[2:3], v[136:137], -v[6:7]
	v_fmac_f64_e32 v[140:141], v[4:5], v[136:137]
	scratch_store_dwordx4 off, v[138:141], off offset:64
.LBB105_359:
	s_or_b64 exec, exec, s[2:3]
	scratch_load_dwordx4 v[2:5], v130, off
	v_cmp_gt_u32_e32 vcc, 5, v0
	s_waitcnt vmcnt(0)
	ds_write_b128 v9, v[2:5]
	s_waitcnt lgkmcnt(0)
	; wave barrier
	s_waitcnt lgkmcnt(0)
	s_and_saveexec_b64 s[2:3], vcc
	s_cbranch_execz .LBB105_367
; %bb.360:
	ds_read_b128 v[2:5], v9
	s_and_b64 vcc, exec, s[0:1]
	s_cbranch_vccnz .LBB105_362
; %bb.361:
	scratch_load_dwordx4 v[136:139], v8, off
	s_waitcnt vmcnt(0) lgkmcnt(0)
	v_mul_f64 v[6:7], v[4:5], v[138:139]
	v_mul_f64 v[138:139], v[2:3], v[138:139]
	v_fmac_f64_e32 v[138:139], v[4:5], v[136:137]
	v_fma_f64 v[2:3], v[2:3], v[136:137], -v[6:7]
	v_mov_b64_e32 v[4:5], v[138:139]
.LBB105_362:
	v_cmp_ne_u32_e32 vcc, 4, v0
	s_and_saveexec_b64 s[6:7], vcc
	s_cbranch_execz .LBB105_366
; %bb.363:
	v_mov_b32_e32 v7, 0
	v_add_u32_e32 v6, 0x2b0, v96
	v_add3_u32 v7, v96, v7, 24
	s_mov_b64 s[8:9], 0
	v_mov_b32_e32 v135, v0
.LBB105_364:                            ; =>This Inner Loop Header: Depth=1
	v_add_u32_e32 v136, -8, v7
	scratch_load_dwordx4 v[136:139], v136, off
	ds_read_b128 v[140:143], v6
	v_add_u32_e32 v135, 1, v135
	v_cmp_lt_u32_e32 vcc, 3, v135
	v_add_u32_e32 v6, 16, v6
	v_add_u32_e32 v7, 16, v7
	s_or_b64 s[8:9], vcc, s[8:9]
	s_waitcnt vmcnt(0) lgkmcnt(0)
	v_mul_f64 v[144:145], v[142:143], v[138:139]
	v_mul_f64 v[138:139], v[140:141], v[138:139]
	v_fma_f64 v[140:141], v[140:141], v[136:137], -v[144:145]
	v_fmac_f64_e32 v[138:139], v[142:143], v[136:137]
	v_add_f64 v[2:3], v[2:3], v[140:141]
	v_add_f64 v[4:5], v[4:5], v[138:139]
	s_andn2_b64 exec, exec, s[8:9]
	s_cbranch_execnz .LBB105_364
; %bb.365:
	s_or_b64 exec, exec, s[8:9]
.LBB105_366:
	s_or_b64 exec, exec, s[6:7]
	v_mov_b32_e32 v6, 0
	ds_read_b128 v[136:139], v6 offset:80
	s_waitcnt lgkmcnt(0)
	v_mul_f64 v[6:7], v[4:5], v[138:139]
	v_mul_f64 v[140:141], v[2:3], v[138:139]
	v_fma_f64 v[138:139], v[2:3], v[136:137], -v[6:7]
	v_fmac_f64_e32 v[140:141], v[4:5], v[136:137]
	scratch_store_dwordx4 off, v[138:141], off offset:80
.LBB105_367:
	;; [unrolled: 63-line block ×36, first 2 shown]
	s_or_b64 exec, exec, s[2:3]
	scratch_load_dwordx4 v[2:5], v10, off
	v_cmp_gt_u32_e64 s[2:3], 40, v0
	s_waitcnt vmcnt(0)
	ds_write_b128 v9, v[2:5]
	s_waitcnt lgkmcnt(0)
	; wave barrier
	s_waitcnt lgkmcnt(0)
	s_and_saveexec_b64 s[6:7], s[2:3]
	s_cbranch_execz .LBB105_647
; %bb.640:
	ds_read_b128 v[2:5], v9
	s_and_b64 vcc, exec, s[0:1]
	s_cbranch_vccnz .LBB105_642
; %bb.641:
	scratch_load_dwordx4 v[136:139], v8, off
	s_waitcnt vmcnt(0) lgkmcnt(0)
	v_mul_f64 v[6:7], v[4:5], v[138:139]
	v_mul_f64 v[138:139], v[2:3], v[138:139]
	v_fmac_f64_e32 v[138:139], v[4:5], v[136:137]
	v_fma_f64 v[2:3], v[2:3], v[136:137], -v[6:7]
	v_mov_b64_e32 v[4:5], v[138:139]
.LBB105_642:
	v_cmp_ne_u32_e32 vcc, 39, v0
	s_and_saveexec_b64 s[8:9], vcc
	s_cbranch_execz .LBB105_646
; %bb.643:
	v_mov_b32_e32 v7, 0
	v_add_u32_e32 v6, 0x2b0, v96
	v_add3_u32 v7, v96, v7, 24
	s_mov_b64 s[10:11], 0
	v_mov_b32_e32 v135, v0
.LBB105_644:                            ; =>This Inner Loop Header: Depth=1
	v_add_u32_e32 v136, -8, v7
	scratch_load_dwordx4 v[136:139], v136, off
	ds_read_b128 v[140:143], v6
	v_add_u32_e32 v135, 1, v135
	v_cmp_lt_u32_e32 vcc, 38, v135
	v_add_u32_e32 v6, 16, v6
	v_add_u32_e32 v7, 16, v7
	s_or_b64 s[10:11], vcc, s[10:11]
	s_waitcnt vmcnt(0) lgkmcnt(0)
	v_mul_f64 v[144:145], v[142:143], v[138:139]
	v_mul_f64 v[138:139], v[140:141], v[138:139]
	v_fma_f64 v[140:141], v[140:141], v[136:137], -v[144:145]
	v_fmac_f64_e32 v[138:139], v[142:143], v[136:137]
	v_add_f64 v[2:3], v[2:3], v[140:141]
	v_add_f64 v[4:5], v[4:5], v[138:139]
	s_andn2_b64 exec, exec, s[10:11]
	s_cbranch_execnz .LBB105_644
; %bb.645:
	s_or_b64 exec, exec, s[10:11]
.LBB105_646:
	s_or_b64 exec, exec, s[8:9]
	v_mov_b32_e32 v6, 0
	ds_read_b128 v[136:139], v6 offset:640
	s_waitcnt lgkmcnt(0)
	v_mul_f64 v[6:7], v[4:5], v[138:139]
	v_mul_f64 v[140:141], v[2:3], v[138:139]
	v_fma_f64 v[138:139], v[2:3], v[136:137], -v[6:7]
	v_fmac_f64_e32 v[140:141], v[4:5], v[136:137]
	scratch_store_dwordx4 off, v[138:141], off offset:640
.LBB105_647:
	s_or_b64 exec, exec, s[6:7]
	scratch_load_dwordx4 v[2:5], v1, off
	v_cmp_ne_u32_e32 vcc, 41, v0
                                        ; implicit-def: $vgpr6_vgpr7
                                        ; implicit-def: $vgpr135
	s_waitcnt vmcnt(0)
	ds_write_b128 v9, v[2:5]
	s_waitcnt lgkmcnt(0)
	; wave barrier
	s_waitcnt lgkmcnt(0)
	s_and_saveexec_b64 s[6:7], vcc
	s_cbranch_execz .LBB105_655
; %bb.648:
	ds_read_b128 v[2:5], v9
	s_and_b64 vcc, exec, s[0:1]
	s_cbranch_vccnz .LBB105_650
; %bb.649:
	scratch_load_dwordx4 v[6:9], v8, off
	s_waitcnt vmcnt(0) lgkmcnt(0)
	v_mul_f64 v[136:137], v[4:5], v[8:9]
	v_mul_f64 v[8:9], v[2:3], v[8:9]
	v_fmac_f64_e32 v[8:9], v[4:5], v[6:7]
	v_fma_f64 v[2:3], v[2:3], v[6:7], -v[136:137]
	v_mov_b64_e32 v[4:5], v[8:9]
.LBB105_650:
	s_and_saveexec_b64 s[0:1], s[2:3]
	s_cbranch_execz .LBB105_654
; %bb.651:
	v_mov_b32_e32 v7, 0
	v_add_u32_e32 v6, 0x2b0, v96
	v_add3_u32 v7, v96, v7, 24
	s_mov_b64 s[2:3], 0
.LBB105_652:                            ; =>This Inner Loop Header: Depth=1
	v_add_u32_e32 v8, -8, v7
	scratch_load_dwordx4 v[136:139], v8, off
	ds_read_b128 v[140:143], v6
	v_add_u32_e32 v0, 1, v0
	v_cmp_lt_u32_e32 vcc, 39, v0
	v_add_u32_e32 v6, 16, v6
	v_add_u32_e32 v7, 16, v7
	s_or_b64 s[2:3], vcc, s[2:3]
	s_waitcnt vmcnt(0) lgkmcnt(0)
	v_mul_f64 v[8:9], v[142:143], v[138:139]
	v_mul_f64 v[138:139], v[140:141], v[138:139]
	v_fma_f64 v[8:9], v[140:141], v[136:137], -v[8:9]
	v_fmac_f64_e32 v[138:139], v[142:143], v[136:137]
	v_add_f64 v[2:3], v[2:3], v[8:9]
	v_add_f64 v[4:5], v[4:5], v[138:139]
	s_andn2_b64 exec, exec, s[2:3]
	s_cbranch_execnz .LBB105_652
; %bb.653:
	s_or_b64 exec, exec, s[2:3]
.LBB105_654:
	s_or_b64 exec, exec, s[0:1]
	v_mov_b32_e32 v0, 0
	ds_read_b128 v[136:139], v0 offset:656
	v_mov_b32_e32 v0, 0
	v_add_u32_e32 v135, 0x298, v0
	s_or_b64 s[4:5], s[4:5], exec
	s_waitcnt lgkmcnt(0)
	v_mul_f64 v[8:9], v[4:5], v[138:139]
	v_mul_f64 v[6:7], v[2:3], v[138:139]
	v_fma_f64 v[2:3], v[2:3], v[136:137], -v[8:9]
	v_fmac_f64_e32 v[6:7], v[4:5], v[136:137]
	scratch_store_dwordx2 off, v[2:3], off offset:656
.LBB105_655:
	s_or_b64 exec, exec, s[6:7]
.LBB105_656:
	s_and_saveexec_b64 s[0:1], s[4:5]
	s_cbranch_execz .LBB105_658
; %bb.657:
	scratch_store_dwordx2 v135, v[6:7], off
.LBB105_658:
	s_or_b64 exec, exec, s[0:1]
	scratch_load_dwordx4 v[2:5], off, off
	scratch_load_dwordx4 v[6:9], v134, off
	s_nop 0
	scratch_load_dwordx4 v[134:137], v133, off
	scratch_load_dwordx4 v[138:141], v132, off
	;; [unrolled: 1-line block ×3, first 2 shown]
	s_nop 0
	scratch_load_dwordx4 v[130:133], v130, off
	s_nop 0
	scratch_load_dwordx4 v[146:149], v129, off
	scratch_load_dwordx4 v[150:153], v128, off
	;; [unrolled: 1-line block ×3, first 2 shown]
	s_nop 0
	scratch_load_dwordx4 v[126:129], v126, off
	s_nop 0
	scratch_load_dwordx4 v[158:161], v125, off
	scratch_load_dwordx4 v[162:165], v124, off
	s_waitcnt vmcnt(11)
	global_store_dwordx4 v[38:39], v[2:5], off
	scratch_load_dwordx4 v[2:5], v123, off
	s_nop 0
	scratch_load_dwordx4 v[122:125], v122, off
	s_waitcnt vmcnt(13)
	global_store_dwordx4 v[30:31], v[6:9], off
	scratch_load_dwordx4 v[6:9], v121, off
	s_nop 0
	;; [unrolled: 5-line block ×15, first 2 shown]
	scratch_load_dwordx4 v[174:177], v1, off
	s_waitcnt vmcnt(39)
	global_store_dwordx4 v[42:43], v[166:169], off
	s_waitcnt vmcnt(38)
	global_store_dwordx4 v[44:45], v[134:137], off
	;; [unrolled: 2-line block ×27, first 2 shown]
.LBB105_659:
	s_endpgm
	.section	.rodata,"a",@progbits
	.p2align	6, 0x0
	.amdhsa_kernel _ZN9rocsolver6v33100L18trti2_kernel_smallILi42E19rocblas_complex_numIdEPKPS3_EEv13rocblas_fill_17rocblas_diagonal_T1_iil
		.amdhsa_group_segment_fixed_size 1344
		.amdhsa_private_segment_fixed_size 688
		.amdhsa_kernarg_size 32
		.amdhsa_user_sgpr_count 2
		.amdhsa_user_sgpr_dispatch_ptr 0
		.amdhsa_user_sgpr_queue_ptr 0
		.amdhsa_user_sgpr_kernarg_segment_ptr 1
		.amdhsa_user_sgpr_dispatch_id 0
		.amdhsa_user_sgpr_kernarg_preload_length 0
		.amdhsa_user_sgpr_kernarg_preload_offset 0
		.amdhsa_user_sgpr_private_segment_size 0
		.amdhsa_uses_dynamic_stack 0
		.amdhsa_enable_private_segment 1
		.amdhsa_system_sgpr_workgroup_id_x 1
		.amdhsa_system_sgpr_workgroup_id_y 0
		.amdhsa_system_sgpr_workgroup_id_z 0
		.amdhsa_system_sgpr_workgroup_info 0
		.amdhsa_system_vgpr_workitem_id 0
		.amdhsa_next_free_vgpr 178
		.amdhsa_next_free_sgpr 12
		.amdhsa_accum_offset 180
		.amdhsa_reserve_vcc 1
		.amdhsa_float_round_mode_32 0
		.amdhsa_float_round_mode_16_64 0
		.amdhsa_float_denorm_mode_32 3
		.amdhsa_float_denorm_mode_16_64 3
		.amdhsa_dx10_clamp 1
		.amdhsa_ieee_mode 1
		.amdhsa_fp16_overflow 0
		.amdhsa_tg_split 0
		.amdhsa_exception_fp_ieee_invalid_op 0
		.amdhsa_exception_fp_denorm_src 0
		.amdhsa_exception_fp_ieee_div_zero 0
		.amdhsa_exception_fp_ieee_overflow 0
		.amdhsa_exception_fp_ieee_underflow 0
		.amdhsa_exception_fp_ieee_inexact 0
		.amdhsa_exception_int_div_zero 0
	.end_amdhsa_kernel
	.section	.text._ZN9rocsolver6v33100L18trti2_kernel_smallILi42E19rocblas_complex_numIdEPKPS3_EEv13rocblas_fill_17rocblas_diagonal_T1_iil,"axG",@progbits,_ZN9rocsolver6v33100L18trti2_kernel_smallILi42E19rocblas_complex_numIdEPKPS3_EEv13rocblas_fill_17rocblas_diagonal_T1_iil,comdat
.Lfunc_end105:
	.size	_ZN9rocsolver6v33100L18trti2_kernel_smallILi42E19rocblas_complex_numIdEPKPS3_EEv13rocblas_fill_17rocblas_diagonal_T1_iil, .Lfunc_end105-_ZN9rocsolver6v33100L18trti2_kernel_smallILi42E19rocblas_complex_numIdEPKPS3_EEv13rocblas_fill_17rocblas_diagonal_T1_iil
                                        ; -- End function
	.section	.AMDGPU.csdata,"",@progbits
; Kernel info:
; codeLenInByte = 27664
; NumSgprs: 18
; NumVgprs: 178
; NumAgprs: 0
; TotalNumVgprs: 178
; ScratchSize: 688
; MemoryBound: 0
; FloatMode: 240
; IeeeMode: 1
; LDSByteSize: 1344 bytes/workgroup (compile time only)
; SGPRBlocks: 2
; VGPRBlocks: 22
; NumSGPRsForWavesPerEU: 18
; NumVGPRsForWavesPerEU: 178
; AccumOffset: 180
; Occupancy: 2
; WaveLimiterHint : 1
; COMPUTE_PGM_RSRC2:SCRATCH_EN: 1
; COMPUTE_PGM_RSRC2:USER_SGPR: 2
; COMPUTE_PGM_RSRC2:TRAP_HANDLER: 0
; COMPUTE_PGM_RSRC2:TGID_X_EN: 1
; COMPUTE_PGM_RSRC2:TGID_Y_EN: 0
; COMPUTE_PGM_RSRC2:TGID_Z_EN: 0
; COMPUTE_PGM_RSRC2:TIDIG_COMP_CNT: 0
; COMPUTE_PGM_RSRC3_GFX90A:ACCUM_OFFSET: 44
; COMPUTE_PGM_RSRC3_GFX90A:TG_SPLIT: 0
	.section	.text._ZN9rocsolver6v33100L18trti2_kernel_smallILi43E19rocblas_complex_numIdEPKPS3_EEv13rocblas_fill_17rocblas_diagonal_T1_iil,"axG",@progbits,_ZN9rocsolver6v33100L18trti2_kernel_smallILi43E19rocblas_complex_numIdEPKPS3_EEv13rocblas_fill_17rocblas_diagonal_T1_iil,comdat
	.globl	_ZN9rocsolver6v33100L18trti2_kernel_smallILi43E19rocblas_complex_numIdEPKPS3_EEv13rocblas_fill_17rocblas_diagonal_T1_iil ; -- Begin function _ZN9rocsolver6v33100L18trti2_kernel_smallILi43E19rocblas_complex_numIdEPKPS3_EEv13rocblas_fill_17rocblas_diagonal_T1_iil
	.p2align	8
	.type	_ZN9rocsolver6v33100L18trti2_kernel_smallILi43E19rocblas_complex_numIdEPKPS3_EEv13rocblas_fill_17rocblas_diagonal_T1_iil,@function
_ZN9rocsolver6v33100L18trti2_kernel_smallILi43E19rocblas_complex_numIdEPKPS3_EEv13rocblas_fill_17rocblas_diagonal_T1_iil: ; @_ZN9rocsolver6v33100L18trti2_kernel_smallILi43E19rocblas_complex_numIdEPKPS3_EEv13rocblas_fill_17rocblas_diagonal_T1_iil
; %bb.0:
	v_cmp_gt_u32_e32 vcc, 43, v0
	s_and_saveexec_b64 s[4:5], vcc
	s_cbranch_execz .LBB106_675
; %bb.1:
	s_load_dwordx2 s[8:9], s[0:1], 0x10
	s_load_dwordx4 s[4:7], s[0:1], 0x0
	s_ashr_i32 s3, s2, 31
	s_lshl_b64 s[0:1], s[2:3], 3
	v_lshlrev_b32_e32 v62, 4, v0
	s_waitcnt lgkmcnt(0)
	s_ashr_i32 s3, s8, 31
	s_add_u32 s0, s6, s0
	s_addc_u32 s1, s7, s1
	s_load_dwordx2 s[0:1], s[0:1], 0x0
	s_mov_b32 s2, s8
	s_lshl_b64 s[2:3], s[2:3], 4
	v_mov_b32_e32 v63, 0
	v_mov_b32_e32 v1, 0
	s_waitcnt lgkmcnt(0)
	s_add_u32 s0, s0, s2
	s_addc_u32 s1, s1, s3
	v_lshl_add_u64 v[12:13], s[0:1], 0, v[62:63]
	s_ashr_i32 s3, s9, 31
	s_mov_b32 s2, s9
	v_lshl_add_u64 v[14:15], s[2:3], 4, v[12:13]
	s_add_i32 s2, s9, s9
	v_add_u32_e32 v10, s2, v0
	v_ashrrev_i32_e32 v11, 31, v10
	v_lshl_add_u64 v[16:17], v[10:11], 4, s[0:1]
	v_add_u32_e32 v10, s9, v10
	v_ashrrev_i32_e32 v11, 31, v10
	v_lshl_add_u64 v[18:19], v[10:11], 4, s[0:1]
	;; [unrolled: 3-line block ×6, first 2 shown]
	v_add_u32_e32 v10, s9, v10
	v_ashrrev_i32_e32 v11, 31, v10
	v_add_u32_e32 v30, s9, v10
	v_lshl_add_u64 v[28:29], v[10:11], 4, s[0:1]
	v_add_u32_e32 v10, s9, v30
	v_ashrrev_i32_e32 v11, 31, v10
	v_add_u32_e32 v34, s9, v10
	v_lshl_add_u64 v[32:33], v[10:11], 4, s[0:1]
	;; [unrolled: 4-line block ×3, first 2 shown]
	v_add_u32_e32 v10, s9, v40
	v_ashrrev_i32_e32 v41, 31, v40
	v_ashrrev_i32_e32 v11, 31, v10
	v_add_u32_e32 v42, s9, v10
	v_lshl_add_u64 v[38:39], v[40:41], 4, s[0:1]
	v_lshl_add_u64 v[40:41], v[10:11], 4, s[0:1]
	v_add_u32_e32 v10, s9, v42
	v_ashrrev_i32_e32 v11, 31, v10
	v_add_u32_e32 v48, s9, v10
	v_lshl_add_u64 v[44:45], v[10:11], 4, s[0:1]
	v_add_u32_e32 v10, s9, v48
	v_ashrrev_i32_e32 v49, 31, v48
	v_ashrrev_i32_e32 v11, 31, v10
	v_add_u32_e32 v50, s9, v10
	v_lshl_add_u64 v[46:47], v[48:49], 4, s[0:1]
	v_lshl_add_u64 v[48:49], v[10:11], 4, s[0:1]
	v_add_u32_e32 v10, s9, v50
	v_ashrrev_i32_e32 v11, 31, v10
	v_lshl_add_u64 v[52:53], v[10:11], 4, s[0:1]
	v_add_u32_e32 v10, s9, v10
	v_ashrrev_i32_e32 v11, 31, v10
	;; [unrolled: 3-line block ×4, first 2 shown]
	v_ashrrev_i32_e32 v31, 31, v30
	v_ashrrev_i32_e32 v35, 31, v34
	;; [unrolled: 1-line block ×4, first 2 shown]
	v_lshl_add_u64 v[58:59], v[10:11], 4, s[0:1]
	v_add_u32_e32 v10, s9, v10
	v_lshl_add_u64 v[30:31], v[30:31], 4, s[0:1]
	v_lshl_add_u64 v[34:35], v[34:35], 4, s[0:1]
	;; [unrolled: 1-line block ×4, first 2 shown]
	v_ashrrev_i32_e32 v11, 31, v10
	global_load_dwordx4 v[2:5], v62, s[0:1]
	global_load_dwordx4 v[6:9], v[14:15], off
	global_load_dwordx4 v[64:67], v[16:17], off
	global_load_dwordx4 v[68:71], v[18:19], off
	global_load_dwordx4 v[72:75], v[20:21], off
	global_load_dwordx4 v[76:79], v[22:23], off
	global_load_dwordx4 v[80:83], v[24:25], off
	global_load_dwordx4 v[84:87], v[26:27], off
	global_load_dwordx4 v[88:91], v[28:29], off
	global_load_dwordx4 v[92:95], v[30:31], off
	global_load_dwordx4 v[96:99], v[32:33], off
	global_load_dwordx4 v[100:103], v[34:35], off
	global_load_dwordx4 v[104:107], v[36:37], off
	global_load_dwordx4 v[108:111], v[38:39], off
	global_load_dwordx4 v[112:115], v[40:41], off
	global_load_dwordx4 v[116:119], v[42:43], off
	global_load_dwordx4 v[120:123], v[44:45], off
	global_load_dwordx4 v[124:127], v[46:47], off
	global_load_dwordx4 v[128:131], v[48:49], off
	global_load_dwordx4 v[132:135], v[50:51], off
	global_load_dwordx4 v[136:139], v[52:53], off
	global_load_dwordx4 v[140:143], v[54:55], off
	global_load_dwordx4 v[144:147], v[56:57], off
	v_lshl_add_u64 v[60:61], v[10:11], 4, s[0:1]
	global_load_dwordx4 v[148:151], v[58:59], off
	global_load_dwordx4 v[152:155], v[60:61], off
	s_cmpk_lg_i32 s5, 0x84
	s_cselect_b64 s[6:7], -1, 0
	s_cmpk_eq_i32 s5, 0x84
	s_waitcnt vmcnt(24)
	scratch_store_dwordx4 off, v[2:5], off
	s_waitcnt vmcnt(24)
	scratch_store_dwordx4 off, v[6:9], off offset:16
	s_waitcnt vmcnt(24)
	scratch_store_dwordx4 off, v[64:67], off offset:32
	;; [unrolled: 2-line block ×24, first 2 shown]
	v_add_u32_e32 v2, s9, v10
	v_add_u32_e32 v10, s9, v2
	v_ashrrev_i32_e32 v11, 31, v10
	v_lshl_add_u64 v[66:67], v[10:11], 4, s[0:1]
	v_add_u32_e32 v10, s9, v10
	v_ashrrev_i32_e32 v11, 31, v10
	v_lshl_add_u64 v[68:69], v[10:11], 4, s[0:1]
	v_add_u32_e32 v10, s9, v10
	v_ashrrev_i32_e32 v11, 31, v10
	v_lshl_add_u64 v[70:71], v[10:11], 4, s[0:1]
	v_add_u32_e32 v10, s9, v10
	v_ashrrev_i32_e32 v11, 31, v10
	v_lshl_add_u64 v[72:73], v[10:11], 4, s[0:1]
	v_add_u32_e32 v10, s9, v10
	v_ashrrev_i32_e32 v11, 31, v10
	v_lshl_add_u64 v[74:75], v[10:11], 4, s[0:1]
	v_add_u32_e32 v10, s9, v10
	v_ashrrev_i32_e32 v11, 31, v10
	v_lshl_add_u64 v[76:77], v[10:11], 4, s[0:1]
	v_add_u32_e32 v10, s9, v10
	v_ashrrev_i32_e32 v11, 31, v10
	v_lshl_add_u64 v[78:79], v[10:11], 4, s[0:1]
	v_add_u32_e32 v10, s9, v10
	v_ashrrev_i32_e32 v11, 31, v10
	v_lshl_add_u64 v[80:81], v[10:11], 4, s[0:1]
	v_add_u32_e32 v10, s9, v10
	v_ashrrev_i32_e32 v11, 31, v10
	v_lshl_add_u64 v[82:83], v[10:11], 4, s[0:1]
	v_add_u32_e32 v10, s9, v10
	v_ashrrev_i32_e32 v11, 31, v10
	v_lshl_add_u64 v[84:85], v[10:11], 4, s[0:1]
	v_add_u32_e32 v10, s9, v10
	v_ashrrev_i32_e32 v11, 31, v10
	v_lshl_add_u64 v[86:87], v[10:11], 4, s[0:1]
	v_add_u32_e32 v10, s9, v10
	v_ashrrev_i32_e32 v11, 31, v10
	v_lshl_add_u64 v[88:89], v[10:11], 4, s[0:1]
	v_add_u32_e32 v10, s9, v10
	v_ashrrev_i32_e32 v11, 31, v10
	v_lshl_add_u64 v[90:91], v[10:11], 4, s[0:1]
	v_add_u32_e32 v10, s9, v10
	v_ashrrev_i32_e32 v11, 31, v10
	v_lshl_add_u64 v[92:93], v[10:11], 4, s[0:1]
	v_add_u32_e32 v10, s9, v10
	v_ashrrev_i32_e32 v11, 31, v10
	v_lshl_add_u64 v[94:95], v[10:11], 4, s[0:1]
	v_add_u32_e32 v10, s9, v10
	v_ashrrev_i32_e32 v11, 31, v10
	v_ashrrev_i32_e32 v3, 31, v2
	v_lshl_add_u64 v[96:97], v[10:11], 4, s[0:1]
	v_add_u32_e32 v10, s9, v10
	v_lshl_add_u64 v[64:65], v[2:3], 4, s[0:1]
	v_ashrrev_i32_e32 v11, 31, v10
	global_load_dwordx4 v[2:5], v[64:65], off
	global_load_dwordx4 v[6:9], v[66:67], off
	;; [unrolled: 1-line block ×16, first 2 shown]
	v_lshl_add_u64 v[98:99], v[10:11], 4, s[0:1]
	global_load_dwordx4 v[156:159], v[96:97], off
	global_load_dwordx4 v[160:163], v[98:99], off
	s_waitcnt vmcnt(17)
	scratch_store_dwordx4 off, v[2:5], off offset:400
	s_waitcnt vmcnt(17)
	scratch_store_dwordx4 off, v[6:9], off offset:416
	;; [unrolled: 2-line block ×18, first 2 shown]
	s_cbranch_scc1 .LBB106_7
; %bb.2:
	scratch_load_dwordx4 v[8:11], v62, off
                                        ; implicit-def: $vgpr6_vgpr7
	s_waitcnt vmcnt(0)
	v_xor_b32_e32 v3, 0x80000000, v9
	v_cmp_gt_f64_e32 vcc, 0, v[8:9]
	v_xor_b32_e32 v4, 0x80000000, v11
	v_mov_b32_e32 v2, v8
	v_cndmask_b32_e32 v3, v9, v3, vcc
	v_cmp_gt_f64_e32 vcc, 0, v[10:11]
	s_nop 1
	v_cndmask_b32_e32 v5, v11, v4, vcc
	v_mov_b32_e32 v4, v10
	v_cmp_ngt_f64_e32 vcc, v[2:3], v[4:5]
                                        ; implicit-def: $vgpr2_vgpr3
	s_and_saveexec_b64 s[0:1], vcc
	s_xor_b64 s[0:1], exec, s[0:1]
	s_cbranch_execz .LBB106_4
; %bb.3:
	v_div_scale_f64 v[2:3], s[2:3], v[10:11], v[10:11], v[8:9]
	v_rcp_f64_e32 v[4:5], v[2:3]
	v_div_scale_f64 v[6:7], vcc, v[8:9], v[10:11], v[8:9]
	v_fma_f64 v[100:101], -v[2:3], v[4:5], 1.0
	v_fmac_f64_e32 v[4:5], v[4:5], v[100:101]
	v_fma_f64 v[100:101], -v[2:3], v[4:5], 1.0
	v_fmac_f64_e32 v[4:5], v[4:5], v[100:101]
	v_mul_f64 v[100:101], v[6:7], v[4:5]
	v_fma_f64 v[2:3], -v[2:3], v[100:101], v[6:7]
	v_div_fmas_f64 v[2:3], v[2:3], v[4:5], v[100:101]
	v_div_fixup_f64 v[2:3], v[2:3], v[10:11], v[8:9]
	v_fmac_f64_e32 v[10:11], v[8:9], v[2:3]
	v_div_scale_f64 v[4:5], s[2:3], v[10:11], v[10:11], 1.0
	v_rcp_f64_e32 v[6:7], v[4:5]
	s_nop 0
	v_fma_f64 v[8:9], -v[4:5], v[6:7], 1.0
	v_fmac_f64_e32 v[6:7], v[6:7], v[8:9]
	v_fma_f64 v[8:9], -v[4:5], v[6:7], 1.0
	v_fmac_f64_e32 v[6:7], v[6:7], v[8:9]
	v_div_scale_f64 v[8:9], vcc, 1.0, v[10:11], 1.0
	v_mul_f64 v[100:101], v[8:9], v[6:7]
	v_fma_f64 v[4:5], -v[4:5], v[100:101], v[8:9]
                                        ; implicit-def: $vgpr8_vgpr9
	s_nop 1
	v_div_fmas_f64 v[4:5], v[4:5], v[6:7], v[100:101]
	v_div_fixup_f64 v[4:5], v[4:5], v[10:11], 1.0
	v_mul_f64 v[2:3], v[2:3], v[4:5]
	v_xor_b32_e32 v5, 0x80000000, v5
	v_xor_b32_e32 v7, 0x80000000, v3
	v_mov_b32_e32 v6, v2
.LBB106_4:
	s_or_saveexec_b64 s[0:1], s[0:1]
	v_add_u32_e32 v63, 0, v62
	s_xor_b64 exec, exec, s[0:1]
	s_cbranch_execz .LBB106_6
; %bb.5:
	v_div_scale_f64 v[2:3], s[2:3], v[8:9], v[8:9], v[10:11]
	v_rcp_f64_e32 v[4:5], v[2:3]
	v_div_scale_f64 v[6:7], vcc, v[10:11], v[8:9], v[10:11]
	v_fma_f64 v[100:101], -v[2:3], v[4:5], 1.0
	v_fmac_f64_e32 v[4:5], v[4:5], v[100:101]
	v_fma_f64 v[100:101], -v[2:3], v[4:5], 1.0
	v_fmac_f64_e32 v[4:5], v[4:5], v[100:101]
	v_mul_f64 v[100:101], v[6:7], v[4:5]
	v_fma_f64 v[2:3], -v[2:3], v[100:101], v[6:7]
	v_div_fmas_f64 v[2:3], v[2:3], v[4:5], v[100:101]
	v_div_fixup_f64 v[4:5], v[2:3], v[8:9], v[10:11]
	v_fmac_f64_e32 v[8:9], v[10:11], v[4:5]
	v_div_scale_f64 v[2:3], s[2:3], v[8:9], v[8:9], 1.0
	v_rcp_f64_e32 v[6:7], v[2:3]
	s_nop 0
	v_fma_f64 v[10:11], -v[2:3], v[6:7], 1.0
	v_fmac_f64_e32 v[6:7], v[6:7], v[10:11]
	v_fma_f64 v[10:11], -v[2:3], v[6:7], 1.0
	v_fmac_f64_e32 v[6:7], v[6:7], v[10:11]
	v_div_scale_f64 v[10:11], vcc, 1.0, v[8:9], 1.0
	v_mul_f64 v[100:101], v[10:11], v[6:7]
	v_fma_f64 v[2:3], -v[2:3], v[100:101], v[10:11]
	s_nop 1
	v_div_fmas_f64 v[2:3], v[2:3], v[6:7], v[100:101]
	v_div_fixup_f64 v[2:3], v[2:3], v[8:9], 1.0
	v_xor_b32_e32 v7, 0x80000000, v3
	v_mov_b32_e32 v6, v2
	v_mul_f64 v[4:5], v[4:5], -v[2:3]
.LBB106_6:
	s_or_b64 exec, exec, s[0:1]
	scratch_store_dwordx4 v63, v[2:5], off
	s_nop 1
	v_xor_b32_e32 v5, 0x80000000, v5
	s_branch .LBB106_8
.LBB106_7:
	v_mov_b64_e32 v[4:5], 0
	v_mov_b64_e32 v[6:7], -1.0
.LBB106_8:
	v_mov_b32_e32 v8, v4
	v_mov_b32_e32 v9, v5
	v_add_u32_e32 v137, 16, v1
	v_add_u32_e32 v136, 32, v1
	;; [unrolled: 1-line block ×42, first 2 shown]
	ds_write_b128 v62, v[6:9]
	s_cmpk_eq_i32 s4, 0x79
	v_add_u32_e32 v9, 0x2b0, v62
	v_add_u32_e32 v8, 0, v62
	s_cbranch_scc1 .LBB106_340
; %bb.9:
	scratch_load_dwordx4 v[2:5], v10, off
	v_cmp_eq_u32_e64 s[0:1], 42, v0
	s_waitcnt vmcnt(0)
	ds_write_b128 v9, v[2:5]
	s_waitcnt lgkmcnt(0)
	; wave barrier
	s_waitcnt lgkmcnt(0)
	s_and_saveexec_b64 s[2:3], s[0:1]
	s_cbranch_execz .LBB106_13
; %bb.10:
	ds_read_b128 v[2:5], v9
	s_andn2_b64 vcc, exec, s[6:7]
	s_cbranch_vccnz .LBB106_12
; %bb.11:
	scratch_load_dwordx4 v[138:141], v8, off
	s_waitcnt vmcnt(0) lgkmcnt(0)
	v_mul_f64 v[6:7], v[4:5], v[140:141]
	v_mul_f64 v[140:141], v[2:3], v[140:141]
	v_fmac_f64_e32 v[140:141], v[4:5], v[138:139]
	v_fma_f64 v[2:3], v[2:3], v[138:139], -v[6:7]
	v_mov_b64_e32 v[4:5], v[140:141]
.LBB106_12:
	v_mov_b32_e32 v6, 0
	ds_read_b128 v[138:141], v6 offset:656
	s_waitcnt lgkmcnt(0)
	v_mul_f64 v[6:7], v[4:5], v[140:141]
	v_mul_f64 v[142:143], v[2:3], v[140:141]
	v_fma_f64 v[140:141], v[2:3], v[138:139], -v[6:7]
	v_fmac_f64_e32 v[142:143], v[4:5], v[138:139]
	scratch_store_dwordx4 off, v[140:143], off offset:656
.LBB106_13:
	s_or_b64 exec, exec, s[2:3]
	scratch_load_dwordx4 v[2:5], v11, off
	v_cmp_lt_u32_e64 s[2:3], 40, v0
	s_waitcnt vmcnt(0)
	ds_write_b128 v9, v[2:5]
	s_waitcnt lgkmcnt(0)
	; wave barrier
	s_waitcnt lgkmcnt(0)
	s_and_saveexec_b64 s[4:5], s[2:3]
	s_cbranch_execz .LBB106_19
; %bb.14:
	ds_read_b128 v[2:5], v9
	s_andn2_b64 vcc, exec, s[6:7]
	s_cbranch_vccnz .LBB106_16
; %bb.15:
	scratch_load_dwordx4 v[138:141], v8, off
	s_waitcnt vmcnt(0) lgkmcnt(0)
	v_mul_f64 v[6:7], v[4:5], v[140:141]
	v_mul_f64 v[140:141], v[2:3], v[140:141]
	v_fmac_f64_e32 v[140:141], v[4:5], v[138:139]
	v_fma_f64 v[2:3], v[2:3], v[138:139], -v[6:7]
	v_mov_b64_e32 v[4:5], v[140:141]
.LBB106_16:
	s_and_saveexec_b64 s[8:9], s[0:1]
	s_cbranch_execz .LBB106_18
; %bb.17:
	scratch_load_dwordx4 v[138:141], off, off offset:656
	v_mov_b32_e32 v6, 0
	ds_read_b128 v[142:145], v6 offset:1344
	s_waitcnt vmcnt(0) lgkmcnt(0)
	v_mul_f64 v[6:7], v[142:143], v[140:141]
	v_mul_f64 v[140:141], v[144:145], v[140:141]
	v_fmac_f64_e32 v[6:7], v[144:145], v[138:139]
	v_fma_f64 v[138:139], v[142:143], v[138:139], -v[140:141]
	v_add_f64 v[4:5], v[4:5], v[6:7]
	v_add_f64 v[2:3], v[2:3], v[138:139]
.LBB106_18:
	s_or_b64 exec, exec, s[8:9]
	v_mov_b32_e32 v6, 0
	ds_read_b128 v[138:141], v6 offset:640
	s_waitcnt lgkmcnt(0)
	v_mul_f64 v[6:7], v[4:5], v[140:141]
	v_mul_f64 v[142:143], v[2:3], v[140:141]
	v_fma_f64 v[140:141], v[2:3], v[138:139], -v[6:7]
	v_fmac_f64_e32 v[142:143], v[4:5], v[138:139]
	scratch_store_dwordx4 off, v[140:143], off offset:640
.LBB106_19:
	s_or_b64 exec, exec, s[4:5]
	scratch_load_dwordx4 v[2:5], v63, off
	v_cmp_lt_u32_e64 s[0:1], 39, v0
	s_waitcnt vmcnt(0)
	ds_write_b128 v9, v[2:5]
	s_waitcnt lgkmcnt(0)
	; wave barrier
	s_waitcnt lgkmcnt(0)
	s_and_saveexec_b64 s[4:5], s[0:1]
	s_cbranch_execz .LBB106_27
; %bb.20:
	ds_read_b128 v[2:5], v9
	s_andn2_b64 vcc, exec, s[6:7]
	s_cbranch_vccnz .LBB106_22
; %bb.21:
	scratch_load_dwordx4 v[138:141], v8, off
	s_waitcnt vmcnt(0) lgkmcnt(0)
	v_mul_f64 v[6:7], v[4:5], v[140:141]
	v_mul_f64 v[140:141], v[2:3], v[140:141]
	v_fmac_f64_e32 v[140:141], v[4:5], v[138:139]
	v_fma_f64 v[2:3], v[2:3], v[138:139], -v[6:7]
	v_mov_b64_e32 v[4:5], v[140:141]
.LBB106_22:
	s_and_saveexec_b64 s[8:9], s[2:3]
	s_cbranch_execz .LBB106_26
; %bb.23:
	v_mov_b32_e32 v7, 0
	v_subrev_u32_e32 v6, 40, v0
	v_add_u32_e32 v7, 0x288, v7
	s_movk_i32 s10, 0x530
	s_mov_b64 s[2:3], 0
.LBB106_24:                             ; =>This Inner Loop Header: Depth=1
	v_add_u32_e32 v138, -8, v7
	scratch_load_dwordx4 v[138:141], v138, off
	v_mov_b32_e32 v142, s10
	ds_read_b128 v[142:145], v142
	v_add_u32_e32 v6, -1, v6
	s_add_i32 s10, s10, 16
	v_cmp_eq_u32_e32 vcc, 0, v6
	v_add_u32_e32 v7, 16, v7
	s_or_b64 s[2:3], vcc, s[2:3]
	s_waitcnt vmcnt(0) lgkmcnt(0)
	v_mul_f64 v[146:147], v[144:145], v[140:141]
	v_mul_f64 v[140:141], v[142:143], v[140:141]
	v_fma_f64 v[142:143], v[142:143], v[138:139], -v[146:147]
	v_fmac_f64_e32 v[140:141], v[144:145], v[138:139]
	v_add_f64 v[2:3], v[2:3], v[142:143]
	v_add_f64 v[4:5], v[4:5], v[140:141]
	s_andn2_b64 exec, exec, s[2:3]
	s_cbranch_execnz .LBB106_24
; %bb.25:
	s_or_b64 exec, exec, s[2:3]
.LBB106_26:
	s_or_b64 exec, exec, s[8:9]
	v_mov_b32_e32 v6, 0
	ds_read_b128 v[138:141], v6 offset:624
	s_waitcnt lgkmcnt(0)
	v_mul_f64 v[6:7], v[4:5], v[140:141]
	v_mul_f64 v[142:143], v[2:3], v[140:141]
	v_fma_f64 v[140:141], v[2:3], v[138:139], -v[6:7]
	v_fmac_f64_e32 v[142:143], v[4:5], v[138:139]
	scratch_store_dwordx4 off, v[140:143], off offset:624
.LBB106_27:
	s_or_b64 exec, exec, s[4:5]
	scratch_load_dwordx4 v[2:5], v100, off
	v_cmp_lt_u32_e64 s[2:3], 38, v0
	s_waitcnt vmcnt(0)
	ds_write_b128 v9, v[2:5]
	s_waitcnt lgkmcnt(0)
	; wave barrier
	s_waitcnt lgkmcnt(0)
	s_and_saveexec_b64 s[4:5], s[2:3]
	s_cbranch_execz .LBB106_35
; %bb.28:
	ds_read_b128 v[2:5], v9
	s_andn2_b64 vcc, exec, s[6:7]
	s_cbranch_vccnz .LBB106_30
; %bb.29:
	scratch_load_dwordx4 v[138:141], v8, off
	s_waitcnt vmcnt(0) lgkmcnt(0)
	v_mul_f64 v[6:7], v[4:5], v[140:141]
	v_mul_f64 v[140:141], v[2:3], v[140:141]
	v_fmac_f64_e32 v[140:141], v[4:5], v[138:139]
	v_fma_f64 v[2:3], v[2:3], v[138:139], -v[6:7]
	v_mov_b64_e32 v[4:5], v[140:141]
.LBB106_30:
	s_and_saveexec_b64 s[8:9], s[0:1]
	s_cbranch_execz .LBB106_34
; %bb.31:
	v_mov_b32_e32 v7, 0
	v_subrev_u32_e32 v6, 39, v0
	v_add_u32_e32 v7, 0x278, v7
	s_movk_i32 s10, 0x520
	s_mov_b64 s[0:1], 0
.LBB106_32:                             ; =>This Inner Loop Header: Depth=1
	v_add_u32_e32 v138, -8, v7
	scratch_load_dwordx4 v[138:141], v138, off
	v_mov_b32_e32 v142, s10
	ds_read_b128 v[142:145], v142
	v_add_u32_e32 v6, -1, v6
	s_add_i32 s10, s10, 16
	v_cmp_eq_u32_e32 vcc, 0, v6
	v_add_u32_e32 v7, 16, v7
	s_or_b64 s[0:1], vcc, s[0:1]
	s_waitcnt vmcnt(0) lgkmcnt(0)
	v_mul_f64 v[146:147], v[144:145], v[140:141]
	v_mul_f64 v[140:141], v[142:143], v[140:141]
	v_fma_f64 v[142:143], v[142:143], v[138:139], -v[146:147]
	v_fmac_f64_e32 v[140:141], v[144:145], v[138:139]
	v_add_f64 v[2:3], v[2:3], v[142:143]
	v_add_f64 v[4:5], v[4:5], v[140:141]
	s_andn2_b64 exec, exec, s[0:1]
	s_cbranch_execnz .LBB106_32
; %bb.33:
	s_or_b64 exec, exec, s[0:1]
.LBB106_34:
	s_or_b64 exec, exec, s[8:9]
	v_mov_b32_e32 v6, 0
	ds_read_b128 v[138:141], v6 offset:608
	s_waitcnt lgkmcnt(0)
	v_mul_f64 v[6:7], v[4:5], v[140:141]
	v_mul_f64 v[142:143], v[2:3], v[140:141]
	v_fma_f64 v[140:141], v[2:3], v[138:139], -v[6:7]
	v_fmac_f64_e32 v[142:143], v[4:5], v[138:139]
	scratch_store_dwordx4 off, v[140:143], off offset:608
.LBB106_35:
	;; [unrolled: 63-line block ×10, first 2 shown]
	s_or_b64 exec, exec, s[4:5]
	scratch_load_dwordx4 v[2:5], v109, off
	v_cmp_lt_u32_e64 s[0:1], 29, v0
	s_waitcnt vmcnt(0)
	ds_write_b128 v9, v[2:5]
	s_waitcnt lgkmcnt(0)
	; wave barrier
	s_waitcnt lgkmcnt(0)
	s_and_saveexec_b64 s[4:5], s[0:1]
	s_cbranch_execz .LBB106_107
; %bb.100:
	ds_read_b128 v[2:5], v9
	s_andn2_b64 vcc, exec, s[6:7]
	s_cbranch_vccnz .LBB106_102
; %bb.101:
	scratch_load_dwordx4 v[138:141], v8, off
	s_waitcnt vmcnt(0) lgkmcnt(0)
	v_mul_f64 v[6:7], v[4:5], v[140:141]
	v_mul_f64 v[140:141], v[2:3], v[140:141]
	v_fmac_f64_e32 v[140:141], v[4:5], v[138:139]
	v_fma_f64 v[2:3], v[2:3], v[138:139], -v[6:7]
	v_mov_b64_e32 v[4:5], v[140:141]
.LBB106_102:
	s_and_saveexec_b64 s[8:9], s[2:3]
	s_cbranch_execz .LBB106_106
; %bb.103:
	v_mov_b32_e32 v7, 0
	v_subrev_u32_e32 v6, 30, v0
	v_add_u32_e32 v7, 0x1e8, v7
	s_movk_i32 s10, 0x490
	s_mov_b64 s[2:3], 0
.LBB106_104:                            ; =>This Inner Loop Header: Depth=1
	v_add_u32_e32 v138, -8, v7
	scratch_load_dwordx4 v[138:141], v138, off
	v_mov_b32_e32 v142, s10
	ds_read_b128 v[142:145], v142
	v_add_u32_e32 v6, -1, v6
	s_add_i32 s10, s10, 16
	v_cmp_eq_u32_e32 vcc, 0, v6
	v_add_u32_e32 v7, 16, v7
	s_or_b64 s[2:3], vcc, s[2:3]
	s_waitcnt vmcnt(0) lgkmcnt(0)
	v_mul_f64 v[146:147], v[144:145], v[140:141]
	v_mul_f64 v[140:141], v[142:143], v[140:141]
	v_fma_f64 v[142:143], v[142:143], v[138:139], -v[146:147]
	v_fmac_f64_e32 v[140:141], v[144:145], v[138:139]
	v_add_f64 v[2:3], v[2:3], v[142:143]
	v_add_f64 v[4:5], v[4:5], v[140:141]
	s_andn2_b64 exec, exec, s[2:3]
	s_cbranch_execnz .LBB106_104
; %bb.105:
	s_or_b64 exec, exec, s[2:3]
.LBB106_106:
	s_or_b64 exec, exec, s[8:9]
	v_mov_b32_e32 v6, 0
	ds_read_b128 v[138:141], v6 offset:464
	s_waitcnt lgkmcnt(0)
	v_mul_f64 v[6:7], v[4:5], v[140:141]
	v_mul_f64 v[142:143], v[2:3], v[140:141]
	v_fma_f64 v[140:141], v[2:3], v[138:139], -v[6:7]
	v_fmac_f64_e32 v[142:143], v[4:5], v[138:139]
	scratch_store_dwordx4 off, v[140:143], off offset:464
.LBB106_107:
	s_or_b64 exec, exec, s[4:5]
	scratch_load_dwordx4 v[2:5], v110, off
	v_cmp_lt_u32_e64 s[2:3], 28, v0
	s_waitcnt vmcnt(0)
	ds_write_b128 v9, v[2:5]
	s_waitcnt lgkmcnt(0)
	; wave barrier
	s_waitcnt lgkmcnt(0)
	s_and_saveexec_b64 s[4:5], s[2:3]
	s_cbranch_execz .LBB106_115
; %bb.108:
	ds_read_b128 v[2:5], v9
	s_andn2_b64 vcc, exec, s[6:7]
	s_cbranch_vccnz .LBB106_110
; %bb.109:
	scratch_load_dwordx4 v[138:141], v8, off
	s_waitcnt vmcnt(0) lgkmcnt(0)
	v_mul_f64 v[6:7], v[4:5], v[140:141]
	v_mul_f64 v[140:141], v[2:3], v[140:141]
	v_fmac_f64_e32 v[140:141], v[4:5], v[138:139]
	v_fma_f64 v[2:3], v[2:3], v[138:139], -v[6:7]
	v_mov_b64_e32 v[4:5], v[140:141]
.LBB106_110:
	s_and_saveexec_b64 s[8:9], s[0:1]
	s_cbranch_execz .LBB106_114
; %bb.111:
	v_mov_b32_e32 v7, 0
	v_subrev_u32_e32 v6, 29, v0
	v_add_u32_e32 v7, 0x1d8, v7
	s_movk_i32 s10, 0x480
	s_mov_b64 s[0:1], 0
.LBB106_112:                            ; =>This Inner Loop Header: Depth=1
	v_add_u32_e32 v138, -8, v7
	scratch_load_dwordx4 v[138:141], v138, off
	v_mov_b32_e32 v142, s10
	ds_read_b128 v[142:145], v142
	v_add_u32_e32 v6, -1, v6
	s_add_i32 s10, s10, 16
	v_cmp_eq_u32_e32 vcc, 0, v6
	v_add_u32_e32 v7, 16, v7
	s_or_b64 s[0:1], vcc, s[0:1]
	s_waitcnt vmcnt(0) lgkmcnt(0)
	v_mul_f64 v[146:147], v[144:145], v[140:141]
	v_mul_f64 v[140:141], v[142:143], v[140:141]
	v_fma_f64 v[142:143], v[142:143], v[138:139], -v[146:147]
	v_fmac_f64_e32 v[140:141], v[144:145], v[138:139]
	v_add_f64 v[2:3], v[2:3], v[142:143]
	v_add_f64 v[4:5], v[4:5], v[140:141]
	s_andn2_b64 exec, exec, s[0:1]
	s_cbranch_execnz .LBB106_112
; %bb.113:
	s_or_b64 exec, exec, s[0:1]
.LBB106_114:
	s_or_b64 exec, exec, s[8:9]
	v_mov_b32_e32 v6, 0
	ds_read_b128 v[138:141], v6 offset:448
	s_waitcnt lgkmcnt(0)
	v_mul_f64 v[6:7], v[4:5], v[140:141]
	v_mul_f64 v[142:143], v[2:3], v[140:141]
	v_fma_f64 v[140:141], v[2:3], v[138:139], -v[6:7]
	v_fmac_f64_e32 v[142:143], v[4:5], v[138:139]
	scratch_store_dwordx4 off, v[140:143], off offset:448
.LBB106_115:
	;; [unrolled: 63-line block ×14, first 2 shown]
	s_or_b64 exec, exec, s[4:5]
	scratch_load_dwordx4 v[2:5], v123, off
	v_cmp_lt_u32_e64 s[0:1], 15, v0
	s_waitcnt vmcnt(0)
	ds_write_b128 v9, v[2:5]
	s_waitcnt lgkmcnt(0)
	; wave barrier
	s_waitcnt lgkmcnt(0)
	s_and_saveexec_b64 s[4:5], s[0:1]
	s_cbranch_execz .LBB106_219
; %bb.212:
	ds_read_b128 v[2:5], v9
	s_andn2_b64 vcc, exec, s[6:7]
	s_cbranch_vccnz .LBB106_214
; %bb.213:
	scratch_load_dwordx4 v[138:141], v8, off
	s_waitcnt vmcnt(0) lgkmcnt(0)
	v_mul_f64 v[6:7], v[4:5], v[140:141]
	v_mul_f64 v[140:141], v[2:3], v[140:141]
	v_fmac_f64_e32 v[140:141], v[4:5], v[138:139]
	v_fma_f64 v[2:3], v[2:3], v[138:139], -v[6:7]
	v_mov_b64_e32 v[4:5], v[140:141]
.LBB106_214:
	s_and_saveexec_b64 s[8:9], s[2:3]
	s_cbranch_execz .LBB106_218
; %bb.215:
	v_mov_b32_e32 v7, 0
	v_add_u32_e32 v6, -16, v0
	v_add_u32_e32 v7, 0x108, v7
	s_movk_i32 s10, 0x3b0
	s_mov_b64 s[2:3], 0
.LBB106_216:                            ; =>This Inner Loop Header: Depth=1
	v_add_u32_e32 v138, -8, v7
	scratch_load_dwordx4 v[138:141], v138, off
	v_mov_b32_e32 v142, s10
	ds_read_b128 v[142:145], v142
	v_add_u32_e32 v6, -1, v6
	s_add_i32 s10, s10, 16
	v_cmp_eq_u32_e32 vcc, 0, v6
	v_add_u32_e32 v7, 16, v7
	s_or_b64 s[2:3], vcc, s[2:3]
	s_waitcnt vmcnt(0) lgkmcnt(0)
	v_mul_f64 v[146:147], v[144:145], v[140:141]
	v_mul_f64 v[140:141], v[142:143], v[140:141]
	v_fma_f64 v[142:143], v[142:143], v[138:139], -v[146:147]
	v_fmac_f64_e32 v[140:141], v[144:145], v[138:139]
	v_add_f64 v[2:3], v[2:3], v[142:143]
	v_add_f64 v[4:5], v[4:5], v[140:141]
	s_andn2_b64 exec, exec, s[2:3]
	s_cbranch_execnz .LBB106_216
; %bb.217:
	s_or_b64 exec, exec, s[2:3]
.LBB106_218:
	s_or_b64 exec, exec, s[8:9]
	v_mov_b32_e32 v6, 0
	ds_read_b128 v[138:141], v6 offset:240
	s_waitcnt lgkmcnt(0)
	v_mul_f64 v[6:7], v[4:5], v[140:141]
	v_mul_f64 v[142:143], v[2:3], v[140:141]
	v_fma_f64 v[140:141], v[2:3], v[138:139], -v[6:7]
	v_fmac_f64_e32 v[142:143], v[4:5], v[138:139]
	scratch_store_dwordx4 off, v[140:143], off offset:240
.LBB106_219:
	s_or_b64 exec, exec, s[4:5]
	scratch_load_dwordx4 v[2:5], v124, off
	v_cmp_lt_u32_e64 s[2:3], 14, v0
	s_waitcnt vmcnt(0)
	ds_write_b128 v9, v[2:5]
	s_waitcnt lgkmcnt(0)
	; wave barrier
	s_waitcnt lgkmcnt(0)
	s_and_saveexec_b64 s[4:5], s[2:3]
	s_cbranch_execz .LBB106_227
; %bb.220:
	ds_read_b128 v[2:5], v9
	s_andn2_b64 vcc, exec, s[6:7]
	s_cbranch_vccnz .LBB106_222
; %bb.221:
	scratch_load_dwordx4 v[138:141], v8, off
	s_waitcnt vmcnt(0) lgkmcnt(0)
	v_mul_f64 v[6:7], v[4:5], v[140:141]
	v_mul_f64 v[140:141], v[2:3], v[140:141]
	v_fmac_f64_e32 v[140:141], v[4:5], v[138:139]
	v_fma_f64 v[2:3], v[2:3], v[138:139], -v[6:7]
	v_mov_b64_e32 v[4:5], v[140:141]
.LBB106_222:
	s_and_saveexec_b64 s[8:9], s[0:1]
	s_cbranch_execz .LBB106_226
; %bb.223:
	v_mov_b32_e32 v7, 0
	v_add_u32_e32 v6, -15, v0
	v_add_u32_e32 v7, 0xf8, v7
	s_movk_i32 s10, 0x3a0
	s_mov_b64 s[0:1], 0
.LBB106_224:                            ; =>This Inner Loop Header: Depth=1
	v_add_u32_e32 v138, -8, v7
	scratch_load_dwordx4 v[138:141], v138, off
	v_mov_b32_e32 v142, s10
	ds_read_b128 v[142:145], v142
	v_add_u32_e32 v6, -1, v6
	s_add_i32 s10, s10, 16
	v_cmp_eq_u32_e32 vcc, 0, v6
	v_add_u32_e32 v7, 16, v7
	s_or_b64 s[0:1], vcc, s[0:1]
	s_waitcnt vmcnt(0) lgkmcnt(0)
	v_mul_f64 v[146:147], v[144:145], v[140:141]
	v_mul_f64 v[140:141], v[142:143], v[140:141]
	v_fma_f64 v[142:143], v[142:143], v[138:139], -v[146:147]
	v_fmac_f64_e32 v[140:141], v[144:145], v[138:139]
	v_add_f64 v[2:3], v[2:3], v[142:143]
	v_add_f64 v[4:5], v[4:5], v[140:141]
	s_andn2_b64 exec, exec, s[0:1]
	s_cbranch_execnz .LBB106_224
; %bb.225:
	s_or_b64 exec, exec, s[0:1]
.LBB106_226:
	s_or_b64 exec, exec, s[8:9]
	v_mov_b32_e32 v6, 0
	ds_read_b128 v[138:141], v6 offset:224
	s_waitcnt lgkmcnt(0)
	v_mul_f64 v[6:7], v[4:5], v[140:141]
	v_mul_f64 v[142:143], v[2:3], v[140:141]
	v_fma_f64 v[140:141], v[2:3], v[138:139], -v[6:7]
	v_fmac_f64_e32 v[142:143], v[4:5], v[138:139]
	scratch_store_dwordx4 off, v[140:143], off offset:224
.LBB106_227:
	;; [unrolled: 63-line block ×15, first 2 shown]
	s_or_b64 exec, exec, s[4:5]
	scratch_load_dwordx4 v[2:5], off, off
	v_cmp_ne_u32_e32 vcc, 0, v0
	s_mov_b64 s[2:3], 0
	s_mov_b64 s[4:5], 0
                                        ; implicit-def: $vgpr6_vgpr7
                                        ; implicit-def: $vgpr138
	s_waitcnt vmcnt(0)
	ds_write_b128 v9, v[2:5]
	s_waitcnt lgkmcnt(0)
	; wave barrier
	s_waitcnt lgkmcnt(0)
	s_and_saveexec_b64 s[8:9], vcc
	s_cbranch_execz .LBB106_339
; %bb.332:
	ds_read_b128 v[2:5], v9
	s_andn2_b64 vcc, exec, s[6:7]
	s_cbranch_vccnz .LBB106_334
; %bb.333:
	scratch_load_dwordx4 v[138:141], v8, off
	s_waitcnt vmcnt(0) lgkmcnt(0)
	v_mul_f64 v[6:7], v[4:5], v[140:141]
	v_mul_f64 v[140:141], v[2:3], v[140:141]
	v_fmac_f64_e32 v[140:141], v[4:5], v[138:139]
	v_fma_f64 v[2:3], v[2:3], v[138:139], -v[6:7]
	v_mov_b64_e32 v[4:5], v[140:141]
.LBB106_334:
	s_and_saveexec_b64 s[4:5], s[0:1]
	s_cbranch_execz .LBB106_338
; %bb.335:
	v_mov_b32_e32 v7, 0
	v_add_u32_e32 v6, -1, v0
	v_add_u32_e32 v7, 24, v7
	s_movk_i32 s10, 0x2c0
	s_mov_b64 s[0:1], 0
.LBB106_336:                            ; =>This Inner Loop Header: Depth=1
	v_add_u32_e32 v138, -8, v7
	scratch_load_dwordx4 v[138:141], v138, off
	v_mov_b32_e32 v142, s10
	ds_read_b128 v[142:145], v142
	v_add_u32_e32 v6, -1, v6
	s_add_i32 s10, s10, 16
	v_cmp_eq_u32_e32 vcc, 0, v6
	v_add_u32_e32 v7, 16, v7
	s_or_b64 s[0:1], vcc, s[0:1]
	s_waitcnt vmcnt(0) lgkmcnt(0)
	v_mul_f64 v[146:147], v[144:145], v[140:141]
	v_mul_f64 v[140:141], v[142:143], v[140:141]
	v_fma_f64 v[142:143], v[142:143], v[138:139], -v[146:147]
	v_fmac_f64_e32 v[140:141], v[144:145], v[138:139]
	v_add_f64 v[2:3], v[2:3], v[142:143]
	v_add_f64 v[4:5], v[4:5], v[140:141]
	s_andn2_b64 exec, exec, s[0:1]
	s_cbranch_execnz .LBB106_336
; %bb.337:
	s_or_b64 exec, exec, s[0:1]
.LBB106_338:
	s_or_b64 exec, exec, s[4:5]
	v_mov_b32_e32 v6, 0
	ds_read_b128 v[140:143], v6
	v_mov_b32_e32 v6, 0
	v_or_b32_e32 v138, 8, v6
	s_mov_b64 s[4:5], exec
	s_waitcnt lgkmcnt(0)
	v_mul_f64 v[144:145], v[4:5], v[142:143]
	v_mul_f64 v[6:7], v[2:3], v[142:143]
	v_fma_f64 v[2:3], v[2:3], v[140:141], -v[144:145]
	v_fmac_f64_e32 v[6:7], v[4:5], v[140:141]
	scratch_store_dwordx2 off, v[2:3], off
.LBB106_339:
	s_or_b64 exec, exec, s[8:9]
	s_and_b64 vcc, exec, s[2:3]
	s_cbranch_vccnz .LBB106_341
	s_branch .LBB106_672
.LBB106_340:
	s_mov_b64 s[4:5], 0
                                        ; implicit-def: $vgpr6_vgpr7
                                        ; implicit-def: $vgpr138
	s_cbranch_execz .LBB106_672
.LBB106_341:
	scratch_load_dwordx4 v[2:5], v137, off
	v_cndmask_b32_e64 v6, 0, 1, s[6:7]
	v_cmp_eq_u32_e64 s[2:3], 0, v0
	v_cmp_ne_u32_e64 s[0:1], 1, v6
	s_waitcnt vmcnt(0)
	ds_write_b128 v9, v[2:5]
	s_waitcnt lgkmcnt(0)
	; wave barrier
	s_waitcnt lgkmcnt(0)
	s_and_saveexec_b64 s[6:7], s[2:3]
	s_cbranch_execz .LBB106_345
; %bb.342:
	ds_read_b128 v[2:5], v9
	s_and_b64 vcc, exec, s[0:1]
	s_cbranch_vccnz .LBB106_344
; %bb.343:
	scratch_load_dwordx4 v[138:141], v8, off
	s_waitcnt vmcnt(0) lgkmcnt(0)
	v_mul_f64 v[6:7], v[4:5], v[140:141]
	v_mul_f64 v[140:141], v[2:3], v[140:141]
	v_fmac_f64_e32 v[140:141], v[4:5], v[138:139]
	v_fma_f64 v[2:3], v[2:3], v[138:139], -v[6:7]
	v_mov_b64_e32 v[4:5], v[140:141]
.LBB106_344:
	v_mov_b32_e32 v6, 0
	ds_read_b128 v[138:141], v6 offset:16
	s_waitcnt lgkmcnt(0)
	v_mul_f64 v[6:7], v[4:5], v[140:141]
	v_mul_f64 v[142:143], v[2:3], v[140:141]
	v_fma_f64 v[140:141], v[2:3], v[138:139], -v[6:7]
	v_fmac_f64_e32 v[142:143], v[4:5], v[138:139]
	scratch_store_dwordx4 off, v[140:143], off offset:16
.LBB106_345:
	s_or_b64 exec, exec, s[6:7]
	scratch_load_dwordx4 v[2:5], v136, off
	v_cmp_gt_u32_e32 vcc, 2, v0
	s_waitcnt vmcnt(0)
	ds_write_b128 v9, v[2:5]
	s_waitcnt lgkmcnt(0)
	; wave barrier
	s_waitcnt lgkmcnt(0)
	s_and_saveexec_b64 s[6:7], vcc
	s_cbranch_execz .LBB106_351
; %bb.346:
	ds_read_b128 v[2:5], v9
	s_and_b64 vcc, exec, s[0:1]
	s_cbranch_vccnz .LBB106_348
; %bb.347:
	scratch_load_dwordx4 v[138:141], v8, off
	s_waitcnt vmcnt(0) lgkmcnt(0)
	v_mul_f64 v[6:7], v[4:5], v[140:141]
	v_mul_f64 v[140:141], v[2:3], v[140:141]
	v_fmac_f64_e32 v[140:141], v[4:5], v[138:139]
	v_fma_f64 v[2:3], v[2:3], v[138:139], -v[6:7]
	v_mov_b64_e32 v[4:5], v[140:141]
.LBB106_348:
	s_and_saveexec_b64 s[8:9], s[2:3]
	s_cbranch_execz .LBB106_350
; %bb.349:
	scratch_load_dwordx4 v[138:141], v8, off offset:16
	ds_read_b128 v[142:145], v9 offset:16
	s_waitcnt vmcnt(0) lgkmcnt(0)
	v_mul_f64 v[6:7], v[144:145], v[140:141]
	v_mul_f64 v[140:141], v[142:143], v[140:141]
	v_fma_f64 v[6:7], v[142:143], v[138:139], -v[6:7]
	v_fmac_f64_e32 v[140:141], v[144:145], v[138:139]
	v_add_f64 v[2:3], v[2:3], v[6:7]
	v_add_f64 v[4:5], v[4:5], v[140:141]
.LBB106_350:
	s_or_b64 exec, exec, s[8:9]
	v_mov_b32_e32 v6, 0
	ds_read_b128 v[138:141], v6 offset:32
	s_waitcnt lgkmcnt(0)
	v_mul_f64 v[6:7], v[4:5], v[140:141]
	v_mul_f64 v[142:143], v[2:3], v[140:141]
	v_fma_f64 v[140:141], v[2:3], v[138:139], -v[6:7]
	v_fmac_f64_e32 v[142:143], v[4:5], v[138:139]
	scratch_store_dwordx4 off, v[140:143], off offset:32
.LBB106_351:
	s_or_b64 exec, exec, s[6:7]
	scratch_load_dwordx4 v[2:5], v135, off
	v_cmp_gt_u32_e32 vcc, 3, v0
	s_waitcnt vmcnt(0)
	ds_write_b128 v9, v[2:5]
	s_waitcnt lgkmcnt(0)
	; wave barrier
	s_waitcnt lgkmcnt(0)
	s_and_saveexec_b64 s[6:7], vcc
	s_cbranch_execz .LBB106_359
; %bb.352:
	ds_read_b128 v[2:5], v9
	s_and_b64 vcc, exec, s[0:1]
	s_cbranch_vccnz .LBB106_354
; %bb.353:
	scratch_load_dwordx4 v[138:141], v8, off
	s_waitcnt vmcnt(0) lgkmcnt(0)
	v_mul_f64 v[6:7], v[4:5], v[140:141]
	v_mul_f64 v[140:141], v[2:3], v[140:141]
	v_fmac_f64_e32 v[140:141], v[4:5], v[138:139]
	v_fma_f64 v[2:3], v[2:3], v[138:139], -v[6:7]
	v_mov_b64_e32 v[4:5], v[140:141]
.LBB106_354:
	v_cmp_ne_u32_e32 vcc, 2, v0
	s_and_saveexec_b64 s[8:9], vcc
	s_cbranch_execz .LBB106_358
; %bb.355:
	scratch_load_dwordx4 v[138:141], v8, off offset:16
	ds_read_b128 v[142:145], v9 offset:16
	s_waitcnt vmcnt(0) lgkmcnt(0)
	v_mul_f64 v[6:7], v[144:145], v[140:141]
	v_mul_f64 v[140:141], v[142:143], v[140:141]
	v_fma_f64 v[6:7], v[142:143], v[138:139], -v[6:7]
	v_fmac_f64_e32 v[140:141], v[144:145], v[138:139]
	v_add_f64 v[2:3], v[2:3], v[6:7]
	v_add_f64 v[4:5], v[4:5], v[140:141]
	s_and_saveexec_b64 s[10:11], s[2:3]
	s_cbranch_execz .LBB106_357
; %bb.356:
	scratch_load_dwordx4 v[138:141], off, off offset:32
	v_mov_b32_e32 v6, 0
	ds_read_b128 v[142:145], v6 offset:720
	s_waitcnt vmcnt(0) lgkmcnt(0)
	v_mul_f64 v[6:7], v[142:143], v[140:141]
	v_mul_f64 v[140:141], v[144:145], v[140:141]
	v_fmac_f64_e32 v[6:7], v[144:145], v[138:139]
	v_fma_f64 v[138:139], v[142:143], v[138:139], -v[140:141]
	v_add_f64 v[4:5], v[4:5], v[6:7]
	v_add_f64 v[2:3], v[2:3], v[138:139]
.LBB106_357:
	s_or_b64 exec, exec, s[10:11]
.LBB106_358:
	s_or_b64 exec, exec, s[8:9]
	v_mov_b32_e32 v6, 0
	ds_read_b128 v[138:141], v6 offset:48
	s_waitcnt lgkmcnt(0)
	v_mul_f64 v[6:7], v[4:5], v[140:141]
	v_mul_f64 v[142:143], v[2:3], v[140:141]
	v_fma_f64 v[140:141], v[2:3], v[138:139], -v[6:7]
	v_fmac_f64_e32 v[142:143], v[4:5], v[138:139]
	scratch_store_dwordx4 off, v[140:143], off offset:48
.LBB106_359:
	s_or_b64 exec, exec, s[6:7]
	scratch_load_dwordx4 v[2:5], v134, off
	v_cmp_gt_u32_e32 vcc, 4, v0
	s_waitcnt vmcnt(0)
	ds_write_b128 v9, v[2:5]
	s_waitcnt lgkmcnt(0)
	; wave barrier
	s_waitcnt lgkmcnt(0)
	s_and_saveexec_b64 s[2:3], vcc
	s_cbranch_execz .LBB106_367
; %bb.360:
	ds_read_b128 v[2:5], v9
	s_and_b64 vcc, exec, s[0:1]
	s_cbranch_vccnz .LBB106_362
; %bb.361:
	scratch_load_dwordx4 v[138:141], v8, off
	s_waitcnt vmcnt(0) lgkmcnt(0)
	v_mul_f64 v[6:7], v[4:5], v[140:141]
	v_mul_f64 v[140:141], v[2:3], v[140:141]
	v_fmac_f64_e32 v[140:141], v[4:5], v[138:139]
	v_fma_f64 v[2:3], v[2:3], v[138:139], -v[6:7]
	v_mov_b64_e32 v[4:5], v[140:141]
.LBB106_362:
	v_cmp_ne_u32_e32 vcc, 3, v0
	s_and_saveexec_b64 s[6:7], vcc
	s_cbranch_execz .LBB106_366
; %bb.363:
	v_mov_b32_e32 v7, 0
	v_add_u32_e32 v6, 0x2c0, v62
	v_add3_u32 v7, v62, v7, 24
	s_mov_b64 s[8:9], 0
	v_mov_b32_e32 v138, v0
.LBB106_364:                            ; =>This Inner Loop Header: Depth=1
	v_add_u32_e32 v139, -8, v7
	scratch_load_dwordx4 v[140:143], v139, off
	ds_read_b128 v[144:147], v6
	v_add_u32_e32 v138, 1, v138
	v_cmp_lt_u32_e32 vcc, 2, v138
	v_add_u32_e32 v6, 16, v6
	v_add_u32_e32 v7, 16, v7
	s_or_b64 s[8:9], vcc, s[8:9]
	s_waitcnt vmcnt(0) lgkmcnt(0)
	v_mul_f64 v[148:149], v[146:147], v[142:143]
	v_mul_f64 v[142:143], v[144:145], v[142:143]
	v_fma_f64 v[144:145], v[144:145], v[140:141], -v[148:149]
	v_fmac_f64_e32 v[142:143], v[146:147], v[140:141]
	v_add_f64 v[2:3], v[2:3], v[144:145]
	v_add_f64 v[4:5], v[4:5], v[142:143]
	s_andn2_b64 exec, exec, s[8:9]
	s_cbranch_execnz .LBB106_364
; %bb.365:
	s_or_b64 exec, exec, s[8:9]
.LBB106_366:
	s_or_b64 exec, exec, s[6:7]
	v_mov_b32_e32 v6, 0
	ds_read_b128 v[138:141], v6 offset:64
	s_waitcnt lgkmcnt(0)
	v_mul_f64 v[6:7], v[4:5], v[140:141]
	v_mul_f64 v[142:143], v[2:3], v[140:141]
	v_fma_f64 v[140:141], v[2:3], v[138:139], -v[6:7]
	v_fmac_f64_e32 v[142:143], v[4:5], v[138:139]
	scratch_store_dwordx4 off, v[140:143], off offset:64
.LBB106_367:
	s_or_b64 exec, exec, s[2:3]
	scratch_load_dwordx4 v[2:5], v133, off
	v_cmp_gt_u32_e32 vcc, 5, v0
	s_waitcnt vmcnt(0)
	ds_write_b128 v9, v[2:5]
	s_waitcnt lgkmcnt(0)
	; wave barrier
	s_waitcnt lgkmcnt(0)
	s_and_saveexec_b64 s[2:3], vcc
	s_cbranch_execz .LBB106_375
; %bb.368:
	ds_read_b128 v[2:5], v9
	s_and_b64 vcc, exec, s[0:1]
	s_cbranch_vccnz .LBB106_370
; %bb.369:
	scratch_load_dwordx4 v[138:141], v8, off
	s_waitcnt vmcnt(0) lgkmcnt(0)
	v_mul_f64 v[6:7], v[4:5], v[140:141]
	v_mul_f64 v[140:141], v[2:3], v[140:141]
	v_fmac_f64_e32 v[140:141], v[4:5], v[138:139]
	v_fma_f64 v[2:3], v[2:3], v[138:139], -v[6:7]
	v_mov_b64_e32 v[4:5], v[140:141]
.LBB106_370:
	v_cmp_ne_u32_e32 vcc, 4, v0
	s_and_saveexec_b64 s[6:7], vcc
	s_cbranch_execz .LBB106_374
; %bb.371:
	v_mov_b32_e32 v7, 0
	v_add_u32_e32 v6, 0x2c0, v62
	v_add3_u32 v7, v62, v7, 24
	s_mov_b64 s[8:9], 0
	v_mov_b32_e32 v138, v0
.LBB106_372:                            ; =>This Inner Loop Header: Depth=1
	v_add_u32_e32 v139, -8, v7
	scratch_load_dwordx4 v[140:143], v139, off
	ds_read_b128 v[144:147], v6
	v_add_u32_e32 v138, 1, v138
	v_cmp_lt_u32_e32 vcc, 3, v138
	v_add_u32_e32 v6, 16, v6
	v_add_u32_e32 v7, 16, v7
	s_or_b64 s[8:9], vcc, s[8:9]
	s_waitcnt vmcnt(0) lgkmcnt(0)
	v_mul_f64 v[148:149], v[146:147], v[142:143]
	v_mul_f64 v[142:143], v[144:145], v[142:143]
	v_fma_f64 v[144:145], v[144:145], v[140:141], -v[148:149]
	v_fmac_f64_e32 v[142:143], v[146:147], v[140:141]
	v_add_f64 v[2:3], v[2:3], v[144:145]
	v_add_f64 v[4:5], v[4:5], v[142:143]
	s_andn2_b64 exec, exec, s[8:9]
	s_cbranch_execnz .LBB106_372
; %bb.373:
	s_or_b64 exec, exec, s[8:9]
.LBB106_374:
	s_or_b64 exec, exec, s[6:7]
	v_mov_b32_e32 v6, 0
	ds_read_b128 v[138:141], v6 offset:80
	s_waitcnt lgkmcnt(0)
	v_mul_f64 v[6:7], v[4:5], v[140:141]
	v_mul_f64 v[142:143], v[2:3], v[140:141]
	v_fma_f64 v[140:141], v[2:3], v[138:139], -v[6:7]
	v_fmac_f64_e32 v[142:143], v[4:5], v[138:139]
	scratch_store_dwordx4 off, v[140:143], off offset:80
.LBB106_375:
	;; [unrolled: 63-line block ×37, first 2 shown]
	s_or_b64 exec, exec, s[2:3]
	scratch_load_dwordx4 v[2:5], v10, off
	v_cmp_gt_u32_e64 s[2:3], 41, v0
	s_waitcnt vmcnt(0)
	ds_write_b128 v9, v[2:5]
	s_waitcnt lgkmcnt(0)
	; wave barrier
	s_waitcnt lgkmcnt(0)
	s_and_saveexec_b64 s[6:7], s[2:3]
	s_cbranch_execz .LBB106_663
; %bb.656:
	ds_read_b128 v[2:5], v9
	s_and_b64 vcc, exec, s[0:1]
	s_cbranch_vccnz .LBB106_658
; %bb.657:
	scratch_load_dwordx4 v[138:141], v8, off
	s_waitcnt vmcnt(0) lgkmcnt(0)
	v_mul_f64 v[6:7], v[4:5], v[140:141]
	v_mul_f64 v[140:141], v[2:3], v[140:141]
	v_fmac_f64_e32 v[140:141], v[4:5], v[138:139]
	v_fma_f64 v[2:3], v[2:3], v[138:139], -v[6:7]
	v_mov_b64_e32 v[4:5], v[140:141]
.LBB106_658:
	v_cmp_ne_u32_e32 vcc, 40, v0
	s_and_saveexec_b64 s[8:9], vcc
	s_cbranch_execz .LBB106_662
; %bb.659:
	v_mov_b32_e32 v7, 0
	v_add_u32_e32 v6, 0x2c0, v62
	v_add3_u32 v7, v62, v7, 24
	s_mov_b64 s[10:11], 0
	v_mov_b32_e32 v138, v0
.LBB106_660:                            ; =>This Inner Loop Header: Depth=1
	v_add_u32_e32 v139, -8, v7
	scratch_load_dwordx4 v[140:143], v139, off
	ds_read_b128 v[144:147], v6
	v_add_u32_e32 v138, 1, v138
	v_cmp_lt_u32_e32 vcc, 39, v138
	v_add_u32_e32 v6, 16, v6
	v_add_u32_e32 v7, 16, v7
	s_or_b64 s[10:11], vcc, s[10:11]
	s_waitcnt vmcnt(0) lgkmcnt(0)
	v_mul_f64 v[148:149], v[146:147], v[142:143]
	v_mul_f64 v[142:143], v[144:145], v[142:143]
	v_fma_f64 v[144:145], v[144:145], v[140:141], -v[148:149]
	v_fmac_f64_e32 v[142:143], v[146:147], v[140:141]
	v_add_f64 v[2:3], v[2:3], v[144:145]
	v_add_f64 v[4:5], v[4:5], v[142:143]
	s_andn2_b64 exec, exec, s[10:11]
	s_cbranch_execnz .LBB106_660
; %bb.661:
	s_or_b64 exec, exec, s[10:11]
.LBB106_662:
	s_or_b64 exec, exec, s[8:9]
	v_mov_b32_e32 v6, 0
	ds_read_b128 v[138:141], v6 offset:656
	s_waitcnt lgkmcnt(0)
	v_mul_f64 v[6:7], v[4:5], v[140:141]
	v_mul_f64 v[142:143], v[2:3], v[140:141]
	v_fma_f64 v[140:141], v[2:3], v[138:139], -v[6:7]
	v_fmac_f64_e32 v[142:143], v[4:5], v[138:139]
	scratch_store_dwordx4 off, v[140:143], off offset:656
.LBB106_663:
	s_or_b64 exec, exec, s[6:7]
	scratch_load_dwordx4 v[2:5], v1, off
	v_cmp_ne_u32_e32 vcc, 42, v0
                                        ; implicit-def: $vgpr6_vgpr7
                                        ; implicit-def: $vgpr138
	s_waitcnt vmcnt(0)
	ds_write_b128 v9, v[2:5]
	s_waitcnt lgkmcnt(0)
	; wave barrier
	s_waitcnt lgkmcnt(0)
	s_and_saveexec_b64 s[6:7], vcc
	s_cbranch_execz .LBB106_671
; %bb.664:
	ds_read_b128 v[2:5], v9
	s_and_b64 vcc, exec, s[0:1]
	s_cbranch_vccnz .LBB106_666
; %bb.665:
	scratch_load_dwordx4 v[6:9], v8, off
	s_waitcnt vmcnt(0) lgkmcnt(0)
	v_mul_f64 v[138:139], v[4:5], v[8:9]
	v_mul_f64 v[8:9], v[2:3], v[8:9]
	v_fmac_f64_e32 v[8:9], v[4:5], v[6:7]
	v_fma_f64 v[2:3], v[2:3], v[6:7], -v[138:139]
	v_mov_b64_e32 v[4:5], v[8:9]
.LBB106_666:
	s_and_saveexec_b64 s[0:1], s[2:3]
	s_cbranch_execz .LBB106_670
; %bb.667:
	v_mov_b32_e32 v7, 0
	v_add_u32_e32 v6, 0x2c0, v62
	v_add3_u32 v7, v62, v7, 24
	s_mov_b64 s[2:3], 0
.LBB106_668:                            ; =>This Inner Loop Header: Depth=1
	v_add_u32_e32 v8, -8, v7
	scratch_load_dwordx4 v[138:141], v8, off
	ds_read_b128 v[142:145], v6
	v_add_u32_e32 v0, 1, v0
	v_cmp_lt_u32_e32 vcc, 40, v0
	v_add_u32_e32 v6, 16, v6
	v_add_u32_e32 v7, 16, v7
	s_or_b64 s[2:3], vcc, s[2:3]
	s_waitcnt vmcnt(0) lgkmcnt(0)
	v_mul_f64 v[8:9], v[144:145], v[140:141]
	v_mul_f64 v[140:141], v[142:143], v[140:141]
	v_fma_f64 v[8:9], v[142:143], v[138:139], -v[8:9]
	v_fmac_f64_e32 v[140:141], v[144:145], v[138:139]
	v_add_f64 v[2:3], v[2:3], v[8:9]
	v_add_f64 v[4:5], v[4:5], v[140:141]
	s_andn2_b64 exec, exec, s[2:3]
	s_cbranch_execnz .LBB106_668
; %bb.669:
	s_or_b64 exec, exec, s[2:3]
.LBB106_670:
	s_or_b64 exec, exec, s[0:1]
	v_mov_b32_e32 v0, 0
	ds_read_b128 v[140:143], v0 offset:672
	v_mov_b32_e32 v0, 0
	v_add_u32_e32 v138, 0x2a8, v0
	s_or_b64 s[4:5], s[4:5], exec
	s_waitcnt lgkmcnt(0)
	v_mul_f64 v[8:9], v[4:5], v[142:143]
	v_mul_f64 v[6:7], v[2:3], v[142:143]
	v_fma_f64 v[2:3], v[2:3], v[140:141], -v[8:9]
	v_fmac_f64_e32 v[6:7], v[4:5], v[140:141]
	scratch_store_dwordx2 off, v[2:3], off offset:672
.LBB106_671:
	s_or_b64 exec, exec, s[6:7]
.LBB106_672:
	s_and_saveexec_b64 s[0:1], s[4:5]
	s_cbranch_execz .LBB106_674
; %bb.673:
	scratch_store_dwordx2 v138, v[6:7], off
.LBB106_674:
	s_or_b64 exec, exec, s[0:1]
	scratch_load_dwordx4 v[2:5], off, off
	scratch_load_dwordx4 v[6:9], v137, off
	s_nop 0
	scratch_load_dwordx4 v[136:139], v136, off
	s_nop 0
	scratch_load_dwordx4 v[140:143], v135, off
	scratch_load_dwordx4 v[144:147], v134, off
	;; [unrolled: 1-line block ×3, first 2 shown]
	s_nop 0
	scratch_load_dwordx4 v[132:135], v132, off
	s_nop 0
	scratch_load_dwordx4 v[152:155], v131, off
	scratch_load_dwordx4 v[156:159], v130, off
	;; [unrolled: 1-line block ×3, first 2 shown]
	s_nop 0
	scratch_load_dwordx4 v[128:131], v128, off
	s_waitcnt vmcnt(10)
	global_store_dwordx4 v[12:13], v[2:5], off
	scratch_load_dwordx4 v[2:5], v127, off
	s_nop 0
	scratch_load_dwordx4 v[164:167], v126, off
	s_waitcnt vmcnt(12)
	global_store_dwordx4 v[14:15], v[6:9], off
	scratch_load_dwordx4 v[6:9], v125, off
	;; [unrolled: 5-line block ×16, first 2 shown]
	s_nop 0
	scratch_load_dwordx4 v[124:127], v1, off
	s_waitcnt vmcnt(39)
	global_store_dwordx4 v[44:45], v[136:139], off
	s_waitcnt vmcnt(38)
	global_store_dwordx4 v[46:47], v[16:19], off
	;; [unrolled: 2-line block ×27, first 2 shown]
.LBB106_675:
	s_endpgm
	.section	.rodata,"a",@progbits
	.p2align	6, 0x0
	.amdhsa_kernel _ZN9rocsolver6v33100L18trti2_kernel_smallILi43E19rocblas_complex_numIdEPKPS3_EEv13rocblas_fill_17rocblas_diagonal_T1_iil
		.amdhsa_group_segment_fixed_size 1376
		.amdhsa_private_segment_fixed_size 704
		.amdhsa_kernarg_size 32
		.amdhsa_user_sgpr_count 2
		.amdhsa_user_sgpr_dispatch_ptr 0
		.amdhsa_user_sgpr_queue_ptr 0
		.amdhsa_user_sgpr_kernarg_segment_ptr 1
		.amdhsa_user_sgpr_dispatch_id 0
		.amdhsa_user_sgpr_kernarg_preload_length 0
		.amdhsa_user_sgpr_kernarg_preload_offset 0
		.amdhsa_user_sgpr_private_segment_size 0
		.amdhsa_uses_dynamic_stack 0
		.amdhsa_enable_private_segment 1
		.amdhsa_system_sgpr_workgroup_id_x 1
		.amdhsa_system_sgpr_workgroup_id_y 0
		.amdhsa_system_sgpr_workgroup_id_z 0
		.amdhsa_system_sgpr_workgroup_info 0
		.amdhsa_system_vgpr_workitem_id 0
		.amdhsa_next_free_vgpr 168
		.amdhsa_next_free_sgpr 12
		.amdhsa_accum_offset 168
		.amdhsa_reserve_vcc 1
		.amdhsa_float_round_mode_32 0
		.amdhsa_float_round_mode_16_64 0
		.amdhsa_float_denorm_mode_32 3
		.amdhsa_float_denorm_mode_16_64 3
		.amdhsa_dx10_clamp 1
		.amdhsa_ieee_mode 1
		.amdhsa_fp16_overflow 0
		.amdhsa_tg_split 0
		.amdhsa_exception_fp_ieee_invalid_op 0
		.amdhsa_exception_fp_denorm_src 0
		.amdhsa_exception_fp_ieee_div_zero 0
		.amdhsa_exception_fp_ieee_overflow 0
		.amdhsa_exception_fp_ieee_underflow 0
		.amdhsa_exception_fp_ieee_inexact 0
		.amdhsa_exception_int_div_zero 0
	.end_amdhsa_kernel
	.section	.text._ZN9rocsolver6v33100L18trti2_kernel_smallILi43E19rocblas_complex_numIdEPKPS3_EEv13rocblas_fill_17rocblas_diagonal_T1_iil,"axG",@progbits,_ZN9rocsolver6v33100L18trti2_kernel_smallILi43E19rocblas_complex_numIdEPKPS3_EEv13rocblas_fill_17rocblas_diagonal_T1_iil,comdat
.Lfunc_end106:
	.size	_ZN9rocsolver6v33100L18trti2_kernel_smallILi43E19rocblas_complex_numIdEPKPS3_EEv13rocblas_fill_17rocblas_diagonal_T1_iil, .Lfunc_end106-_ZN9rocsolver6v33100L18trti2_kernel_smallILi43E19rocblas_complex_numIdEPKPS3_EEv13rocblas_fill_17rocblas_diagonal_T1_iil
                                        ; -- End function
	.section	.AMDGPU.csdata,"",@progbits
; Kernel info:
; codeLenInByte = 28336
; NumSgprs: 18
; NumVgprs: 168
; NumAgprs: 0
; TotalNumVgprs: 168
; ScratchSize: 704
; MemoryBound: 0
; FloatMode: 240
; IeeeMode: 1
; LDSByteSize: 1376 bytes/workgroup (compile time only)
; SGPRBlocks: 2
; VGPRBlocks: 20
; NumSGPRsForWavesPerEU: 18
; NumVGPRsForWavesPerEU: 168
; AccumOffset: 168
; Occupancy: 3
; WaveLimiterHint : 1
; COMPUTE_PGM_RSRC2:SCRATCH_EN: 1
; COMPUTE_PGM_RSRC2:USER_SGPR: 2
; COMPUTE_PGM_RSRC2:TRAP_HANDLER: 0
; COMPUTE_PGM_RSRC2:TGID_X_EN: 1
; COMPUTE_PGM_RSRC2:TGID_Y_EN: 0
; COMPUTE_PGM_RSRC2:TGID_Z_EN: 0
; COMPUTE_PGM_RSRC2:TIDIG_COMP_CNT: 0
; COMPUTE_PGM_RSRC3_GFX90A:ACCUM_OFFSET: 41
; COMPUTE_PGM_RSRC3_GFX90A:TG_SPLIT: 0
	.section	.text._ZN9rocsolver6v33100L18trti2_kernel_smallILi44E19rocblas_complex_numIdEPKPS3_EEv13rocblas_fill_17rocblas_diagonal_T1_iil,"axG",@progbits,_ZN9rocsolver6v33100L18trti2_kernel_smallILi44E19rocblas_complex_numIdEPKPS3_EEv13rocblas_fill_17rocblas_diagonal_T1_iil,comdat
	.globl	_ZN9rocsolver6v33100L18trti2_kernel_smallILi44E19rocblas_complex_numIdEPKPS3_EEv13rocblas_fill_17rocblas_diagonal_T1_iil ; -- Begin function _ZN9rocsolver6v33100L18trti2_kernel_smallILi44E19rocblas_complex_numIdEPKPS3_EEv13rocblas_fill_17rocblas_diagonal_T1_iil
	.p2align	8
	.type	_ZN9rocsolver6v33100L18trti2_kernel_smallILi44E19rocblas_complex_numIdEPKPS3_EEv13rocblas_fill_17rocblas_diagonal_T1_iil,@function
_ZN9rocsolver6v33100L18trti2_kernel_smallILi44E19rocblas_complex_numIdEPKPS3_EEv13rocblas_fill_17rocblas_diagonal_T1_iil: ; @_ZN9rocsolver6v33100L18trti2_kernel_smallILi44E19rocblas_complex_numIdEPKPS3_EEv13rocblas_fill_17rocblas_diagonal_T1_iil
; %bb.0:
	v_cmp_gt_u32_e32 vcc, 44, v0
	s_and_saveexec_b64 s[4:5], vcc
	s_cbranch_execz .LBB107_691
; %bb.1:
	s_load_dwordx2 s[8:9], s[0:1], 0x10
	s_load_dwordx4 s[4:7], s[0:1], 0x0
	s_ashr_i32 s3, s2, 31
	s_lshl_b64 s[2:3], s[2:3], 3
	v_lshlrev_b32_e32 v100, 4, v0
	s_waitcnt lgkmcnt(0)
	s_ashr_i32 s1, s8, 31
	s_add_u32 s2, s6, s2
	s_addc_u32 s3, s7, s3
	s_load_dwordx2 s[2:3], s[2:3], 0x0
	s_mov_b32 s0, s8
	s_lshl_b64 s[0:1], s[0:1], 4
	v_mov_b32_e32 v101, 0
	v_mov_b32_e32 v1, 0
	s_waitcnt lgkmcnt(0)
	s_add_u32 s0, s2, s0
	s_addc_u32 s1, s3, s1
	s_add_i32 s2, s9, s9
	v_add_u32_e32 v6, s2, v0
	v_add_u32_e32 v10, s9, v6
	;; [unrolled: 1-line block ×6, first 2 shown]
	v_ashrrev_i32_e32 v11, 31, v10
	s_mov_b32 s2, s9
	s_ashr_i32 s3, s9, 31
	v_lshl_add_u64 v[36:37], s[0:1], 0, v[100:101]
	v_lshl_add_u64 v[28:29], v[10:11], 4, s[0:1]
	v_ashrrev_i32_e32 v15, 31, v14
	v_add_u32_e32 v10, s9, v24
	v_ashrrev_i32_e32 v7, 31, v6
	v_lshl_add_u64 v[34:35], s[2:3], 4, v[36:37]
	v_ashrrev_i32_e32 v13, 31, v12
	v_lshl_add_u64 v[22:23], v[14:15], 4, s[0:1]
	v_ashrrev_i32_e32 v17, 31, v16
	v_ashrrev_i32_e32 v25, 31, v24
	;; [unrolled: 1-line block ×3, first 2 shown]
	global_load_dwordx4 v[2:5], v100, s[0:1]
	v_lshl_add_u64 v[18:19], v[6:7], 4, s[0:1]
	global_load_dwordx4 v[6:9], v[34:35], off
	global_load_dwordx4 v[38:41], v[18:19], off
	v_lshl_add_u64 v[20:21], v[12:13], 4, s[0:1]
	global_load_dwordx4 v[42:45], v[28:29], off
	global_load_dwordx4 v[46:49], v[20:21], off
	;; [unrolled: 3-line block ×3, first 2 shown]
	v_lshl_add_u64 v[16:17], v[24:25], 4, s[0:1]
	v_lshl_add_u64 v[24:25], v[10:11], 4, s[0:1]
	global_load_dwordx4 v[58:61], v[16:17], off
	global_load_dwordx4 v[64:67], v[24:25], off
	v_add_u32_e32 v12, s9, v10
	v_add_u32_e32 v26, s9, v12
	;; [unrolled: 1-line block ×4, first 2 shown]
	v_ashrrev_i32_e32 v11, 31, v10
	v_add_u32_e32 v76, s9, v62
	v_lshl_add_u64 v[32:33], v[10:11], 4, s[0:1]
	v_add_u32_e32 v10, s9, v76
	v_add_u32_e32 v84, s9, v10
	;; [unrolled: 1-line block ×28, first 2 shown]
	v_ashrrev_i32_e32 v13, 31, v12
	v_add_u32_e32 v166, s9, v164
	v_lshl_add_u64 v[30:31], v[12:13], 4, s[0:1]
	v_add_u32_e32 v12, s9, v166
	v_ashrrev_i32_e32 v13, 31, v12
	v_ashrrev_i32_e32 v27, 31, v26
	v_lshl_add_u64 v[12:13], v[12:13], 4, s[0:1]
	v_ashrrev_i32_e32 v77, 31, v76
	v_ashrrev_i32_e32 v85, 31, v84
	;; [unrolled: 1-line block ×6, first 2 shown]
	v_lshl_add_u64 v[26:27], v[26:27], 4, s[0:1]
	global_load_dwordx4 v[68:71], v[30:31], off
	global_load_dwordx4 v[72:75], v[26:27], off
	v_ashrrev_i32_e32 v63, 31, v62
	global_load_dwordx4 v[102:105], v[12:13], off
	v_ashrrev_i32_e32 v11, 31, v10
	v_ashrrev_i32_e32 v87, 31, v86
	s_waitcnt vmcnt(11)
	scratch_store_dwordx4 off, v[2:5], off
	s_waitcnt vmcnt(11)
	scratch_store_dwordx4 off, v[6:9], off offset:16
	s_waitcnt vmcnt(11)
	scratch_store_dwordx4 off, v[38:41], off offset:32
	;; [unrolled: 2-line block ×7, first 2 shown]
	v_lshl_add_u64 v[50:51], v[76:77], 4, s[0:1]
	v_lshl_add_u64 v[46:47], v[84:85], 4, s[0:1]
	;; [unrolled: 1-line block ×3, first 2 shown]
	v_ashrrev_i32_e32 v95, 31, v94
	v_lshl_add_u64 v[52:53], v[106:107], 4, s[0:1]
	v_ashrrev_i32_e32 v109, 31, v108
	v_lshl_add_u64 v[56:57], v[114:115], 4, s[0:1]
	;; [unrolled: 2-line block ×3, first 2 shown]
	v_ashrrev_i32_e32 v125, 31, v124
	v_ashrrev_i32_e32 v131, 31, v130
	v_lshl_add_u64 v[48:49], v[62:63], 4, s[0:1]
	global_load_dwordx4 v[2:5], v[32:33], off
	global_load_dwordx4 v[6:9], v[48:49], off
	v_lshl_add_u64 v[42:43], v[10:11], 4, s[0:1]
	global_load_dwordx4 v[76:79], v[50:51], off
	global_load_dwordx4 v[80:83], v[42:43], off
	;; [unrolled: 3-line block ×7, first 2 shown]
	v_ashrrev_i32_e32 v135, 31, v134
	s_waitcnt vmcnt(25)
	scratch_store_dwordx4 off, v[64:67], off offset:128
	v_ashrrev_i32_e32 v137, 31, v136
	v_ashrrev_i32_e32 v141, 31, v140
	v_lshl_add_u64 v[64:65], v[130:131], 4, s[0:1]
	global_load_dwordx4 v[130:133], v[64:65], off
	v_ashrrev_i32_e32 v145, 31, v144
	v_ashrrev_i32_e32 v149, 31, v148
	;; [unrolled: 1-line block ×6, first 2 shown]
	v_lshl_add_u64 v[66:67], v[134:135], 4, s[0:1]
	v_ashrrev_i32_e32 v139, 31, v138
	v_ashrrev_i32_e32 v143, 31, v142
	;; [unrolled: 1-line block ×8, first 2 shown]
	s_cmpk_lg_i32 s5, 0x84
	s_cselect_b64 s[6:7], -1, 0
	s_cmpk_eq_i32 s5, 0x84
	s_waitcnt vmcnt(26)
	scratch_store_dwordx4 off, v[68:71], off offset:144
	s_waitcnt vmcnt(26)
	scratch_store_dwordx4 off, v[72:75], off offset:160
	;; [unrolled: 2-line block ×16, first 2 shown]
	v_lshl_add_u64 v[68:69], v[136:137], 4, s[0:1]
	v_lshl_add_u64 v[72:73], v[140:141], 4, s[0:1]
	;; [unrolled: 1-line block ×5, first 2 shown]
	s_waitcnt vmcnt(16)
	scratch_store_dwordx4 off, v[130:133], off offset:400
	v_lshl_add_u64 v[88:89], v[156:157], 4, s[0:1]
	v_lshl_add_u64 v[92:93], v[160:161], 4, s[0:1]
	;; [unrolled: 1-line block ×3, first 2 shown]
	global_load_dwordx4 v[2:5], v[66:67], off
	v_lshl_add_u64 v[70:71], v[138:139], 4, s[0:1]
	global_load_dwordx4 v[6:9], v[68:69], off
	global_load_dwordx4 v[106:109], v[70:71], off
	v_lshl_add_u64 v[74:75], v[142:143], 4, s[0:1]
	global_load_dwordx4 v[110:113], v[72:73], off
	;; [unrolled: 3-line block ×8, first 2 shown]
	global_load_dwordx4 v[162:165], v[98:99], off
	s_waitcnt vmcnt(16)
	scratch_store_dwordx4 off, v[2:5], off offset:416
	s_waitcnt vmcnt(16)
	scratch_store_dwordx4 off, v[6:9], off offset:432
	;; [unrolled: 2-line block ×17, first 2 shown]
	scratch_store_dwordx4 off, v[102:105], off offset:688
	s_cbranch_scc1 .LBB107_7
; %bb.2:
	scratch_load_dwordx4 v[8:11], v100, off
                                        ; implicit-def: $vgpr6_vgpr7
	s_waitcnt vmcnt(0)
	v_xor_b32_e32 v3, 0x80000000, v9
	v_cmp_gt_f64_e32 vcc, 0, v[8:9]
	v_xor_b32_e32 v4, 0x80000000, v11
	v_mov_b32_e32 v2, v8
	v_cndmask_b32_e32 v3, v9, v3, vcc
	v_cmp_gt_f64_e32 vcc, 0, v[10:11]
	s_nop 1
	v_cndmask_b32_e32 v5, v11, v4, vcc
	v_mov_b32_e32 v4, v10
	v_cmp_ngt_f64_e32 vcc, v[2:3], v[4:5]
                                        ; implicit-def: $vgpr2_vgpr3
	s_and_saveexec_b64 s[0:1], vcc
	s_xor_b64 s[0:1], exec, s[0:1]
	s_cbranch_execz .LBB107_4
; %bb.3:
	v_div_scale_f64 v[2:3], s[2:3], v[10:11], v[10:11], v[8:9]
	v_rcp_f64_e32 v[4:5], v[2:3]
	v_div_scale_f64 v[6:7], vcc, v[8:9], v[10:11], v[8:9]
	v_fma_f64 v[102:103], -v[2:3], v[4:5], 1.0
	v_fmac_f64_e32 v[4:5], v[4:5], v[102:103]
	v_fma_f64 v[102:103], -v[2:3], v[4:5], 1.0
	v_fmac_f64_e32 v[4:5], v[4:5], v[102:103]
	v_mul_f64 v[102:103], v[6:7], v[4:5]
	v_fma_f64 v[2:3], -v[2:3], v[102:103], v[6:7]
	v_div_fmas_f64 v[2:3], v[2:3], v[4:5], v[102:103]
	v_div_fixup_f64 v[2:3], v[2:3], v[10:11], v[8:9]
	v_fmac_f64_e32 v[10:11], v[8:9], v[2:3]
	v_div_scale_f64 v[4:5], s[2:3], v[10:11], v[10:11], 1.0
	v_rcp_f64_e32 v[6:7], v[4:5]
	s_nop 0
	v_fma_f64 v[8:9], -v[4:5], v[6:7], 1.0
	v_fmac_f64_e32 v[6:7], v[6:7], v[8:9]
	v_fma_f64 v[8:9], -v[4:5], v[6:7], 1.0
	v_fmac_f64_e32 v[6:7], v[6:7], v[8:9]
	v_div_scale_f64 v[8:9], vcc, 1.0, v[10:11], 1.0
	v_mul_f64 v[102:103], v[8:9], v[6:7]
	v_fma_f64 v[4:5], -v[4:5], v[102:103], v[8:9]
                                        ; implicit-def: $vgpr8_vgpr9
	s_nop 1
	v_div_fmas_f64 v[4:5], v[4:5], v[6:7], v[102:103]
	v_div_fixup_f64 v[4:5], v[4:5], v[10:11], 1.0
	v_mul_f64 v[2:3], v[2:3], v[4:5]
	v_xor_b32_e32 v5, 0x80000000, v5
	v_xor_b32_e32 v7, 0x80000000, v3
	v_mov_b32_e32 v6, v2
.LBB107_4:
	s_or_saveexec_b64 s[0:1], s[0:1]
	v_add_u32_e32 v101, 0, v100
	s_xor_b64 exec, exec, s[0:1]
	s_cbranch_execz .LBB107_6
; %bb.5:
	v_div_scale_f64 v[2:3], s[2:3], v[8:9], v[8:9], v[10:11]
	v_rcp_f64_e32 v[4:5], v[2:3]
	v_div_scale_f64 v[6:7], vcc, v[10:11], v[8:9], v[10:11]
	v_fma_f64 v[102:103], -v[2:3], v[4:5], 1.0
	v_fmac_f64_e32 v[4:5], v[4:5], v[102:103]
	v_fma_f64 v[102:103], -v[2:3], v[4:5], 1.0
	v_fmac_f64_e32 v[4:5], v[4:5], v[102:103]
	v_mul_f64 v[102:103], v[6:7], v[4:5]
	v_fma_f64 v[2:3], -v[2:3], v[102:103], v[6:7]
	v_div_fmas_f64 v[2:3], v[2:3], v[4:5], v[102:103]
	v_div_fixup_f64 v[4:5], v[2:3], v[8:9], v[10:11]
	v_fmac_f64_e32 v[8:9], v[10:11], v[4:5]
	v_div_scale_f64 v[2:3], s[2:3], v[8:9], v[8:9], 1.0
	v_rcp_f64_e32 v[6:7], v[2:3]
	s_nop 0
	v_fma_f64 v[10:11], -v[2:3], v[6:7], 1.0
	v_fmac_f64_e32 v[6:7], v[6:7], v[10:11]
	v_fma_f64 v[10:11], -v[2:3], v[6:7], 1.0
	v_fmac_f64_e32 v[6:7], v[6:7], v[10:11]
	v_div_scale_f64 v[10:11], vcc, 1.0, v[8:9], 1.0
	v_mul_f64 v[102:103], v[10:11], v[6:7]
	v_fma_f64 v[2:3], -v[2:3], v[102:103], v[10:11]
	s_nop 1
	v_div_fmas_f64 v[2:3], v[2:3], v[6:7], v[102:103]
	v_div_fixup_f64 v[2:3], v[2:3], v[8:9], 1.0
	v_xor_b32_e32 v7, 0x80000000, v3
	v_mov_b32_e32 v6, v2
	v_mul_f64 v[4:5], v[4:5], -v[2:3]
.LBB107_6:
	s_or_b64 exec, exec, s[0:1]
	scratch_store_dwordx4 v101, v[2:5], off
	s_nop 1
	v_xor_b32_e32 v5, 0x80000000, v5
	s_branch .LBB107_8
.LBB107_7:
	v_mov_b64_e32 v[4:5], 0
	v_mov_b64_e32 v[6:7], -1.0
.LBB107_8:
	v_mov_b32_e32 v8, v4
	v_mov_b32_e32 v9, v5
	v_add_u32_e32 v140, 16, v1
	v_add_u32_e32 v139, 32, v1
	;; [unrolled: 1-line block ×43, first 2 shown]
	ds_write_b128 v100, v[6:9]
	s_cmpk_eq_i32 s4, 0x79
	v_add_u32_e32 v9, 0x2c0, v100
	v_add_u32_e32 v8, 0, v100
	s_cbranch_scc1 .LBB107_348
; %bb.9:
	scratch_load_dwordx4 v[2:5], v10, off
	v_cmp_eq_u32_e64 s[0:1], 43, v0
	s_waitcnt vmcnt(0)
	ds_write_b128 v9, v[2:5]
	s_waitcnt lgkmcnt(0)
	; wave barrier
	s_waitcnt lgkmcnt(0)
	s_and_saveexec_b64 s[2:3], s[0:1]
	s_cbranch_execz .LBB107_13
; %bb.10:
	ds_read_b128 v[2:5], v9
	s_andn2_b64 vcc, exec, s[6:7]
	s_cbranch_vccnz .LBB107_12
; %bb.11:
	scratch_load_dwordx4 v[142:145], v8, off
	s_waitcnt vmcnt(0) lgkmcnt(0)
	v_mul_f64 v[6:7], v[4:5], v[144:145]
	v_mul_f64 v[144:145], v[2:3], v[144:145]
	v_fmac_f64_e32 v[144:145], v[4:5], v[142:143]
	v_fma_f64 v[2:3], v[2:3], v[142:143], -v[6:7]
	v_mov_b64_e32 v[4:5], v[144:145]
.LBB107_12:
	v_mov_b32_e32 v6, 0
	ds_read_b128 v[142:145], v6 offset:672
	s_waitcnt lgkmcnt(0)
	v_mul_f64 v[6:7], v[4:5], v[144:145]
	v_mul_f64 v[146:147], v[2:3], v[144:145]
	v_fma_f64 v[144:145], v[2:3], v[142:143], -v[6:7]
	v_fmac_f64_e32 v[146:147], v[4:5], v[142:143]
	scratch_store_dwordx4 off, v[144:147], off offset:672
.LBB107_13:
	s_or_b64 exec, exec, s[2:3]
	scratch_load_dwordx4 v[2:5], v11, off
	v_cmp_lt_u32_e64 s[2:3], 41, v0
	s_waitcnt vmcnt(0)
	ds_write_b128 v9, v[2:5]
	s_waitcnt lgkmcnt(0)
	; wave barrier
	s_waitcnt lgkmcnt(0)
	s_and_saveexec_b64 s[4:5], s[2:3]
	s_cbranch_execz .LBB107_19
; %bb.14:
	ds_read_b128 v[2:5], v9
	s_andn2_b64 vcc, exec, s[6:7]
	s_cbranch_vccnz .LBB107_16
; %bb.15:
	scratch_load_dwordx4 v[142:145], v8, off
	s_waitcnt vmcnt(0) lgkmcnt(0)
	v_mul_f64 v[6:7], v[4:5], v[144:145]
	v_mul_f64 v[144:145], v[2:3], v[144:145]
	v_fmac_f64_e32 v[144:145], v[4:5], v[142:143]
	v_fma_f64 v[2:3], v[2:3], v[142:143], -v[6:7]
	v_mov_b64_e32 v[4:5], v[144:145]
.LBB107_16:
	s_and_saveexec_b64 s[8:9], s[0:1]
	s_cbranch_execz .LBB107_18
; %bb.17:
	scratch_load_dwordx4 v[142:145], off, off offset:672
	v_mov_b32_e32 v6, 0
	ds_read_b128 v[146:149], v6 offset:1376
	s_waitcnt vmcnt(0) lgkmcnt(0)
	v_mul_f64 v[6:7], v[146:147], v[144:145]
	v_mul_f64 v[144:145], v[148:149], v[144:145]
	v_fmac_f64_e32 v[6:7], v[148:149], v[142:143]
	v_fma_f64 v[142:143], v[146:147], v[142:143], -v[144:145]
	v_add_f64 v[4:5], v[4:5], v[6:7]
	v_add_f64 v[2:3], v[2:3], v[142:143]
.LBB107_18:
	s_or_b64 exec, exec, s[8:9]
	v_mov_b32_e32 v6, 0
	ds_read_b128 v[142:145], v6 offset:656
	s_waitcnt lgkmcnt(0)
	v_mul_f64 v[6:7], v[4:5], v[144:145]
	v_mul_f64 v[146:147], v[2:3], v[144:145]
	v_fma_f64 v[144:145], v[2:3], v[142:143], -v[6:7]
	v_fmac_f64_e32 v[146:147], v[4:5], v[142:143]
	scratch_store_dwordx4 off, v[144:147], off offset:656
.LBB107_19:
	s_or_b64 exec, exec, s[4:5]
	scratch_load_dwordx4 v[2:5], v101, off
	v_cmp_lt_u32_e64 s[0:1], 40, v0
	s_waitcnt vmcnt(0)
	ds_write_b128 v9, v[2:5]
	s_waitcnt lgkmcnt(0)
	; wave barrier
	s_waitcnt lgkmcnt(0)
	s_and_saveexec_b64 s[4:5], s[0:1]
	s_cbranch_execz .LBB107_27
; %bb.20:
	ds_read_b128 v[2:5], v9
	s_andn2_b64 vcc, exec, s[6:7]
	s_cbranch_vccnz .LBB107_22
; %bb.21:
	scratch_load_dwordx4 v[142:145], v8, off
	s_waitcnt vmcnt(0) lgkmcnt(0)
	v_mul_f64 v[6:7], v[4:5], v[144:145]
	v_mul_f64 v[144:145], v[2:3], v[144:145]
	v_fmac_f64_e32 v[144:145], v[4:5], v[142:143]
	v_fma_f64 v[2:3], v[2:3], v[142:143], -v[6:7]
	v_mov_b64_e32 v[4:5], v[144:145]
.LBB107_22:
	s_and_saveexec_b64 s[8:9], s[2:3]
	s_cbranch_execz .LBB107_26
; %bb.23:
	v_mov_b32_e32 v7, 0
	v_subrev_u32_e32 v6, 41, v0
	v_add_u32_e32 v7, 0x298, v7
	s_movk_i32 s10, 0x550
	s_mov_b64 s[2:3], 0
.LBB107_24:                             ; =>This Inner Loop Header: Depth=1
	v_add_u32_e32 v141, -8, v7
	scratch_load_dwordx4 v[142:145], v141, off
	v_mov_b32_e32 v141, s10
	ds_read_b128 v[146:149], v141
	v_add_u32_e32 v6, -1, v6
	s_add_i32 s10, s10, 16
	v_cmp_eq_u32_e32 vcc, 0, v6
	v_add_u32_e32 v7, 16, v7
	s_or_b64 s[2:3], vcc, s[2:3]
	s_waitcnt vmcnt(0) lgkmcnt(0)
	v_mul_f64 v[150:151], v[148:149], v[144:145]
	v_mul_f64 v[144:145], v[146:147], v[144:145]
	v_fma_f64 v[146:147], v[146:147], v[142:143], -v[150:151]
	v_fmac_f64_e32 v[144:145], v[148:149], v[142:143]
	v_add_f64 v[2:3], v[2:3], v[146:147]
	v_add_f64 v[4:5], v[4:5], v[144:145]
	s_andn2_b64 exec, exec, s[2:3]
	s_cbranch_execnz .LBB107_24
; %bb.25:
	s_or_b64 exec, exec, s[2:3]
.LBB107_26:
	s_or_b64 exec, exec, s[8:9]
	v_mov_b32_e32 v6, 0
	ds_read_b128 v[142:145], v6 offset:640
	s_waitcnt lgkmcnt(0)
	v_mul_f64 v[6:7], v[4:5], v[144:145]
	v_mul_f64 v[146:147], v[2:3], v[144:145]
	v_fma_f64 v[144:145], v[2:3], v[142:143], -v[6:7]
	v_fmac_f64_e32 v[146:147], v[4:5], v[142:143]
	scratch_store_dwordx4 off, v[144:147], off offset:640
.LBB107_27:
	s_or_b64 exec, exec, s[4:5]
	scratch_load_dwordx4 v[2:5], v102, off
	v_cmp_lt_u32_e64 s[2:3], 39, v0
	s_waitcnt vmcnt(0)
	ds_write_b128 v9, v[2:5]
	s_waitcnt lgkmcnt(0)
	; wave barrier
	s_waitcnt lgkmcnt(0)
	s_and_saveexec_b64 s[4:5], s[2:3]
	s_cbranch_execz .LBB107_35
; %bb.28:
	ds_read_b128 v[2:5], v9
	s_andn2_b64 vcc, exec, s[6:7]
	s_cbranch_vccnz .LBB107_30
; %bb.29:
	scratch_load_dwordx4 v[142:145], v8, off
	s_waitcnt vmcnt(0) lgkmcnt(0)
	v_mul_f64 v[6:7], v[4:5], v[144:145]
	v_mul_f64 v[144:145], v[2:3], v[144:145]
	v_fmac_f64_e32 v[144:145], v[4:5], v[142:143]
	v_fma_f64 v[2:3], v[2:3], v[142:143], -v[6:7]
	v_mov_b64_e32 v[4:5], v[144:145]
.LBB107_30:
	s_and_saveexec_b64 s[8:9], s[0:1]
	s_cbranch_execz .LBB107_34
; %bb.31:
	v_mov_b32_e32 v7, 0
	v_subrev_u32_e32 v6, 40, v0
	v_add_u32_e32 v7, 0x288, v7
	s_movk_i32 s10, 0x540
	s_mov_b64 s[0:1], 0
.LBB107_32:                             ; =>This Inner Loop Header: Depth=1
	v_add_u32_e32 v141, -8, v7
	scratch_load_dwordx4 v[142:145], v141, off
	v_mov_b32_e32 v141, s10
	ds_read_b128 v[146:149], v141
	v_add_u32_e32 v6, -1, v6
	s_add_i32 s10, s10, 16
	v_cmp_eq_u32_e32 vcc, 0, v6
	v_add_u32_e32 v7, 16, v7
	s_or_b64 s[0:1], vcc, s[0:1]
	s_waitcnt vmcnt(0) lgkmcnt(0)
	v_mul_f64 v[150:151], v[148:149], v[144:145]
	v_mul_f64 v[144:145], v[146:147], v[144:145]
	v_fma_f64 v[146:147], v[146:147], v[142:143], -v[150:151]
	v_fmac_f64_e32 v[144:145], v[148:149], v[142:143]
	v_add_f64 v[2:3], v[2:3], v[146:147]
	v_add_f64 v[4:5], v[4:5], v[144:145]
	s_andn2_b64 exec, exec, s[0:1]
	s_cbranch_execnz .LBB107_32
; %bb.33:
	s_or_b64 exec, exec, s[0:1]
.LBB107_34:
	s_or_b64 exec, exec, s[8:9]
	v_mov_b32_e32 v6, 0
	ds_read_b128 v[142:145], v6 offset:624
	s_waitcnt lgkmcnt(0)
	v_mul_f64 v[6:7], v[4:5], v[144:145]
	v_mul_f64 v[146:147], v[2:3], v[144:145]
	v_fma_f64 v[144:145], v[2:3], v[142:143], -v[6:7]
	v_fmac_f64_e32 v[146:147], v[4:5], v[142:143]
	scratch_store_dwordx4 off, v[144:147], off offset:624
.LBB107_35:
	;; [unrolled: 63-line block ×10, first 2 shown]
	s_or_b64 exec, exec, s[4:5]
	scratch_load_dwordx4 v[2:5], v111, off
	v_cmp_lt_u32_e64 s[0:1], 30, v0
	s_waitcnt vmcnt(0)
	ds_write_b128 v9, v[2:5]
	s_waitcnt lgkmcnt(0)
	; wave barrier
	s_waitcnt lgkmcnt(0)
	s_and_saveexec_b64 s[4:5], s[0:1]
	s_cbranch_execz .LBB107_107
; %bb.100:
	ds_read_b128 v[2:5], v9
	s_andn2_b64 vcc, exec, s[6:7]
	s_cbranch_vccnz .LBB107_102
; %bb.101:
	scratch_load_dwordx4 v[142:145], v8, off
	s_waitcnt vmcnt(0) lgkmcnt(0)
	v_mul_f64 v[6:7], v[4:5], v[144:145]
	v_mul_f64 v[144:145], v[2:3], v[144:145]
	v_fmac_f64_e32 v[144:145], v[4:5], v[142:143]
	v_fma_f64 v[2:3], v[2:3], v[142:143], -v[6:7]
	v_mov_b64_e32 v[4:5], v[144:145]
.LBB107_102:
	s_and_saveexec_b64 s[8:9], s[2:3]
	s_cbranch_execz .LBB107_106
; %bb.103:
	v_mov_b32_e32 v7, 0
	v_subrev_u32_e32 v6, 31, v0
	v_add_u32_e32 v7, 0x1f8, v7
	s_movk_i32 s10, 0x4b0
	s_mov_b64 s[2:3], 0
.LBB107_104:                            ; =>This Inner Loop Header: Depth=1
	v_add_u32_e32 v141, -8, v7
	scratch_load_dwordx4 v[142:145], v141, off
	v_mov_b32_e32 v141, s10
	ds_read_b128 v[146:149], v141
	v_add_u32_e32 v6, -1, v6
	s_add_i32 s10, s10, 16
	v_cmp_eq_u32_e32 vcc, 0, v6
	v_add_u32_e32 v7, 16, v7
	s_or_b64 s[2:3], vcc, s[2:3]
	s_waitcnt vmcnt(0) lgkmcnt(0)
	v_mul_f64 v[150:151], v[148:149], v[144:145]
	v_mul_f64 v[144:145], v[146:147], v[144:145]
	v_fma_f64 v[146:147], v[146:147], v[142:143], -v[150:151]
	v_fmac_f64_e32 v[144:145], v[148:149], v[142:143]
	v_add_f64 v[2:3], v[2:3], v[146:147]
	v_add_f64 v[4:5], v[4:5], v[144:145]
	s_andn2_b64 exec, exec, s[2:3]
	s_cbranch_execnz .LBB107_104
; %bb.105:
	s_or_b64 exec, exec, s[2:3]
.LBB107_106:
	s_or_b64 exec, exec, s[8:9]
	v_mov_b32_e32 v6, 0
	ds_read_b128 v[142:145], v6 offset:480
	s_waitcnt lgkmcnt(0)
	v_mul_f64 v[6:7], v[4:5], v[144:145]
	v_mul_f64 v[146:147], v[2:3], v[144:145]
	v_fma_f64 v[144:145], v[2:3], v[142:143], -v[6:7]
	v_fmac_f64_e32 v[146:147], v[4:5], v[142:143]
	scratch_store_dwordx4 off, v[144:147], off offset:480
.LBB107_107:
	s_or_b64 exec, exec, s[4:5]
	scratch_load_dwordx4 v[2:5], v112, off
	v_cmp_lt_u32_e64 s[2:3], 29, v0
	s_waitcnt vmcnt(0)
	ds_write_b128 v9, v[2:5]
	s_waitcnt lgkmcnt(0)
	; wave barrier
	s_waitcnt lgkmcnt(0)
	s_and_saveexec_b64 s[4:5], s[2:3]
	s_cbranch_execz .LBB107_115
; %bb.108:
	ds_read_b128 v[2:5], v9
	s_andn2_b64 vcc, exec, s[6:7]
	s_cbranch_vccnz .LBB107_110
; %bb.109:
	scratch_load_dwordx4 v[142:145], v8, off
	s_waitcnt vmcnt(0) lgkmcnt(0)
	v_mul_f64 v[6:7], v[4:5], v[144:145]
	v_mul_f64 v[144:145], v[2:3], v[144:145]
	v_fmac_f64_e32 v[144:145], v[4:5], v[142:143]
	v_fma_f64 v[2:3], v[2:3], v[142:143], -v[6:7]
	v_mov_b64_e32 v[4:5], v[144:145]
.LBB107_110:
	s_and_saveexec_b64 s[8:9], s[0:1]
	s_cbranch_execz .LBB107_114
; %bb.111:
	v_mov_b32_e32 v7, 0
	v_subrev_u32_e32 v6, 30, v0
	v_add_u32_e32 v7, 0x1e8, v7
	s_movk_i32 s10, 0x4a0
	s_mov_b64 s[0:1], 0
.LBB107_112:                            ; =>This Inner Loop Header: Depth=1
	v_add_u32_e32 v141, -8, v7
	scratch_load_dwordx4 v[142:145], v141, off
	v_mov_b32_e32 v141, s10
	ds_read_b128 v[146:149], v141
	v_add_u32_e32 v6, -1, v6
	s_add_i32 s10, s10, 16
	v_cmp_eq_u32_e32 vcc, 0, v6
	v_add_u32_e32 v7, 16, v7
	s_or_b64 s[0:1], vcc, s[0:1]
	s_waitcnt vmcnt(0) lgkmcnt(0)
	v_mul_f64 v[150:151], v[148:149], v[144:145]
	v_mul_f64 v[144:145], v[146:147], v[144:145]
	v_fma_f64 v[146:147], v[146:147], v[142:143], -v[150:151]
	v_fmac_f64_e32 v[144:145], v[148:149], v[142:143]
	v_add_f64 v[2:3], v[2:3], v[146:147]
	v_add_f64 v[4:5], v[4:5], v[144:145]
	s_andn2_b64 exec, exec, s[0:1]
	s_cbranch_execnz .LBB107_112
; %bb.113:
	s_or_b64 exec, exec, s[0:1]
.LBB107_114:
	s_or_b64 exec, exec, s[8:9]
	v_mov_b32_e32 v6, 0
	ds_read_b128 v[142:145], v6 offset:464
	s_waitcnt lgkmcnt(0)
	v_mul_f64 v[6:7], v[4:5], v[144:145]
	v_mul_f64 v[146:147], v[2:3], v[144:145]
	v_fma_f64 v[144:145], v[2:3], v[142:143], -v[6:7]
	v_fmac_f64_e32 v[146:147], v[4:5], v[142:143]
	scratch_store_dwordx4 off, v[144:147], off offset:464
.LBB107_115:
	;; [unrolled: 63-line block ×15, first 2 shown]
	s_or_b64 exec, exec, s[4:5]
	scratch_load_dwordx4 v[2:5], v126, off
	v_cmp_lt_u32_e64 s[2:3], 15, v0
	s_waitcnt vmcnt(0)
	ds_write_b128 v9, v[2:5]
	s_waitcnt lgkmcnt(0)
	; wave barrier
	s_waitcnt lgkmcnt(0)
	s_and_saveexec_b64 s[4:5], s[2:3]
	s_cbranch_execz .LBB107_227
; %bb.220:
	ds_read_b128 v[2:5], v9
	s_andn2_b64 vcc, exec, s[6:7]
	s_cbranch_vccnz .LBB107_222
; %bb.221:
	scratch_load_dwordx4 v[142:145], v8, off
	s_waitcnt vmcnt(0) lgkmcnt(0)
	v_mul_f64 v[6:7], v[4:5], v[144:145]
	v_mul_f64 v[144:145], v[2:3], v[144:145]
	v_fmac_f64_e32 v[144:145], v[4:5], v[142:143]
	v_fma_f64 v[2:3], v[2:3], v[142:143], -v[6:7]
	v_mov_b64_e32 v[4:5], v[144:145]
.LBB107_222:
	s_and_saveexec_b64 s[8:9], s[0:1]
	s_cbranch_execz .LBB107_226
; %bb.223:
	v_mov_b32_e32 v7, 0
	v_add_u32_e32 v6, -16, v0
	v_add_u32_e32 v7, 0x108, v7
	s_movk_i32 s10, 0x3c0
	s_mov_b64 s[0:1], 0
.LBB107_224:                            ; =>This Inner Loop Header: Depth=1
	v_add_u32_e32 v141, -8, v7
	scratch_load_dwordx4 v[142:145], v141, off
	v_mov_b32_e32 v141, s10
	ds_read_b128 v[146:149], v141
	v_add_u32_e32 v6, -1, v6
	s_add_i32 s10, s10, 16
	v_cmp_eq_u32_e32 vcc, 0, v6
	v_add_u32_e32 v7, 16, v7
	s_or_b64 s[0:1], vcc, s[0:1]
	s_waitcnt vmcnt(0) lgkmcnt(0)
	v_mul_f64 v[150:151], v[148:149], v[144:145]
	v_mul_f64 v[144:145], v[146:147], v[144:145]
	v_fma_f64 v[146:147], v[146:147], v[142:143], -v[150:151]
	v_fmac_f64_e32 v[144:145], v[148:149], v[142:143]
	v_add_f64 v[2:3], v[2:3], v[146:147]
	v_add_f64 v[4:5], v[4:5], v[144:145]
	s_andn2_b64 exec, exec, s[0:1]
	s_cbranch_execnz .LBB107_224
; %bb.225:
	s_or_b64 exec, exec, s[0:1]
.LBB107_226:
	s_or_b64 exec, exec, s[8:9]
	v_mov_b32_e32 v6, 0
	ds_read_b128 v[142:145], v6 offset:240
	s_waitcnt lgkmcnt(0)
	v_mul_f64 v[6:7], v[4:5], v[144:145]
	v_mul_f64 v[146:147], v[2:3], v[144:145]
	v_fma_f64 v[144:145], v[2:3], v[142:143], -v[6:7]
	v_fmac_f64_e32 v[146:147], v[4:5], v[142:143]
	scratch_store_dwordx4 off, v[144:147], off offset:240
.LBB107_227:
	s_or_b64 exec, exec, s[4:5]
	scratch_load_dwordx4 v[2:5], v127, off
	v_cmp_lt_u32_e64 s[0:1], 14, v0
	s_waitcnt vmcnt(0)
	ds_write_b128 v9, v[2:5]
	s_waitcnt lgkmcnt(0)
	; wave barrier
	s_waitcnt lgkmcnt(0)
	s_and_saveexec_b64 s[4:5], s[0:1]
	s_cbranch_execz .LBB107_235
; %bb.228:
	ds_read_b128 v[2:5], v9
	s_andn2_b64 vcc, exec, s[6:7]
	s_cbranch_vccnz .LBB107_230
; %bb.229:
	scratch_load_dwordx4 v[142:145], v8, off
	s_waitcnt vmcnt(0) lgkmcnt(0)
	v_mul_f64 v[6:7], v[4:5], v[144:145]
	v_mul_f64 v[144:145], v[2:3], v[144:145]
	v_fmac_f64_e32 v[144:145], v[4:5], v[142:143]
	v_fma_f64 v[2:3], v[2:3], v[142:143], -v[6:7]
	v_mov_b64_e32 v[4:5], v[144:145]
.LBB107_230:
	s_and_saveexec_b64 s[8:9], s[2:3]
	s_cbranch_execz .LBB107_234
; %bb.231:
	v_mov_b32_e32 v7, 0
	v_add_u32_e32 v6, -15, v0
	v_add_u32_e32 v7, 0xf8, v7
	s_movk_i32 s10, 0x3b0
	s_mov_b64 s[2:3], 0
.LBB107_232:                            ; =>This Inner Loop Header: Depth=1
	v_add_u32_e32 v141, -8, v7
	scratch_load_dwordx4 v[142:145], v141, off
	v_mov_b32_e32 v141, s10
	ds_read_b128 v[146:149], v141
	v_add_u32_e32 v6, -1, v6
	s_add_i32 s10, s10, 16
	v_cmp_eq_u32_e32 vcc, 0, v6
	v_add_u32_e32 v7, 16, v7
	s_or_b64 s[2:3], vcc, s[2:3]
	s_waitcnt vmcnt(0) lgkmcnt(0)
	v_mul_f64 v[150:151], v[148:149], v[144:145]
	v_mul_f64 v[144:145], v[146:147], v[144:145]
	v_fma_f64 v[146:147], v[146:147], v[142:143], -v[150:151]
	v_fmac_f64_e32 v[144:145], v[148:149], v[142:143]
	v_add_f64 v[2:3], v[2:3], v[146:147]
	v_add_f64 v[4:5], v[4:5], v[144:145]
	s_andn2_b64 exec, exec, s[2:3]
	s_cbranch_execnz .LBB107_232
; %bb.233:
	s_or_b64 exec, exec, s[2:3]
.LBB107_234:
	s_or_b64 exec, exec, s[8:9]
	v_mov_b32_e32 v6, 0
	ds_read_b128 v[142:145], v6 offset:224
	s_waitcnt lgkmcnt(0)
	v_mul_f64 v[6:7], v[4:5], v[144:145]
	v_mul_f64 v[146:147], v[2:3], v[144:145]
	v_fma_f64 v[144:145], v[2:3], v[142:143], -v[6:7]
	v_fmac_f64_e32 v[146:147], v[4:5], v[142:143]
	scratch_store_dwordx4 off, v[144:147], off offset:224
.LBB107_235:
	;; [unrolled: 63-line block ×15, first 2 shown]
	s_or_b64 exec, exec, s[2:3]
	scratch_load_dwordx4 v[2:5], off, off
	v_cmp_ne_u32_e32 vcc, 0, v0
	s_mov_b64 s[2:3], 0
	s_mov_b64 s[4:5], 0
                                        ; implicit-def: $vgpr6_vgpr7
                                        ; implicit-def: $vgpr141
	s_waitcnt vmcnt(0)
	ds_write_b128 v9, v[2:5]
	s_waitcnt lgkmcnt(0)
	; wave barrier
	s_waitcnt lgkmcnt(0)
	s_and_saveexec_b64 s[8:9], vcc
	s_cbranch_execz .LBB107_347
; %bb.340:
	ds_read_b128 v[2:5], v9
	s_andn2_b64 vcc, exec, s[6:7]
	s_cbranch_vccnz .LBB107_342
; %bb.341:
	scratch_load_dwordx4 v[142:145], v8, off
	s_waitcnt vmcnt(0) lgkmcnt(0)
	v_mul_f64 v[6:7], v[4:5], v[144:145]
	v_mul_f64 v[144:145], v[2:3], v[144:145]
	v_fmac_f64_e32 v[144:145], v[4:5], v[142:143]
	v_fma_f64 v[2:3], v[2:3], v[142:143], -v[6:7]
	v_mov_b64_e32 v[4:5], v[144:145]
.LBB107_342:
	s_and_saveexec_b64 s[4:5], s[0:1]
	s_cbranch_execz .LBB107_346
; %bb.343:
	v_mov_b32_e32 v7, 0
	v_add_u32_e32 v6, -1, v0
	v_add_u32_e32 v7, 24, v7
	s_movk_i32 s10, 0x2d0
	s_mov_b64 s[0:1], 0
.LBB107_344:                            ; =>This Inner Loop Header: Depth=1
	v_add_u32_e32 v141, -8, v7
	scratch_load_dwordx4 v[142:145], v141, off
	v_mov_b32_e32 v141, s10
	ds_read_b128 v[146:149], v141
	v_add_u32_e32 v6, -1, v6
	s_add_i32 s10, s10, 16
	v_cmp_eq_u32_e32 vcc, 0, v6
	v_add_u32_e32 v7, 16, v7
	s_or_b64 s[0:1], vcc, s[0:1]
	s_waitcnt vmcnt(0) lgkmcnt(0)
	v_mul_f64 v[150:151], v[148:149], v[144:145]
	v_mul_f64 v[144:145], v[146:147], v[144:145]
	v_fma_f64 v[146:147], v[146:147], v[142:143], -v[150:151]
	v_fmac_f64_e32 v[144:145], v[148:149], v[142:143]
	v_add_f64 v[2:3], v[2:3], v[146:147]
	v_add_f64 v[4:5], v[4:5], v[144:145]
	s_andn2_b64 exec, exec, s[0:1]
	s_cbranch_execnz .LBB107_344
; %bb.345:
	s_or_b64 exec, exec, s[0:1]
.LBB107_346:
	s_or_b64 exec, exec, s[4:5]
	v_mov_b32_e32 v6, 0
	ds_read_b128 v[142:145], v6
	v_mov_b32_e32 v6, 0
	v_or_b32_e32 v141, 8, v6
	s_mov_b64 s[4:5], exec
	s_waitcnt lgkmcnt(0)
	v_mul_f64 v[146:147], v[4:5], v[144:145]
	v_mul_f64 v[6:7], v[2:3], v[144:145]
	v_fma_f64 v[2:3], v[2:3], v[142:143], -v[146:147]
	v_fmac_f64_e32 v[6:7], v[4:5], v[142:143]
	scratch_store_dwordx2 off, v[2:3], off
.LBB107_347:
	s_or_b64 exec, exec, s[8:9]
	s_and_b64 vcc, exec, s[2:3]
	s_cbranch_vccnz .LBB107_349
	s_branch .LBB107_688
.LBB107_348:
	s_mov_b64 s[4:5], 0
                                        ; implicit-def: $vgpr6_vgpr7
                                        ; implicit-def: $vgpr141
	s_cbranch_execz .LBB107_688
.LBB107_349:
	scratch_load_dwordx4 v[2:5], v140, off
	v_cndmask_b32_e64 v6, 0, 1, s[6:7]
	v_cmp_eq_u32_e64 s[2:3], 0, v0
	v_cmp_ne_u32_e64 s[0:1], 1, v6
	s_waitcnt vmcnt(0)
	ds_write_b128 v9, v[2:5]
	s_waitcnt lgkmcnt(0)
	; wave barrier
	s_waitcnt lgkmcnt(0)
	s_and_saveexec_b64 s[6:7], s[2:3]
	s_cbranch_execz .LBB107_353
; %bb.350:
	ds_read_b128 v[2:5], v9
	s_and_b64 vcc, exec, s[0:1]
	s_cbranch_vccnz .LBB107_352
; %bb.351:
	scratch_load_dwordx4 v[142:145], v8, off
	s_waitcnt vmcnt(0) lgkmcnt(0)
	v_mul_f64 v[6:7], v[4:5], v[144:145]
	v_mul_f64 v[144:145], v[2:3], v[144:145]
	v_fmac_f64_e32 v[144:145], v[4:5], v[142:143]
	v_fma_f64 v[2:3], v[2:3], v[142:143], -v[6:7]
	v_mov_b64_e32 v[4:5], v[144:145]
.LBB107_352:
	v_mov_b32_e32 v6, 0
	ds_read_b128 v[142:145], v6 offset:16
	s_waitcnt lgkmcnt(0)
	v_mul_f64 v[6:7], v[4:5], v[144:145]
	v_mul_f64 v[146:147], v[2:3], v[144:145]
	v_fma_f64 v[144:145], v[2:3], v[142:143], -v[6:7]
	v_fmac_f64_e32 v[146:147], v[4:5], v[142:143]
	scratch_store_dwordx4 off, v[144:147], off offset:16
.LBB107_353:
	s_or_b64 exec, exec, s[6:7]
	scratch_load_dwordx4 v[2:5], v139, off
	v_cmp_gt_u32_e32 vcc, 2, v0
	s_waitcnt vmcnt(0)
	ds_write_b128 v9, v[2:5]
	s_waitcnt lgkmcnt(0)
	; wave barrier
	s_waitcnt lgkmcnt(0)
	s_and_saveexec_b64 s[6:7], vcc
	s_cbranch_execz .LBB107_359
; %bb.354:
	ds_read_b128 v[2:5], v9
	s_and_b64 vcc, exec, s[0:1]
	s_cbranch_vccnz .LBB107_356
; %bb.355:
	scratch_load_dwordx4 v[142:145], v8, off
	s_waitcnt vmcnt(0) lgkmcnt(0)
	v_mul_f64 v[6:7], v[4:5], v[144:145]
	v_mul_f64 v[144:145], v[2:3], v[144:145]
	v_fmac_f64_e32 v[144:145], v[4:5], v[142:143]
	v_fma_f64 v[2:3], v[2:3], v[142:143], -v[6:7]
	v_mov_b64_e32 v[4:5], v[144:145]
.LBB107_356:
	s_and_saveexec_b64 s[8:9], s[2:3]
	s_cbranch_execz .LBB107_358
; %bb.357:
	scratch_load_dwordx4 v[142:145], v8, off offset:16
	ds_read_b128 v[146:149], v9 offset:16
	s_waitcnt vmcnt(0) lgkmcnt(0)
	v_mul_f64 v[6:7], v[148:149], v[144:145]
	v_mul_f64 v[144:145], v[146:147], v[144:145]
	v_fma_f64 v[6:7], v[146:147], v[142:143], -v[6:7]
	v_fmac_f64_e32 v[144:145], v[148:149], v[142:143]
	v_add_f64 v[2:3], v[2:3], v[6:7]
	v_add_f64 v[4:5], v[4:5], v[144:145]
.LBB107_358:
	s_or_b64 exec, exec, s[8:9]
	v_mov_b32_e32 v6, 0
	ds_read_b128 v[142:145], v6 offset:32
	s_waitcnt lgkmcnt(0)
	v_mul_f64 v[6:7], v[4:5], v[144:145]
	v_mul_f64 v[146:147], v[2:3], v[144:145]
	v_fma_f64 v[144:145], v[2:3], v[142:143], -v[6:7]
	v_fmac_f64_e32 v[146:147], v[4:5], v[142:143]
	scratch_store_dwordx4 off, v[144:147], off offset:32
.LBB107_359:
	s_or_b64 exec, exec, s[6:7]
	scratch_load_dwordx4 v[2:5], v138, off
	v_cmp_gt_u32_e32 vcc, 3, v0
	s_waitcnt vmcnt(0)
	ds_write_b128 v9, v[2:5]
	s_waitcnt lgkmcnt(0)
	; wave barrier
	s_waitcnt lgkmcnt(0)
	s_and_saveexec_b64 s[6:7], vcc
	s_cbranch_execz .LBB107_367
; %bb.360:
	ds_read_b128 v[2:5], v9
	s_and_b64 vcc, exec, s[0:1]
	s_cbranch_vccnz .LBB107_362
; %bb.361:
	scratch_load_dwordx4 v[142:145], v8, off
	s_waitcnt vmcnt(0) lgkmcnt(0)
	v_mul_f64 v[6:7], v[4:5], v[144:145]
	v_mul_f64 v[144:145], v[2:3], v[144:145]
	v_fmac_f64_e32 v[144:145], v[4:5], v[142:143]
	v_fma_f64 v[2:3], v[2:3], v[142:143], -v[6:7]
	v_mov_b64_e32 v[4:5], v[144:145]
.LBB107_362:
	v_cmp_ne_u32_e32 vcc, 2, v0
	s_and_saveexec_b64 s[8:9], vcc
	s_cbranch_execz .LBB107_366
; %bb.363:
	scratch_load_dwordx4 v[142:145], v8, off offset:16
	ds_read_b128 v[146:149], v9 offset:16
	s_waitcnt vmcnt(0) lgkmcnt(0)
	v_mul_f64 v[6:7], v[148:149], v[144:145]
	v_mul_f64 v[144:145], v[146:147], v[144:145]
	v_fma_f64 v[6:7], v[146:147], v[142:143], -v[6:7]
	v_fmac_f64_e32 v[144:145], v[148:149], v[142:143]
	v_add_f64 v[2:3], v[2:3], v[6:7]
	v_add_f64 v[4:5], v[4:5], v[144:145]
	s_and_saveexec_b64 s[10:11], s[2:3]
	s_cbranch_execz .LBB107_365
; %bb.364:
	scratch_load_dwordx4 v[142:145], off, off offset:32
	v_mov_b32_e32 v6, 0
	ds_read_b128 v[146:149], v6 offset:736
	s_waitcnt vmcnt(0) lgkmcnt(0)
	v_mul_f64 v[6:7], v[146:147], v[144:145]
	v_mul_f64 v[144:145], v[148:149], v[144:145]
	v_fmac_f64_e32 v[6:7], v[148:149], v[142:143]
	v_fma_f64 v[142:143], v[146:147], v[142:143], -v[144:145]
	v_add_f64 v[4:5], v[4:5], v[6:7]
	v_add_f64 v[2:3], v[2:3], v[142:143]
.LBB107_365:
	s_or_b64 exec, exec, s[10:11]
.LBB107_366:
	s_or_b64 exec, exec, s[8:9]
	v_mov_b32_e32 v6, 0
	ds_read_b128 v[142:145], v6 offset:48
	s_waitcnt lgkmcnt(0)
	v_mul_f64 v[6:7], v[4:5], v[144:145]
	v_mul_f64 v[146:147], v[2:3], v[144:145]
	v_fma_f64 v[144:145], v[2:3], v[142:143], -v[6:7]
	v_fmac_f64_e32 v[146:147], v[4:5], v[142:143]
	scratch_store_dwordx4 off, v[144:147], off offset:48
.LBB107_367:
	s_or_b64 exec, exec, s[6:7]
	scratch_load_dwordx4 v[2:5], v137, off
	v_cmp_gt_u32_e32 vcc, 4, v0
	s_waitcnt vmcnt(0)
	ds_write_b128 v9, v[2:5]
	s_waitcnt lgkmcnt(0)
	; wave barrier
	s_waitcnt lgkmcnt(0)
	s_and_saveexec_b64 s[2:3], vcc
	s_cbranch_execz .LBB107_375
; %bb.368:
	ds_read_b128 v[2:5], v9
	s_and_b64 vcc, exec, s[0:1]
	s_cbranch_vccnz .LBB107_370
; %bb.369:
	scratch_load_dwordx4 v[142:145], v8, off
	s_waitcnt vmcnt(0) lgkmcnt(0)
	v_mul_f64 v[6:7], v[4:5], v[144:145]
	v_mul_f64 v[144:145], v[2:3], v[144:145]
	v_fmac_f64_e32 v[144:145], v[4:5], v[142:143]
	v_fma_f64 v[2:3], v[2:3], v[142:143], -v[6:7]
	v_mov_b64_e32 v[4:5], v[144:145]
.LBB107_370:
	v_cmp_ne_u32_e32 vcc, 3, v0
	s_and_saveexec_b64 s[6:7], vcc
	s_cbranch_execz .LBB107_374
; %bb.371:
	v_mov_b32_e32 v7, 0
	v_add_u32_e32 v6, 0x2d0, v100
	v_add3_u32 v7, v100, v7, 24
	s_mov_b64 s[8:9], 0
	v_mov_b32_e32 v141, v0
.LBB107_372:                            ; =>This Inner Loop Header: Depth=1
	v_add_u32_e32 v142, -8, v7
	scratch_load_dwordx4 v[142:145], v142, off
	ds_read_b128 v[146:149], v6
	v_add_u32_e32 v141, 1, v141
	v_cmp_lt_u32_e32 vcc, 2, v141
	v_add_u32_e32 v6, 16, v6
	v_add_u32_e32 v7, 16, v7
	s_or_b64 s[8:9], vcc, s[8:9]
	s_waitcnt vmcnt(0) lgkmcnt(0)
	v_mul_f64 v[150:151], v[148:149], v[144:145]
	v_mul_f64 v[144:145], v[146:147], v[144:145]
	v_fma_f64 v[146:147], v[146:147], v[142:143], -v[150:151]
	v_fmac_f64_e32 v[144:145], v[148:149], v[142:143]
	v_add_f64 v[2:3], v[2:3], v[146:147]
	v_add_f64 v[4:5], v[4:5], v[144:145]
	s_andn2_b64 exec, exec, s[8:9]
	s_cbranch_execnz .LBB107_372
; %bb.373:
	s_or_b64 exec, exec, s[8:9]
.LBB107_374:
	s_or_b64 exec, exec, s[6:7]
	v_mov_b32_e32 v6, 0
	ds_read_b128 v[142:145], v6 offset:64
	s_waitcnt lgkmcnt(0)
	v_mul_f64 v[6:7], v[4:5], v[144:145]
	v_mul_f64 v[146:147], v[2:3], v[144:145]
	v_fma_f64 v[144:145], v[2:3], v[142:143], -v[6:7]
	v_fmac_f64_e32 v[146:147], v[4:5], v[142:143]
	scratch_store_dwordx4 off, v[144:147], off offset:64
.LBB107_375:
	s_or_b64 exec, exec, s[2:3]
	scratch_load_dwordx4 v[2:5], v136, off
	v_cmp_gt_u32_e32 vcc, 5, v0
	s_waitcnt vmcnt(0)
	ds_write_b128 v9, v[2:5]
	s_waitcnt lgkmcnt(0)
	; wave barrier
	s_waitcnt lgkmcnt(0)
	s_and_saveexec_b64 s[2:3], vcc
	s_cbranch_execz .LBB107_383
; %bb.376:
	ds_read_b128 v[2:5], v9
	s_and_b64 vcc, exec, s[0:1]
	s_cbranch_vccnz .LBB107_378
; %bb.377:
	scratch_load_dwordx4 v[142:145], v8, off
	s_waitcnt vmcnt(0) lgkmcnt(0)
	v_mul_f64 v[6:7], v[4:5], v[144:145]
	v_mul_f64 v[144:145], v[2:3], v[144:145]
	v_fmac_f64_e32 v[144:145], v[4:5], v[142:143]
	v_fma_f64 v[2:3], v[2:3], v[142:143], -v[6:7]
	v_mov_b64_e32 v[4:5], v[144:145]
.LBB107_378:
	v_cmp_ne_u32_e32 vcc, 4, v0
	s_and_saveexec_b64 s[6:7], vcc
	s_cbranch_execz .LBB107_382
; %bb.379:
	v_mov_b32_e32 v7, 0
	v_add_u32_e32 v6, 0x2d0, v100
	v_add3_u32 v7, v100, v7, 24
	s_mov_b64 s[8:9], 0
	v_mov_b32_e32 v141, v0
.LBB107_380:                            ; =>This Inner Loop Header: Depth=1
	v_add_u32_e32 v142, -8, v7
	scratch_load_dwordx4 v[142:145], v142, off
	ds_read_b128 v[146:149], v6
	v_add_u32_e32 v141, 1, v141
	v_cmp_lt_u32_e32 vcc, 3, v141
	v_add_u32_e32 v6, 16, v6
	v_add_u32_e32 v7, 16, v7
	s_or_b64 s[8:9], vcc, s[8:9]
	s_waitcnt vmcnt(0) lgkmcnt(0)
	v_mul_f64 v[150:151], v[148:149], v[144:145]
	v_mul_f64 v[144:145], v[146:147], v[144:145]
	v_fma_f64 v[146:147], v[146:147], v[142:143], -v[150:151]
	v_fmac_f64_e32 v[144:145], v[148:149], v[142:143]
	v_add_f64 v[2:3], v[2:3], v[146:147]
	v_add_f64 v[4:5], v[4:5], v[144:145]
	s_andn2_b64 exec, exec, s[8:9]
	s_cbranch_execnz .LBB107_380
; %bb.381:
	s_or_b64 exec, exec, s[8:9]
.LBB107_382:
	s_or_b64 exec, exec, s[6:7]
	v_mov_b32_e32 v6, 0
	ds_read_b128 v[142:145], v6 offset:80
	s_waitcnt lgkmcnt(0)
	v_mul_f64 v[6:7], v[4:5], v[144:145]
	v_mul_f64 v[146:147], v[2:3], v[144:145]
	v_fma_f64 v[144:145], v[2:3], v[142:143], -v[6:7]
	v_fmac_f64_e32 v[146:147], v[4:5], v[142:143]
	scratch_store_dwordx4 off, v[144:147], off offset:80
.LBB107_383:
	;; [unrolled: 63-line block ×38, first 2 shown]
	s_or_b64 exec, exec, s[2:3]
	scratch_load_dwordx4 v[2:5], v10, off
	v_cmp_gt_u32_e64 s[2:3], 42, v0
	s_waitcnt vmcnt(0)
	ds_write_b128 v9, v[2:5]
	s_waitcnt lgkmcnt(0)
	; wave barrier
	s_waitcnt lgkmcnt(0)
	s_and_saveexec_b64 s[6:7], s[2:3]
	s_cbranch_execz .LBB107_679
; %bb.672:
	ds_read_b128 v[2:5], v9
	s_and_b64 vcc, exec, s[0:1]
	s_cbranch_vccnz .LBB107_674
; %bb.673:
	scratch_load_dwordx4 v[142:145], v8, off
	s_waitcnt vmcnt(0) lgkmcnt(0)
	v_mul_f64 v[6:7], v[4:5], v[144:145]
	v_mul_f64 v[144:145], v[2:3], v[144:145]
	v_fmac_f64_e32 v[144:145], v[4:5], v[142:143]
	v_fma_f64 v[2:3], v[2:3], v[142:143], -v[6:7]
	v_mov_b64_e32 v[4:5], v[144:145]
.LBB107_674:
	v_cmp_ne_u32_e32 vcc, 41, v0
	s_and_saveexec_b64 s[8:9], vcc
	s_cbranch_execz .LBB107_678
; %bb.675:
	v_mov_b32_e32 v7, 0
	v_add_u32_e32 v6, 0x2d0, v100
	v_add3_u32 v7, v100, v7, 24
	s_mov_b64 s[10:11], 0
	v_mov_b32_e32 v141, v0
.LBB107_676:                            ; =>This Inner Loop Header: Depth=1
	v_add_u32_e32 v142, -8, v7
	scratch_load_dwordx4 v[142:145], v142, off
	ds_read_b128 v[146:149], v6
	v_add_u32_e32 v141, 1, v141
	v_cmp_lt_u32_e32 vcc, 40, v141
	v_add_u32_e32 v6, 16, v6
	v_add_u32_e32 v7, 16, v7
	s_or_b64 s[10:11], vcc, s[10:11]
	s_waitcnt vmcnt(0) lgkmcnt(0)
	v_mul_f64 v[150:151], v[148:149], v[144:145]
	v_mul_f64 v[144:145], v[146:147], v[144:145]
	v_fma_f64 v[146:147], v[146:147], v[142:143], -v[150:151]
	v_fmac_f64_e32 v[144:145], v[148:149], v[142:143]
	v_add_f64 v[2:3], v[2:3], v[146:147]
	v_add_f64 v[4:5], v[4:5], v[144:145]
	s_andn2_b64 exec, exec, s[10:11]
	s_cbranch_execnz .LBB107_676
; %bb.677:
	s_or_b64 exec, exec, s[10:11]
.LBB107_678:
	s_or_b64 exec, exec, s[8:9]
	v_mov_b32_e32 v6, 0
	ds_read_b128 v[142:145], v6 offset:672
	s_waitcnt lgkmcnt(0)
	v_mul_f64 v[6:7], v[4:5], v[144:145]
	v_mul_f64 v[146:147], v[2:3], v[144:145]
	v_fma_f64 v[144:145], v[2:3], v[142:143], -v[6:7]
	v_fmac_f64_e32 v[146:147], v[4:5], v[142:143]
	scratch_store_dwordx4 off, v[144:147], off offset:672
.LBB107_679:
	s_or_b64 exec, exec, s[6:7]
	scratch_load_dwordx4 v[2:5], v1, off
	v_cmp_ne_u32_e32 vcc, 43, v0
                                        ; implicit-def: $vgpr6_vgpr7
                                        ; implicit-def: $vgpr141
	s_waitcnt vmcnt(0)
	ds_write_b128 v9, v[2:5]
	s_waitcnt lgkmcnt(0)
	; wave barrier
	s_waitcnt lgkmcnt(0)
	s_and_saveexec_b64 s[6:7], vcc
	s_cbranch_execz .LBB107_687
; %bb.680:
	ds_read_b128 v[2:5], v9
	s_and_b64 vcc, exec, s[0:1]
	s_cbranch_vccnz .LBB107_682
; %bb.681:
	scratch_load_dwordx4 v[6:9], v8, off
	s_waitcnt vmcnt(0) lgkmcnt(0)
	v_mul_f64 v[142:143], v[4:5], v[8:9]
	v_mul_f64 v[8:9], v[2:3], v[8:9]
	v_fmac_f64_e32 v[8:9], v[4:5], v[6:7]
	v_fma_f64 v[2:3], v[2:3], v[6:7], -v[142:143]
	v_mov_b64_e32 v[4:5], v[8:9]
.LBB107_682:
	s_and_saveexec_b64 s[0:1], s[2:3]
	s_cbranch_execz .LBB107_686
; %bb.683:
	v_mov_b32_e32 v7, 0
	v_add_u32_e32 v6, 0x2d0, v100
	v_add3_u32 v7, v100, v7, 24
	s_mov_b64 s[2:3], 0
.LBB107_684:                            ; =>This Inner Loop Header: Depth=1
	v_add_u32_e32 v8, -8, v7
	scratch_load_dwordx4 v[142:145], v8, off
	ds_read_b128 v[146:149], v6
	v_add_u32_e32 v0, 1, v0
	v_cmp_lt_u32_e32 vcc, 41, v0
	v_add_u32_e32 v6, 16, v6
	v_add_u32_e32 v7, 16, v7
	s_or_b64 s[2:3], vcc, s[2:3]
	s_waitcnt vmcnt(0) lgkmcnt(0)
	v_mul_f64 v[8:9], v[148:149], v[144:145]
	v_mul_f64 v[144:145], v[146:147], v[144:145]
	v_fma_f64 v[8:9], v[146:147], v[142:143], -v[8:9]
	v_fmac_f64_e32 v[144:145], v[148:149], v[142:143]
	v_add_f64 v[2:3], v[2:3], v[8:9]
	v_add_f64 v[4:5], v[4:5], v[144:145]
	s_andn2_b64 exec, exec, s[2:3]
	s_cbranch_execnz .LBB107_684
; %bb.685:
	s_or_b64 exec, exec, s[2:3]
.LBB107_686:
	s_or_b64 exec, exec, s[0:1]
	v_mov_b32_e32 v0, 0
	ds_read_b128 v[142:145], v0 offset:688
	v_mov_b32_e32 v0, 0
	v_add_u32_e32 v141, 0x2b8, v0
	s_or_b64 s[4:5], s[4:5], exec
	s_waitcnt lgkmcnt(0)
	v_mul_f64 v[8:9], v[4:5], v[144:145]
	v_mul_f64 v[6:7], v[2:3], v[144:145]
	v_fma_f64 v[2:3], v[2:3], v[142:143], -v[8:9]
	v_fmac_f64_e32 v[6:7], v[4:5], v[142:143]
	scratch_store_dwordx2 off, v[2:3], off offset:688
.LBB107_687:
	s_or_b64 exec, exec, s[6:7]
.LBB107_688:
	s_and_saveexec_b64 s[0:1], s[4:5]
	s_cbranch_execz .LBB107_690
; %bb.689:
	scratch_store_dwordx2 v141, v[6:7], off
.LBB107_690:
	s_or_b64 exec, exec, s[0:1]
	scratch_load_dwordx4 v[2:5], off, off
	scratch_load_dwordx4 v[6:9], v140, off
	s_nop 0
	scratch_load_dwordx4 v[140:143], v139, off
	scratch_load_dwordx4 v[144:147], v138, off
	;; [unrolled: 1-line block ×3, first 2 shown]
	s_nop 0
	scratch_load_dwordx4 v[136:139], v136, off
	s_nop 0
	scratch_load_dwordx4 v[152:155], v135, off
	scratch_load_dwordx4 v[156:159], v134, off
	;; [unrolled: 1-line block ×3, first 2 shown]
	s_nop 0
	scratch_load_dwordx4 v[132:135], v132, off
	s_waitcnt vmcnt(9)
	global_store_dwordx4 v[36:37], v[2:5], off
	scratch_load_dwordx4 v[2:5], v131, off
	s_nop 0
	scratch_load_dwordx4 v[164:167], v130, off
	s_waitcnt vmcnt(11)
	global_store_dwordx4 v[34:35], v[6:9], off
	scratch_load_dwordx4 v[6:9], v129, off
	;; [unrolled: 5-line block ×17, first 2 shown]
	s_nop 0
	scratch_load_dwordx4 v[144:147], v1, off
	s_waitcnt vmcnt(39)
	global_store_dwordx4 v[40:41], v[124:127], off
	s_waitcnt vmcnt(38)
	global_store_dwordx4 v[44:45], v[18:21], off
	;; [unrolled: 2-line block ×27, first 2 shown]
.LBB107_691:
	s_endpgm
	.section	.rodata,"a",@progbits
	.p2align	6, 0x0
	.amdhsa_kernel _ZN9rocsolver6v33100L18trti2_kernel_smallILi44E19rocblas_complex_numIdEPKPS3_EEv13rocblas_fill_17rocblas_diagonal_T1_iil
		.amdhsa_group_segment_fixed_size 1408
		.amdhsa_private_segment_fixed_size 720
		.amdhsa_kernarg_size 32
		.amdhsa_user_sgpr_count 2
		.amdhsa_user_sgpr_dispatch_ptr 0
		.amdhsa_user_sgpr_queue_ptr 0
		.amdhsa_user_sgpr_kernarg_segment_ptr 1
		.amdhsa_user_sgpr_dispatch_id 0
		.amdhsa_user_sgpr_kernarg_preload_length 0
		.amdhsa_user_sgpr_kernarg_preload_offset 0
		.amdhsa_user_sgpr_private_segment_size 0
		.amdhsa_uses_dynamic_stack 0
		.amdhsa_enable_private_segment 1
		.amdhsa_system_sgpr_workgroup_id_x 1
		.amdhsa_system_sgpr_workgroup_id_y 0
		.amdhsa_system_sgpr_workgroup_id_z 0
		.amdhsa_system_sgpr_workgroup_info 0
		.amdhsa_system_vgpr_workitem_id 0
		.amdhsa_next_free_vgpr 172
		.amdhsa_next_free_sgpr 12
		.amdhsa_accum_offset 172
		.amdhsa_reserve_vcc 1
		.amdhsa_float_round_mode_32 0
		.amdhsa_float_round_mode_16_64 0
		.amdhsa_float_denorm_mode_32 3
		.amdhsa_float_denorm_mode_16_64 3
		.amdhsa_dx10_clamp 1
		.amdhsa_ieee_mode 1
		.amdhsa_fp16_overflow 0
		.amdhsa_tg_split 0
		.amdhsa_exception_fp_ieee_invalid_op 0
		.amdhsa_exception_fp_denorm_src 0
		.amdhsa_exception_fp_ieee_div_zero 0
		.amdhsa_exception_fp_ieee_overflow 0
		.amdhsa_exception_fp_ieee_underflow 0
		.amdhsa_exception_fp_ieee_inexact 0
		.amdhsa_exception_int_div_zero 0
	.end_amdhsa_kernel
	.section	.text._ZN9rocsolver6v33100L18trti2_kernel_smallILi44E19rocblas_complex_numIdEPKPS3_EEv13rocblas_fill_17rocblas_diagonal_T1_iil,"axG",@progbits,_ZN9rocsolver6v33100L18trti2_kernel_smallILi44E19rocblas_complex_numIdEPKPS3_EEv13rocblas_fill_17rocblas_diagonal_T1_iil,comdat
.Lfunc_end107:
	.size	_ZN9rocsolver6v33100L18trti2_kernel_smallILi44E19rocblas_complex_numIdEPKPS3_EEv13rocblas_fill_17rocblas_diagonal_T1_iil, .Lfunc_end107-_ZN9rocsolver6v33100L18trti2_kernel_smallILi44E19rocblas_complex_numIdEPKPS3_EEv13rocblas_fill_17rocblas_diagonal_T1_iil
                                        ; -- End function
	.section	.AMDGPU.csdata,"",@progbits
; Kernel info:
; codeLenInByte = 28996
; NumSgprs: 18
; NumVgprs: 172
; NumAgprs: 0
; TotalNumVgprs: 172
; ScratchSize: 720
; MemoryBound: 0
; FloatMode: 240
; IeeeMode: 1
; LDSByteSize: 1408 bytes/workgroup (compile time only)
; SGPRBlocks: 2
; VGPRBlocks: 21
; NumSGPRsForWavesPerEU: 18
; NumVGPRsForWavesPerEU: 172
; AccumOffset: 172
; Occupancy: 2
; WaveLimiterHint : 1
; COMPUTE_PGM_RSRC2:SCRATCH_EN: 1
; COMPUTE_PGM_RSRC2:USER_SGPR: 2
; COMPUTE_PGM_RSRC2:TRAP_HANDLER: 0
; COMPUTE_PGM_RSRC2:TGID_X_EN: 1
; COMPUTE_PGM_RSRC2:TGID_Y_EN: 0
; COMPUTE_PGM_RSRC2:TGID_Z_EN: 0
; COMPUTE_PGM_RSRC2:TIDIG_COMP_CNT: 0
; COMPUTE_PGM_RSRC3_GFX90A:ACCUM_OFFSET: 42
; COMPUTE_PGM_RSRC3_GFX90A:TG_SPLIT: 0
	.section	.text._ZN9rocsolver6v33100L18trti2_kernel_smallILi45E19rocblas_complex_numIdEPKPS3_EEv13rocblas_fill_17rocblas_diagonal_T1_iil,"axG",@progbits,_ZN9rocsolver6v33100L18trti2_kernel_smallILi45E19rocblas_complex_numIdEPKPS3_EEv13rocblas_fill_17rocblas_diagonal_T1_iil,comdat
	.globl	_ZN9rocsolver6v33100L18trti2_kernel_smallILi45E19rocblas_complex_numIdEPKPS3_EEv13rocblas_fill_17rocblas_diagonal_T1_iil ; -- Begin function _ZN9rocsolver6v33100L18trti2_kernel_smallILi45E19rocblas_complex_numIdEPKPS3_EEv13rocblas_fill_17rocblas_diagonal_T1_iil
	.p2align	8
	.type	_ZN9rocsolver6v33100L18trti2_kernel_smallILi45E19rocblas_complex_numIdEPKPS3_EEv13rocblas_fill_17rocblas_diagonal_T1_iil,@function
_ZN9rocsolver6v33100L18trti2_kernel_smallILi45E19rocblas_complex_numIdEPKPS3_EEv13rocblas_fill_17rocblas_diagonal_T1_iil: ; @_ZN9rocsolver6v33100L18trti2_kernel_smallILi45E19rocblas_complex_numIdEPKPS3_EEv13rocblas_fill_17rocblas_diagonal_T1_iil
; %bb.0:
	v_cmp_gt_u32_e32 vcc, 45, v0
	s_and_saveexec_b64 s[4:5], vcc
	s_cbranch_execz .LBB108_707
; %bb.1:
	s_load_dwordx2 s[8:9], s[0:1], 0x10
	s_load_dwordx4 s[4:7], s[0:1], 0x0
	s_ashr_i32 s3, s2, 31
	s_lshl_b64 s[0:1], s[2:3], 3
	v_lshlrev_b32_e32 v58, 4, v0
	s_waitcnt lgkmcnt(0)
	s_ashr_i32 s3, s8, 31
	s_add_u32 s0, s6, s0
	s_addc_u32 s1, s7, s1
	s_load_dwordx2 s[0:1], s[0:1], 0x0
	s_mov_b32 s2, s8
	s_lshl_b64 s[2:3], s[2:3], 4
	v_mov_b32_e32 v59, 0
	v_mov_b32_e32 v1, 0
	s_waitcnt lgkmcnt(0)
	s_add_u32 s0, s0, s2
	s_addc_u32 s1, s1, s3
	v_lshl_add_u64 v[12:13], s[0:1], 0, v[58:59]
	s_ashr_i32 s3, s9, 31
	s_mov_b32 s2, s9
	global_load_dwordx4 v[2:5], v58, s[0:1]
	v_lshl_add_u64 v[14:15], s[2:3], 4, v[12:13]
	global_load_dwordx4 v[6:9], v[14:15], off
	s_add_i32 s2, s9, s9
	v_add_u32_e32 v10, s2, v0
	v_ashrrev_i32_e32 v11, 31, v10
	v_lshl_add_u64 v[16:17], v[10:11], 4, s[0:1]
	global_load_dwordx4 v[68:71], v[16:17], off
	v_add_u32_e32 v18, s9, v10
	v_add_u32_e32 v10, s9, v18
	v_ashrrev_i32_e32 v11, 31, v10
	v_add_u32_e32 v22, s9, v10
	v_lshl_add_u64 v[20:21], v[10:11], 4, s[0:1]
	v_add_u32_e32 v10, s9, v22
	v_ashrrev_i32_e32 v11, 31, v10
	v_add_u32_e32 v26, s9, v10
	v_lshl_add_u64 v[24:25], v[10:11], 4, s[0:1]
	;; [unrolled: 4-line block ×8, first 2 shown]
	v_add_u32_e32 v10, s9, v50
	v_ashrrev_i32_e32 v11, 31, v10
	v_lshl_add_u64 v[52:53], v[10:11], 4, s[0:1]
	v_add_u32_e32 v10, s9, v10
	v_ashrrev_i32_e32 v11, 31, v10
	v_lshl_add_u64 v[54:55], v[10:11], 4, s[0:1]
	;; [unrolled: 3-line block ×5, first 2 shown]
	v_add_u32_e32 v10, s9, v10
	v_ashrrev_i32_e32 v19, 31, v18
	v_ashrrev_i32_e32 v23, 31, v22
	;; [unrolled: 1-line block ×9, first 2 shown]
	v_lshl_add_u64 v[18:19], v[18:19], 4, s[0:1]
	v_lshl_add_u64 v[22:23], v[22:23], 4, s[0:1]
	;; [unrolled: 1-line block ×8, first 2 shown]
	v_ashrrev_i32_e32 v51, 31, v50
	v_lshl_add_u64 v[64:65], v[10:11], 4, s[0:1]
	v_add_u32_e32 v10, s9, v10
	global_load_dwordx4 v[72:75], v[18:19], off
	global_load_dwordx4 v[76:79], v[20:21], off
	;; [unrolled: 1-line block ×16, first 2 shown]
	v_lshl_add_u64 v[50:51], v[50:51], 4, s[0:1]
	s_waitcnt vmcnt(18)
	scratch_store_dwordx4 off, v[2:5], off
	s_waitcnt vmcnt(18)
	scratch_store_dwordx4 off, v[6:9], off offset:16
	v_ashrrev_i32_e32 v11, 31, v10
	global_load_dwordx4 v[2:5], v[50:51], off
	global_load_dwordx4 v[6:9], v[52:53], off
	;; [unrolled: 1-line block ×6, first 2 shown]
	v_lshl_add_u64 v[66:67], v[10:11], 4, s[0:1]
	global_load_dwordx4 v[152:155], v[64:65], off
	global_load_dwordx4 v[156:159], v[66:67], off
	v_add_u32_e32 v10, s9, v10
	v_ashrrev_i32_e32 v11, 31, v10
	s_waitcnt vmcnt(26)
	scratch_store_dwordx4 off, v[68:71], off offset:32
	s_cmpk_lg_i32 s5, 0x84
	s_cselect_b64 s[6:7], -1, 0
	v_lshl_add_u64 v[68:69], v[10:11], 4, s[0:1]
	global_load_dwordx4 v[160:163], v[68:69], off
	s_cmpk_eq_i32 s5, 0x84
	s_waitcnt vmcnt(27)
	scratch_store_dwordx4 off, v[72:75], off offset:48
	s_waitcnt vmcnt(27)
	scratch_store_dwordx4 off, v[76:79], off offset:64
	;; [unrolled: 2-line block ×24, first 2 shown]
	v_add_u32_e32 v6, s9, v10
	v_ashrrev_i32_e32 v7, 31, v6
	v_lshl_add_u64 v[70:71], v[6:7], 4, s[0:1]
	v_add_u32_e32 v6, s9, v6
	v_add_u32_e32 v10, s9, v6
	v_ashrrev_i32_e32 v11, 31, v10
	v_lshl_add_u64 v[74:75], v[10:11], 4, s[0:1]
	v_add_u32_e32 v10, s9, v10
	v_ashrrev_i32_e32 v11, 31, v10
	v_lshl_add_u64 v[76:77], v[10:11], 4, s[0:1]
	;; [unrolled: 3-line block ×13, first 2 shown]
	v_add_u32_e32 v10, s9, v10
	v_ashrrev_i32_e32 v11, 31, v10
	v_ashrrev_i32_e32 v7, 31, v6
	v_lshl_add_u64 v[100:101], v[10:11], 4, s[0:1]
	v_add_u32_e32 v10, s9, v10
	s_waitcnt vmcnt(24)
	scratch_store_dwordx4 off, v[160:163], off offset:432
	v_lshl_add_u64 v[72:73], v[6:7], 4, s[0:1]
	v_ashrrev_i32_e32 v11, 31, v10
	global_load_dwordx4 v[2:5], v[70:71], off
	global_load_dwordx4 v[6:9], v[72:73], off
	;; [unrolled: 1-line block ×15, first 2 shown]
	v_lshl_add_u64 v[102:103], v[10:11], 4, s[0:1]
	global_load_dwordx4 v[156:159], v[100:101], off
	global_load_dwordx4 v[160:163], v[102:103], off
	s_waitcnt vmcnt(16)
	scratch_store_dwordx4 off, v[2:5], off offset:448
	s_waitcnt vmcnt(16)
	scratch_store_dwordx4 off, v[6:9], off offset:464
	;; [unrolled: 2-line block ×17, first 2 shown]
	s_cbranch_scc1 .LBB108_7
; %bb.2:
	scratch_load_dwordx4 v[8:11], v58, off
                                        ; implicit-def: $vgpr6_vgpr7
	s_waitcnt vmcnt(0)
	v_xor_b32_e32 v3, 0x80000000, v9
	v_cmp_gt_f64_e32 vcc, 0, v[8:9]
	v_xor_b32_e32 v4, 0x80000000, v11
	v_mov_b32_e32 v2, v8
	v_cndmask_b32_e32 v3, v9, v3, vcc
	v_cmp_gt_f64_e32 vcc, 0, v[10:11]
	s_nop 1
	v_cndmask_b32_e32 v5, v11, v4, vcc
	v_mov_b32_e32 v4, v10
	v_cmp_ngt_f64_e32 vcc, v[2:3], v[4:5]
                                        ; implicit-def: $vgpr2_vgpr3
	s_and_saveexec_b64 s[0:1], vcc
	s_xor_b64 s[0:1], exec, s[0:1]
	s_cbranch_execz .LBB108_4
; %bb.3:
	v_div_scale_f64 v[2:3], s[2:3], v[10:11], v[10:11], v[8:9]
	v_rcp_f64_e32 v[4:5], v[2:3]
	v_div_scale_f64 v[6:7], vcc, v[8:9], v[10:11], v[8:9]
	v_fma_f64 v[104:105], -v[2:3], v[4:5], 1.0
	v_fmac_f64_e32 v[4:5], v[4:5], v[104:105]
	v_fma_f64 v[104:105], -v[2:3], v[4:5], 1.0
	v_fmac_f64_e32 v[4:5], v[4:5], v[104:105]
	v_mul_f64 v[104:105], v[6:7], v[4:5]
	v_fma_f64 v[2:3], -v[2:3], v[104:105], v[6:7]
	v_div_fmas_f64 v[2:3], v[2:3], v[4:5], v[104:105]
	v_div_fixup_f64 v[2:3], v[2:3], v[10:11], v[8:9]
	v_fmac_f64_e32 v[10:11], v[8:9], v[2:3]
	v_div_scale_f64 v[4:5], s[2:3], v[10:11], v[10:11], 1.0
	v_rcp_f64_e32 v[6:7], v[4:5]
	s_nop 0
	v_fma_f64 v[8:9], -v[4:5], v[6:7], 1.0
	v_fmac_f64_e32 v[6:7], v[6:7], v[8:9]
	v_fma_f64 v[8:9], -v[4:5], v[6:7], 1.0
	v_fmac_f64_e32 v[6:7], v[6:7], v[8:9]
	v_div_scale_f64 v[8:9], vcc, 1.0, v[10:11], 1.0
	v_mul_f64 v[104:105], v[8:9], v[6:7]
	v_fma_f64 v[4:5], -v[4:5], v[104:105], v[8:9]
                                        ; implicit-def: $vgpr8_vgpr9
	s_nop 1
	v_div_fmas_f64 v[4:5], v[4:5], v[6:7], v[104:105]
	v_div_fixup_f64 v[4:5], v[4:5], v[10:11], 1.0
	v_mul_f64 v[2:3], v[2:3], v[4:5]
	v_xor_b32_e32 v5, 0x80000000, v5
	v_xor_b32_e32 v7, 0x80000000, v3
	v_mov_b32_e32 v6, v2
.LBB108_4:
	s_or_saveexec_b64 s[0:1], s[0:1]
	v_add_u32_e32 v59, 0, v58
	s_xor_b64 exec, exec, s[0:1]
	s_cbranch_execz .LBB108_6
; %bb.5:
	v_div_scale_f64 v[2:3], s[2:3], v[8:9], v[8:9], v[10:11]
	v_rcp_f64_e32 v[4:5], v[2:3]
	v_div_scale_f64 v[6:7], vcc, v[10:11], v[8:9], v[10:11]
	v_fma_f64 v[104:105], -v[2:3], v[4:5], 1.0
	v_fmac_f64_e32 v[4:5], v[4:5], v[104:105]
	v_fma_f64 v[104:105], -v[2:3], v[4:5], 1.0
	v_fmac_f64_e32 v[4:5], v[4:5], v[104:105]
	v_mul_f64 v[104:105], v[6:7], v[4:5]
	v_fma_f64 v[2:3], -v[2:3], v[104:105], v[6:7]
	v_div_fmas_f64 v[2:3], v[2:3], v[4:5], v[104:105]
	v_div_fixup_f64 v[4:5], v[2:3], v[8:9], v[10:11]
	v_fmac_f64_e32 v[8:9], v[10:11], v[4:5]
	v_div_scale_f64 v[2:3], s[2:3], v[8:9], v[8:9], 1.0
	v_rcp_f64_e32 v[6:7], v[2:3]
	s_nop 0
	v_fma_f64 v[10:11], -v[2:3], v[6:7], 1.0
	v_fmac_f64_e32 v[6:7], v[6:7], v[10:11]
	v_fma_f64 v[10:11], -v[2:3], v[6:7], 1.0
	v_fmac_f64_e32 v[6:7], v[6:7], v[10:11]
	v_div_scale_f64 v[10:11], vcc, 1.0, v[8:9], 1.0
	v_mul_f64 v[104:105], v[10:11], v[6:7]
	v_fma_f64 v[2:3], -v[2:3], v[104:105], v[10:11]
	s_nop 1
	v_div_fmas_f64 v[2:3], v[2:3], v[6:7], v[104:105]
	v_div_fixup_f64 v[2:3], v[2:3], v[8:9], 1.0
	v_xor_b32_e32 v7, 0x80000000, v3
	v_mov_b32_e32 v6, v2
	v_mul_f64 v[4:5], v[4:5], -v[2:3]
.LBB108_6:
	s_or_b64 exec, exec, s[0:1]
	scratch_store_dwordx4 v59, v[2:5], off
	s_nop 1
	v_xor_b32_e32 v5, 0x80000000, v5
	s_branch .LBB108_8
.LBB108_7:
	v_mov_b64_e32 v[4:5], 0
	v_mov_b64_e32 v[6:7], -1.0
.LBB108_8:
	v_mov_b32_e32 v8, v4
	v_mov_b32_e32 v9, v5
	v_add_u32_e32 v143, 16, v1
	v_add_u32_e32 v142, 32, v1
	;; [unrolled: 1-line block ×44, first 2 shown]
	ds_write_b128 v58, v[6:9]
	s_cmpk_eq_i32 s4, 0x79
	v_add_u32_e32 v9, 0x2d0, v58
	v_add_u32_e32 v8, 0, v58
	s_cbranch_scc1 .LBB108_356
; %bb.9:
	scratch_load_dwordx4 v[2:5], v10, off
	v_cmp_eq_u32_e64 s[0:1], 44, v0
	s_waitcnt vmcnt(0)
	ds_write_b128 v9, v[2:5]
	s_waitcnt lgkmcnt(0)
	; wave barrier
	s_waitcnt lgkmcnt(0)
	s_and_saveexec_b64 s[2:3], s[0:1]
	s_cbranch_execz .LBB108_13
; %bb.10:
	ds_read_b128 v[2:5], v9
	s_andn2_b64 vcc, exec, s[6:7]
	s_cbranch_vccnz .LBB108_12
; %bb.11:
	scratch_load_dwordx4 v[144:147], v8, off
	s_waitcnt vmcnt(0) lgkmcnt(0)
	v_mul_f64 v[6:7], v[4:5], v[146:147]
	v_mul_f64 v[146:147], v[2:3], v[146:147]
	v_fmac_f64_e32 v[146:147], v[4:5], v[144:145]
	v_fma_f64 v[2:3], v[2:3], v[144:145], -v[6:7]
	v_mov_b64_e32 v[4:5], v[146:147]
.LBB108_12:
	v_mov_b32_e32 v6, 0
	ds_read_b128 v[144:147], v6 offset:688
	s_waitcnt lgkmcnt(0)
	v_mul_f64 v[6:7], v[4:5], v[146:147]
	v_mul_f64 v[148:149], v[2:3], v[146:147]
	v_fma_f64 v[146:147], v[2:3], v[144:145], -v[6:7]
	v_fmac_f64_e32 v[148:149], v[4:5], v[144:145]
	scratch_store_dwordx4 off, v[146:149], off offset:688
.LBB108_13:
	s_or_b64 exec, exec, s[2:3]
	scratch_load_dwordx4 v[2:5], v11, off
	v_cmp_lt_u32_e64 s[2:3], 42, v0
	s_waitcnt vmcnt(0)
	ds_write_b128 v9, v[2:5]
	s_waitcnt lgkmcnt(0)
	; wave barrier
	s_waitcnt lgkmcnt(0)
	s_and_saveexec_b64 s[4:5], s[2:3]
	s_cbranch_execz .LBB108_19
; %bb.14:
	ds_read_b128 v[2:5], v9
	s_andn2_b64 vcc, exec, s[6:7]
	s_cbranch_vccnz .LBB108_16
; %bb.15:
	scratch_load_dwordx4 v[144:147], v8, off
	s_waitcnt vmcnt(0) lgkmcnt(0)
	v_mul_f64 v[6:7], v[4:5], v[146:147]
	v_mul_f64 v[146:147], v[2:3], v[146:147]
	v_fmac_f64_e32 v[146:147], v[4:5], v[144:145]
	v_fma_f64 v[2:3], v[2:3], v[144:145], -v[6:7]
	v_mov_b64_e32 v[4:5], v[146:147]
.LBB108_16:
	s_and_saveexec_b64 s[8:9], s[0:1]
	s_cbranch_execz .LBB108_18
; %bb.17:
	scratch_load_dwordx4 v[144:147], off, off offset:688
	v_mov_b32_e32 v6, 0
	ds_read_b128 v[148:151], v6 offset:1408
	s_waitcnt vmcnt(0) lgkmcnt(0)
	v_mul_f64 v[6:7], v[148:149], v[146:147]
	v_mul_f64 v[146:147], v[150:151], v[146:147]
	v_fmac_f64_e32 v[6:7], v[150:151], v[144:145]
	v_fma_f64 v[144:145], v[148:149], v[144:145], -v[146:147]
	v_add_f64 v[4:5], v[4:5], v[6:7]
	v_add_f64 v[2:3], v[2:3], v[144:145]
.LBB108_18:
	s_or_b64 exec, exec, s[8:9]
	v_mov_b32_e32 v6, 0
	ds_read_b128 v[144:147], v6 offset:672
	s_waitcnt lgkmcnt(0)
	v_mul_f64 v[6:7], v[4:5], v[146:147]
	v_mul_f64 v[148:149], v[2:3], v[146:147]
	v_fma_f64 v[146:147], v[2:3], v[144:145], -v[6:7]
	v_fmac_f64_e32 v[148:149], v[4:5], v[144:145]
	scratch_store_dwordx4 off, v[146:149], off offset:672
.LBB108_19:
	s_or_b64 exec, exec, s[4:5]
	scratch_load_dwordx4 v[2:5], v59, off
	v_cmp_lt_u32_e64 s[0:1], 41, v0
	s_waitcnt vmcnt(0)
	ds_write_b128 v9, v[2:5]
	s_waitcnt lgkmcnt(0)
	; wave barrier
	s_waitcnt lgkmcnt(0)
	s_and_saveexec_b64 s[4:5], s[0:1]
	s_cbranch_execz .LBB108_27
; %bb.20:
	ds_read_b128 v[2:5], v9
	s_andn2_b64 vcc, exec, s[6:7]
	s_cbranch_vccnz .LBB108_22
; %bb.21:
	scratch_load_dwordx4 v[144:147], v8, off
	s_waitcnt vmcnt(0) lgkmcnt(0)
	v_mul_f64 v[6:7], v[4:5], v[146:147]
	v_mul_f64 v[146:147], v[2:3], v[146:147]
	v_fmac_f64_e32 v[146:147], v[4:5], v[144:145]
	v_fma_f64 v[2:3], v[2:3], v[144:145], -v[6:7]
	v_mov_b64_e32 v[4:5], v[146:147]
.LBB108_22:
	s_and_saveexec_b64 s[8:9], s[2:3]
	s_cbranch_execz .LBB108_26
; %bb.23:
	v_mov_b32_e32 v7, 0
	v_subrev_u32_e32 v6, 42, v0
	v_add_u32_e32 v7, 0x2a8, v7
	s_movk_i32 s10, 0x570
	s_mov_b64 s[2:3], 0
.LBB108_24:                             ; =>This Inner Loop Header: Depth=1
	v_add_u32_e32 v144, -8, v7
	scratch_load_dwordx4 v[144:147], v144, off
	v_mov_b32_e32 v148, s10
	ds_read_b128 v[148:151], v148
	v_add_u32_e32 v6, -1, v6
	s_add_i32 s10, s10, 16
	v_cmp_eq_u32_e32 vcc, 0, v6
	v_add_u32_e32 v7, 16, v7
	s_or_b64 s[2:3], vcc, s[2:3]
	s_waitcnt vmcnt(0) lgkmcnt(0)
	v_mul_f64 v[152:153], v[150:151], v[146:147]
	v_mul_f64 v[146:147], v[148:149], v[146:147]
	v_fma_f64 v[148:149], v[148:149], v[144:145], -v[152:153]
	v_fmac_f64_e32 v[146:147], v[150:151], v[144:145]
	v_add_f64 v[2:3], v[2:3], v[148:149]
	v_add_f64 v[4:5], v[4:5], v[146:147]
	s_andn2_b64 exec, exec, s[2:3]
	s_cbranch_execnz .LBB108_24
; %bb.25:
	s_or_b64 exec, exec, s[2:3]
.LBB108_26:
	s_or_b64 exec, exec, s[8:9]
	v_mov_b32_e32 v6, 0
	ds_read_b128 v[144:147], v6 offset:656
	s_waitcnt lgkmcnt(0)
	v_mul_f64 v[6:7], v[4:5], v[146:147]
	v_mul_f64 v[148:149], v[2:3], v[146:147]
	v_fma_f64 v[146:147], v[2:3], v[144:145], -v[6:7]
	v_fmac_f64_e32 v[148:149], v[4:5], v[144:145]
	scratch_store_dwordx4 off, v[146:149], off offset:656
.LBB108_27:
	s_or_b64 exec, exec, s[4:5]
	scratch_load_dwordx4 v[2:5], v104, off
	v_cmp_lt_u32_e64 s[2:3], 40, v0
	s_waitcnt vmcnt(0)
	ds_write_b128 v9, v[2:5]
	s_waitcnt lgkmcnt(0)
	; wave barrier
	s_waitcnt lgkmcnt(0)
	s_and_saveexec_b64 s[4:5], s[2:3]
	s_cbranch_execz .LBB108_35
; %bb.28:
	ds_read_b128 v[2:5], v9
	s_andn2_b64 vcc, exec, s[6:7]
	s_cbranch_vccnz .LBB108_30
; %bb.29:
	scratch_load_dwordx4 v[144:147], v8, off
	s_waitcnt vmcnt(0) lgkmcnt(0)
	v_mul_f64 v[6:7], v[4:5], v[146:147]
	v_mul_f64 v[146:147], v[2:3], v[146:147]
	v_fmac_f64_e32 v[146:147], v[4:5], v[144:145]
	v_fma_f64 v[2:3], v[2:3], v[144:145], -v[6:7]
	v_mov_b64_e32 v[4:5], v[146:147]
.LBB108_30:
	s_and_saveexec_b64 s[8:9], s[0:1]
	s_cbranch_execz .LBB108_34
; %bb.31:
	v_mov_b32_e32 v7, 0
	v_subrev_u32_e32 v6, 41, v0
	v_add_u32_e32 v7, 0x298, v7
	s_movk_i32 s10, 0x560
	s_mov_b64 s[0:1], 0
.LBB108_32:                             ; =>This Inner Loop Header: Depth=1
	v_add_u32_e32 v144, -8, v7
	scratch_load_dwordx4 v[144:147], v144, off
	v_mov_b32_e32 v148, s10
	ds_read_b128 v[148:151], v148
	v_add_u32_e32 v6, -1, v6
	s_add_i32 s10, s10, 16
	v_cmp_eq_u32_e32 vcc, 0, v6
	v_add_u32_e32 v7, 16, v7
	s_or_b64 s[0:1], vcc, s[0:1]
	s_waitcnt vmcnt(0) lgkmcnt(0)
	v_mul_f64 v[152:153], v[150:151], v[146:147]
	v_mul_f64 v[146:147], v[148:149], v[146:147]
	v_fma_f64 v[148:149], v[148:149], v[144:145], -v[152:153]
	v_fmac_f64_e32 v[146:147], v[150:151], v[144:145]
	v_add_f64 v[2:3], v[2:3], v[148:149]
	v_add_f64 v[4:5], v[4:5], v[146:147]
	s_andn2_b64 exec, exec, s[0:1]
	s_cbranch_execnz .LBB108_32
; %bb.33:
	s_or_b64 exec, exec, s[0:1]
.LBB108_34:
	s_or_b64 exec, exec, s[8:9]
	v_mov_b32_e32 v6, 0
	ds_read_b128 v[144:147], v6 offset:640
	s_waitcnt lgkmcnt(0)
	v_mul_f64 v[6:7], v[4:5], v[146:147]
	v_mul_f64 v[148:149], v[2:3], v[146:147]
	v_fma_f64 v[146:147], v[2:3], v[144:145], -v[6:7]
	v_fmac_f64_e32 v[148:149], v[4:5], v[144:145]
	scratch_store_dwordx4 off, v[146:149], off offset:640
.LBB108_35:
	;; [unrolled: 63-line block ×10, first 2 shown]
	s_or_b64 exec, exec, s[4:5]
	scratch_load_dwordx4 v[2:5], v113, off
	v_cmp_lt_u32_e64 s[0:1], 31, v0
	s_waitcnt vmcnt(0)
	ds_write_b128 v9, v[2:5]
	s_waitcnt lgkmcnt(0)
	; wave barrier
	s_waitcnt lgkmcnt(0)
	s_and_saveexec_b64 s[4:5], s[0:1]
	s_cbranch_execz .LBB108_107
; %bb.100:
	ds_read_b128 v[2:5], v9
	s_andn2_b64 vcc, exec, s[6:7]
	s_cbranch_vccnz .LBB108_102
; %bb.101:
	scratch_load_dwordx4 v[144:147], v8, off
	s_waitcnt vmcnt(0) lgkmcnt(0)
	v_mul_f64 v[6:7], v[4:5], v[146:147]
	v_mul_f64 v[146:147], v[2:3], v[146:147]
	v_fmac_f64_e32 v[146:147], v[4:5], v[144:145]
	v_fma_f64 v[2:3], v[2:3], v[144:145], -v[6:7]
	v_mov_b64_e32 v[4:5], v[146:147]
.LBB108_102:
	s_and_saveexec_b64 s[8:9], s[2:3]
	s_cbranch_execz .LBB108_106
; %bb.103:
	v_mov_b32_e32 v7, 0
	v_subrev_u32_e32 v6, 32, v0
	v_add_u32_e32 v7, 0x208, v7
	s_movk_i32 s10, 0x4d0
	s_mov_b64 s[2:3], 0
.LBB108_104:                            ; =>This Inner Loop Header: Depth=1
	v_add_u32_e32 v144, -8, v7
	scratch_load_dwordx4 v[144:147], v144, off
	v_mov_b32_e32 v148, s10
	ds_read_b128 v[148:151], v148
	v_add_u32_e32 v6, -1, v6
	s_add_i32 s10, s10, 16
	v_cmp_eq_u32_e32 vcc, 0, v6
	v_add_u32_e32 v7, 16, v7
	s_or_b64 s[2:3], vcc, s[2:3]
	s_waitcnt vmcnt(0) lgkmcnt(0)
	v_mul_f64 v[152:153], v[150:151], v[146:147]
	v_mul_f64 v[146:147], v[148:149], v[146:147]
	v_fma_f64 v[148:149], v[148:149], v[144:145], -v[152:153]
	v_fmac_f64_e32 v[146:147], v[150:151], v[144:145]
	v_add_f64 v[2:3], v[2:3], v[148:149]
	v_add_f64 v[4:5], v[4:5], v[146:147]
	s_andn2_b64 exec, exec, s[2:3]
	s_cbranch_execnz .LBB108_104
; %bb.105:
	s_or_b64 exec, exec, s[2:3]
.LBB108_106:
	s_or_b64 exec, exec, s[8:9]
	v_mov_b32_e32 v6, 0
	ds_read_b128 v[144:147], v6 offset:496
	s_waitcnt lgkmcnt(0)
	v_mul_f64 v[6:7], v[4:5], v[146:147]
	v_mul_f64 v[148:149], v[2:3], v[146:147]
	v_fma_f64 v[146:147], v[2:3], v[144:145], -v[6:7]
	v_fmac_f64_e32 v[148:149], v[4:5], v[144:145]
	scratch_store_dwordx4 off, v[146:149], off offset:496
.LBB108_107:
	s_or_b64 exec, exec, s[4:5]
	scratch_load_dwordx4 v[2:5], v114, off
	v_cmp_lt_u32_e64 s[2:3], 30, v0
	s_waitcnt vmcnt(0)
	ds_write_b128 v9, v[2:5]
	s_waitcnt lgkmcnt(0)
	; wave barrier
	s_waitcnt lgkmcnt(0)
	s_and_saveexec_b64 s[4:5], s[2:3]
	s_cbranch_execz .LBB108_115
; %bb.108:
	ds_read_b128 v[2:5], v9
	s_andn2_b64 vcc, exec, s[6:7]
	s_cbranch_vccnz .LBB108_110
; %bb.109:
	scratch_load_dwordx4 v[144:147], v8, off
	s_waitcnt vmcnt(0) lgkmcnt(0)
	v_mul_f64 v[6:7], v[4:5], v[146:147]
	v_mul_f64 v[146:147], v[2:3], v[146:147]
	v_fmac_f64_e32 v[146:147], v[4:5], v[144:145]
	v_fma_f64 v[2:3], v[2:3], v[144:145], -v[6:7]
	v_mov_b64_e32 v[4:5], v[146:147]
.LBB108_110:
	s_and_saveexec_b64 s[8:9], s[0:1]
	s_cbranch_execz .LBB108_114
; %bb.111:
	v_mov_b32_e32 v7, 0
	v_subrev_u32_e32 v6, 31, v0
	v_add_u32_e32 v7, 0x1f8, v7
	s_movk_i32 s10, 0x4c0
	s_mov_b64 s[0:1], 0
.LBB108_112:                            ; =>This Inner Loop Header: Depth=1
	v_add_u32_e32 v144, -8, v7
	scratch_load_dwordx4 v[144:147], v144, off
	v_mov_b32_e32 v148, s10
	ds_read_b128 v[148:151], v148
	v_add_u32_e32 v6, -1, v6
	s_add_i32 s10, s10, 16
	v_cmp_eq_u32_e32 vcc, 0, v6
	v_add_u32_e32 v7, 16, v7
	s_or_b64 s[0:1], vcc, s[0:1]
	s_waitcnt vmcnt(0) lgkmcnt(0)
	v_mul_f64 v[152:153], v[150:151], v[146:147]
	v_mul_f64 v[146:147], v[148:149], v[146:147]
	v_fma_f64 v[148:149], v[148:149], v[144:145], -v[152:153]
	v_fmac_f64_e32 v[146:147], v[150:151], v[144:145]
	v_add_f64 v[2:3], v[2:3], v[148:149]
	v_add_f64 v[4:5], v[4:5], v[146:147]
	s_andn2_b64 exec, exec, s[0:1]
	s_cbranch_execnz .LBB108_112
; %bb.113:
	s_or_b64 exec, exec, s[0:1]
.LBB108_114:
	s_or_b64 exec, exec, s[8:9]
	v_mov_b32_e32 v6, 0
	ds_read_b128 v[144:147], v6 offset:480
	s_waitcnt lgkmcnt(0)
	v_mul_f64 v[6:7], v[4:5], v[146:147]
	v_mul_f64 v[148:149], v[2:3], v[146:147]
	v_fma_f64 v[146:147], v[2:3], v[144:145], -v[6:7]
	v_fmac_f64_e32 v[148:149], v[4:5], v[144:145]
	scratch_store_dwordx4 off, v[146:149], off offset:480
.LBB108_115:
	;; [unrolled: 63-line block ×16, first 2 shown]
	s_or_b64 exec, exec, s[4:5]
	scratch_load_dwordx4 v[2:5], v129, off
	v_cmp_lt_u32_e64 s[0:1], 15, v0
	s_waitcnt vmcnt(0)
	ds_write_b128 v9, v[2:5]
	s_waitcnt lgkmcnt(0)
	; wave barrier
	s_waitcnt lgkmcnt(0)
	s_and_saveexec_b64 s[4:5], s[0:1]
	s_cbranch_execz .LBB108_235
; %bb.228:
	ds_read_b128 v[2:5], v9
	s_andn2_b64 vcc, exec, s[6:7]
	s_cbranch_vccnz .LBB108_230
; %bb.229:
	scratch_load_dwordx4 v[144:147], v8, off
	s_waitcnt vmcnt(0) lgkmcnt(0)
	v_mul_f64 v[6:7], v[4:5], v[146:147]
	v_mul_f64 v[146:147], v[2:3], v[146:147]
	v_fmac_f64_e32 v[146:147], v[4:5], v[144:145]
	v_fma_f64 v[2:3], v[2:3], v[144:145], -v[6:7]
	v_mov_b64_e32 v[4:5], v[146:147]
.LBB108_230:
	s_and_saveexec_b64 s[8:9], s[2:3]
	s_cbranch_execz .LBB108_234
; %bb.231:
	v_mov_b32_e32 v7, 0
	v_add_u32_e32 v6, -16, v0
	v_add_u32_e32 v7, 0x108, v7
	s_movk_i32 s10, 0x3d0
	s_mov_b64 s[2:3], 0
.LBB108_232:                            ; =>This Inner Loop Header: Depth=1
	v_add_u32_e32 v144, -8, v7
	scratch_load_dwordx4 v[144:147], v144, off
	v_mov_b32_e32 v148, s10
	ds_read_b128 v[148:151], v148
	v_add_u32_e32 v6, -1, v6
	s_add_i32 s10, s10, 16
	v_cmp_eq_u32_e32 vcc, 0, v6
	v_add_u32_e32 v7, 16, v7
	s_or_b64 s[2:3], vcc, s[2:3]
	s_waitcnt vmcnt(0) lgkmcnt(0)
	v_mul_f64 v[152:153], v[150:151], v[146:147]
	v_mul_f64 v[146:147], v[148:149], v[146:147]
	v_fma_f64 v[148:149], v[148:149], v[144:145], -v[152:153]
	v_fmac_f64_e32 v[146:147], v[150:151], v[144:145]
	v_add_f64 v[2:3], v[2:3], v[148:149]
	v_add_f64 v[4:5], v[4:5], v[146:147]
	s_andn2_b64 exec, exec, s[2:3]
	s_cbranch_execnz .LBB108_232
; %bb.233:
	s_or_b64 exec, exec, s[2:3]
.LBB108_234:
	s_or_b64 exec, exec, s[8:9]
	v_mov_b32_e32 v6, 0
	ds_read_b128 v[144:147], v6 offset:240
	s_waitcnt lgkmcnt(0)
	v_mul_f64 v[6:7], v[4:5], v[146:147]
	v_mul_f64 v[148:149], v[2:3], v[146:147]
	v_fma_f64 v[146:147], v[2:3], v[144:145], -v[6:7]
	v_fmac_f64_e32 v[148:149], v[4:5], v[144:145]
	scratch_store_dwordx4 off, v[146:149], off offset:240
.LBB108_235:
	s_or_b64 exec, exec, s[4:5]
	scratch_load_dwordx4 v[2:5], v130, off
	v_cmp_lt_u32_e64 s[2:3], 14, v0
	s_waitcnt vmcnt(0)
	ds_write_b128 v9, v[2:5]
	s_waitcnt lgkmcnt(0)
	; wave barrier
	s_waitcnt lgkmcnt(0)
	s_and_saveexec_b64 s[4:5], s[2:3]
	s_cbranch_execz .LBB108_243
; %bb.236:
	ds_read_b128 v[2:5], v9
	s_andn2_b64 vcc, exec, s[6:7]
	s_cbranch_vccnz .LBB108_238
; %bb.237:
	scratch_load_dwordx4 v[144:147], v8, off
	s_waitcnt vmcnt(0) lgkmcnt(0)
	v_mul_f64 v[6:7], v[4:5], v[146:147]
	v_mul_f64 v[146:147], v[2:3], v[146:147]
	v_fmac_f64_e32 v[146:147], v[4:5], v[144:145]
	v_fma_f64 v[2:3], v[2:3], v[144:145], -v[6:7]
	v_mov_b64_e32 v[4:5], v[146:147]
.LBB108_238:
	s_and_saveexec_b64 s[8:9], s[0:1]
	s_cbranch_execz .LBB108_242
; %bb.239:
	v_mov_b32_e32 v7, 0
	v_add_u32_e32 v6, -15, v0
	v_add_u32_e32 v7, 0xf8, v7
	s_movk_i32 s10, 0x3c0
	s_mov_b64 s[0:1], 0
.LBB108_240:                            ; =>This Inner Loop Header: Depth=1
	v_add_u32_e32 v144, -8, v7
	scratch_load_dwordx4 v[144:147], v144, off
	v_mov_b32_e32 v148, s10
	ds_read_b128 v[148:151], v148
	v_add_u32_e32 v6, -1, v6
	s_add_i32 s10, s10, 16
	v_cmp_eq_u32_e32 vcc, 0, v6
	v_add_u32_e32 v7, 16, v7
	s_or_b64 s[0:1], vcc, s[0:1]
	s_waitcnt vmcnt(0) lgkmcnt(0)
	v_mul_f64 v[152:153], v[150:151], v[146:147]
	v_mul_f64 v[146:147], v[148:149], v[146:147]
	v_fma_f64 v[148:149], v[148:149], v[144:145], -v[152:153]
	v_fmac_f64_e32 v[146:147], v[150:151], v[144:145]
	v_add_f64 v[2:3], v[2:3], v[148:149]
	v_add_f64 v[4:5], v[4:5], v[146:147]
	s_andn2_b64 exec, exec, s[0:1]
	s_cbranch_execnz .LBB108_240
; %bb.241:
	s_or_b64 exec, exec, s[0:1]
.LBB108_242:
	s_or_b64 exec, exec, s[8:9]
	v_mov_b32_e32 v6, 0
	ds_read_b128 v[144:147], v6 offset:224
	s_waitcnt lgkmcnt(0)
	v_mul_f64 v[6:7], v[4:5], v[146:147]
	v_mul_f64 v[148:149], v[2:3], v[146:147]
	v_fma_f64 v[146:147], v[2:3], v[144:145], -v[6:7]
	v_fmac_f64_e32 v[148:149], v[4:5], v[144:145]
	scratch_store_dwordx4 off, v[146:149], off offset:224
.LBB108_243:
	;; [unrolled: 63-line block ×15, first 2 shown]
	s_or_b64 exec, exec, s[4:5]
	scratch_load_dwordx4 v[2:5], off, off
	v_cmp_ne_u32_e32 vcc, 0, v0
	s_mov_b64 s[2:3], 0
	s_mov_b64 s[4:5], 0
                                        ; implicit-def: $vgpr6_vgpr7
                                        ; implicit-def: $vgpr144
	s_waitcnt vmcnt(0)
	ds_write_b128 v9, v[2:5]
	s_waitcnt lgkmcnt(0)
	; wave barrier
	s_waitcnt lgkmcnt(0)
	s_and_saveexec_b64 s[8:9], vcc
	s_cbranch_execz .LBB108_355
; %bb.348:
	ds_read_b128 v[2:5], v9
	s_andn2_b64 vcc, exec, s[6:7]
	s_cbranch_vccnz .LBB108_350
; %bb.349:
	scratch_load_dwordx4 v[144:147], v8, off
	s_waitcnt vmcnt(0) lgkmcnt(0)
	v_mul_f64 v[6:7], v[4:5], v[146:147]
	v_mul_f64 v[146:147], v[2:3], v[146:147]
	v_fmac_f64_e32 v[146:147], v[4:5], v[144:145]
	v_fma_f64 v[2:3], v[2:3], v[144:145], -v[6:7]
	v_mov_b64_e32 v[4:5], v[146:147]
.LBB108_350:
	s_and_saveexec_b64 s[4:5], s[0:1]
	s_cbranch_execz .LBB108_354
; %bb.351:
	v_mov_b32_e32 v7, 0
	v_add_u32_e32 v6, -1, v0
	v_add_u32_e32 v7, 24, v7
	s_movk_i32 s10, 0x2e0
	s_mov_b64 s[0:1], 0
.LBB108_352:                            ; =>This Inner Loop Header: Depth=1
	v_add_u32_e32 v144, -8, v7
	scratch_load_dwordx4 v[144:147], v144, off
	v_mov_b32_e32 v148, s10
	ds_read_b128 v[148:151], v148
	v_add_u32_e32 v6, -1, v6
	s_add_i32 s10, s10, 16
	v_cmp_eq_u32_e32 vcc, 0, v6
	v_add_u32_e32 v7, 16, v7
	s_or_b64 s[0:1], vcc, s[0:1]
	s_waitcnt vmcnt(0) lgkmcnt(0)
	v_mul_f64 v[152:153], v[150:151], v[146:147]
	v_mul_f64 v[146:147], v[148:149], v[146:147]
	v_fma_f64 v[148:149], v[148:149], v[144:145], -v[152:153]
	v_fmac_f64_e32 v[146:147], v[150:151], v[144:145]
	v_add_f64 v[2:3], v[2:3], v[148:149]
	v_add_f64 v[4:5], v[4:5], v[146:147]
	s_andn2_b64 exec, exec, s[0:1]
	s_cbranch_execnz .LBB108_352
; %bb.353:
	s_or_b64 exec, exec, s[0:1]
.LBB108_354:
	s_or_b64 exec, exec, s[4:5]
	v_mov_b32_e32 v6, 0
	ds_read_b128 v[146:149], v6
	v_mov_b32_e32 v6, 0
	v_or_b32_e32 v144, 8, v6
	s_mov_b64 s[4:5], exec
	s_waitcnt lgkmcnt(0)
	v_mul_f64 v[150:151], v[4:5], v[148:149]
	v_mul_f64 v[6:7], v[2:3], v[148:149]
	v_fma_f64 v[2:3], v[2:3], v[146:147], -v[150:151]
	v_fmac_f64_e32 v[6:7], v[4:5], v[146:147]
	scratch_store_dwordx2 off, v[2:3], off
.LBB108_355:
	s_or_b64 exec, exec, s[8:9]
	s_and_b64 vcc, exec, s[2:3]
	s_cbranch_vccnz .LBB108_357
	s_branch .LBB108_704
.LBB108_356:
	s_mov_b64 s[4:5], 0
                                        ; implicit-def: $vgpr6_vgpr7
                                        ; implicit-def: $vgpr144
	s_cbranch_execz .LBB108_704
.LBB108_357:
	scratch_load_dwordx4 v[2:5], v143, off
	v_cndmask_b32_e64 v6, 0, 1, s[6:7]
	v_cmp_eq_u32_e64 s[2:3], 0, v0
	v_cmp_ne_u32_e64 s[0:1], 1, v6
	s_waitcnt vmcnt(0)
	ds_write_b128 v9, v[2:5]
	s_waitcnt lgkmcnt(0)
	; wave barrier
	s_waitcnt lgkmcnt(0)
	s_and_saveexec_b64 s[6:7], s[2:3]
	s_cbranch_execz .LBB108_361
; %bb.358:
	ds_read_b128 v[2:5], v9
	s_and_b64 vcc, exec, s[0:1]
	s_cbranch_vccnz .LBB108_360
; %bb.359:
	scratch_load_dwordx4 v[144:147], v8, off
	s_waitcnt vmcnt(0) lgkmcnt(0)
	v_mul_f64 v[6:7], v[4:5], v[146:147]
	v_mul_f64 v[146:147], v[2:3], v[146:147]
	v_fmac_f64_e32 v[146:147], v[4:5], v[144:145]
	v_fma_f64 v[2:3], v[2:3], v[144:145], -v[6:7]
	v_mov_b64_e32 v[4:5], v[146:147]
.LBB108_360:
	v_mov_b32_e32 v6, 0
	ds_read_b128 v[144:147], v6 offset:16
	s_waitcnt lgkmcnt(0)
	v_mul_f64 v[6:7], v[4:5], v[146:147]
	v_mul_f64 v[148:149], v[2:3], v[146:147]
	v_fma_f64 v[146:147], v[2:3], v[144:145], -v[6:7]
	v_fmac_f64_e32 v[148:149], v[4:5], v[144:145]
	scratch_store_dwordx4 off, v[146:149], off offset:16
.LBB108_361:
	s_or_b64 exec, exec, s[6:7]
	scratch_load_dwordx4 v[2:5], v142, off
	v_cmp_gt_u32_e32 vcc, 2, v0
	s_waitcnt vmcnt(0)
	ds_write_b128 v9, v[2:5]
	s_waitcnt lgkmcnt(0)
	; wave barrier
	s_waitcnt lgkmcnt(0)
	s_and_saveexec_b64 s[6:7], vcc
	s_cbranch_execz .LBB108_367
; %bb.362:
	ds_read_b128 v[2:5], v9
	s_and_b64 vcc, exec, s[0:1]
	s_cbranch_vccnz .LBB108_364
; %bb.363:
	scratch_load_dwordx4 v[144:147], v8, off
	s_waitcnt vmcnt(0) lgkmcnt(0)
	v_mul_f64 v[6:7], v[4:5], v[146:147]
	v_mul_f64 v[146:147], v[2:3], v[146:147]
	v_fmac_f64_e32 v[146:147], v[4:5], v[144:145]
	v_fma_f64 v[2:3], v[2:3], v[144:145], -v[6:7]
	v_mov_b64_e32 v[4:5], v[146:147]
.LBB108_364:
	s_and_saveexec_b64 s[8:9], s[2:3]
	s_cbranch_execz .LBB108_366
; %bb.365:
	scratch_load_dwordx4 v[144:147], v8, off offset:16
	ds_read_b128 v[148:151], v9 offset:16
	s_waitcnt vmcnt(0) lgkmcnt(0)
	v_mul_f64 v[6:7], v[150:151], v[146:147]
	v_mul_f64 v[146:147], v[148:149], v[146:147]
	v_fma_f64 v[6:7], v[148:149], v[144:145], -v[6:7]
	v_fmac_f64_e32 v[146:147], v[150:151], v[144:145]
	v_add_f64 v[2:3], v[2:3], v[6:7]
	v_add_f64 v[4:5], v[4:5], v[146:147]
.LBB108_366:
	s_or_b64 exec, exec, s[8:9]
	v_mov_b32_e32 v6, 0
	ds_read_b128 v[144:147], v6 offset:32
	s_waitcnt lgkmcnt(0)
	v_mul_f64 v[6:7], v[4:5], v[146:147]
	v_mul_f64 v[148:149], v[2:3], v[146:147]
	v_fma_f64 v[146:147], v[2:3], v[144:145], -v[6:7]
	v_fmac_f64_e32 v[148:149], v[4:5], v[144:145]
	scratch_store_dwordx4 off, v[146:149], off offset:32
.LBB108_367:
	s_or_b64 exec, exec, s[6:7]
	scratch_load_dwordx4 v[2:5], v141, off
	v_cmp_gt_u32_e32 vcc, 3, v0
	s_waitcnt vmcnt(0)
	ds_write_b128 v9, v[2:5]
	s_waitcnt lgkmcnt(0)
	; wave barrier
	s_waitcnt lgkmcnt(0)
	s_and_saveexec_b64 s[6:7], vcc
	s_cbranch_execz .LBB108_375
; %bb.368:
	ds_read_b128 v[2:5], v9
	s_and_b64 vcc, exec, s[0:1]
	s_cbranch_vccnz .LBB108_370
; %bb.369:
	scratch_load_dwordx4 v[144:147], v8, off
	s_waitcnt vmcnt(0) lgkmcnt(0)
	v_mul_f64 v[6:7], v[4:5], v[146:147]
	v_mul_f64 v[146:147], v[2:3], v[146:147]
	v_fmac_f64_e32 v[146:147], v[4:5], v[144:145]
	v_fma_f64 v[2:3], v[2:3], v[144:145], -v[6:7]
	v_mov_b64_e32 v[4:5], v[146:147]
.LBB108_370:
	v_cmp_ne_u32_e32 vcc, 2, v0
	s_and_saveexec_b64 s[8:9], vcc
	s_cbranch_execz .LBB108_374
; %bb.371:
	scratch_load_dwordx4 v[144:147], v8, off offset:16
	ds_read_b128 v[148:151], v9 offset:16
	s_waitcnt vmcnt(0) lgkmcnt(0)
	v_mul_f64 v[6:7], v[150:151], v[146:147]
	v_mul_f64 v[146:147], v[148:149], v[146:147]
	v_fma_f64 v[6:7], v[148:149], v[144:145], -v[6:7]
	v_fmac_f64_e32 v[146:147], v[150:151], v[144:145]
	v_add_f64 v[2:3], v[2:3], v[6:7]
	v_add_f64 v[4:5], v[4:5], v[146:147]
	s_and_saveexec_b64 s[10:11], s[2:3]
	s_cbranch_execz .LBB108_373
; %bb.372:
	scratch_load_dwordx4 v[144:147], off, off offset:32
	v_mov_b32_e32 v6, 0
	ds_read_b128 v[148:151], v6 offset:752
	s_waitcnt vmcnt(0) lgkmcnt(0)
	v_mul_f64 v[6:7], v[148:149], v[146:147]
	v_mul_f64 v[146:147], v[150:151], v[146:147]
	v_fmac_f64_e32 v[6:7], v[150:151], v[144:145]
	v_fma_f64 v[144:145], v[148:149], v[144:145], -v[146:147]
	v_add_f64 v[4:5], v[4:5], v[6:7]
	v_add_f64 v[2:3], v[2:3], v[144:145]
.LBB108_373:
	s_or_b64 exec, exec, s[10:11]
.LBB108_374:
	s_or_b64 exec, exec, s[8:9]
	v_mov_b32_e32 v6, 0
	ds_read_b128 v[144:147], v6 offset:48
	s_waitcnt lgkmcnt(0)
	v_mul_f64 v[6:7], v[4:5], v[146:147]
	v_mul_f64 v[148:149], v[2:3], v[146:147]
	v_fma_f64 v[146:147], v[2:3], v[144:145], -v[6:7]
	v_fmac_f64_e32 v[148:149], v[4:5], v[144:145]
	scratch_store_dwordx4 off, v[146:149], off offset:48
.LBB108_375:
	s_or_b64 exec, exec, s[6:7]
	scratch_load_dwordx4 v[2:5], v140, off
	v_cmp_gt_u32_e32 vcc, 4, v0
	s_waitcnt vmcnt(0)
	ds_write_b128 v9, v[2:5]
	s_waitcnt lgkmcnt(0)
	; wave barrier
	s_waitcnt lgkmcnt(0)
	s_and_saveexec_b64 s[2:3], vcc
	s_cbranch_execz .LBB108_383
; %bb.376:
	ds_read_b128 v[2:5], v9
	s_and_b64 vcc, exec, s[0:1]
	s_cbranch_vccnz .LBB108_378
; %bb.377:
	scratch_load_dwordx4 v[144:147], v8, off
	s_waitcnt vmcnt(0) lgkmcnt(0)
	v_mul_f64 v[6:7], v[4:5], v[146:147]
	v_mul_f64 v[146:147], v[2:3], v[146:147]
	v_fmac_f64_e32 v[146:147], v[4:5], v[144:145]
	v_fma_f64 v[2:3], v[2:3], v[144:145], -v[6:7]
	v_mov_b64_e32 v[4:5], v[146:147]
.LBB108_378:
	v_cmp_ne_u32_e32 vcc, 3, v0
	s_and_saveexec_b64 s[6:7], vcc
	s_cbranch_execz .LBB108_382
; %bb.379:
	v_mov_b32_e32 v7, 0
	v_add_u32_e32 v6, 0x2e0, v58
	v_add3_u32 v7, v58, v7, 24
	s_mov_b64 s[8:9], 0
	v_mov_b32_e32 v144, v0
.LBB108_380:                            ; =>This Inner Loop Header: Depth=1
	v_add_u32_e32 v145, -8, v7
	scratch_load_dwordx4 v[146:149], v145, off
	ds_read_b128 v[150:153], v6
	v_add_u32_e32 v144, 1, v144
	v_cmp_lt_u32_e32 vcc, 2, v144
	v_add_u32_e32 v6, 16, v6
	v_add_u32_e32 v7, 16, v7
	s_or_b64 s[8:9], vcc, s[8:9]
	s_waitcnt vmcnt(0) lgkmcnt(0)
	v_mul_f64 v[154:155], v[152:153], v[148:149]
	v_mul_f64 v[148:149], v[150:151], v[148:149]
	v_fma_f64 v[150:151], v[150:151], v[146:147], -v[154:155]
	v_fmac_f64_e32 v[148:149], v[152:153], v[146:147]
	v_add_f64 v[2:3], v[2:3], v[150:151]
	v_add_f64 v[4:5], v[4:5], v[148:149]
	s_andn2_b64 exec, exec, s[8:9]
	s_cbranch_execnz .LBB108_380
; %bb.381:
	s_or_b64 exec, exec, s[8:9]
.LBB108_382:
	s_or_b64 exec, exec, s[6:7]
	v_mov_b32_e32 v6, 0
	ds_read_b128 v[144:147], v6 offset:64
	s_waitcnt lgkmcnt(0)
	v_mul_f64 v[6:7], v[4:5], v[146:147]
	v_mul_f64 v[148:149], v[2:3], v[146:147]
	v_fma_f64 v[146:147], v[2:3], v[144:145], -v[6:7]
	v_fmac_f64_e32 v[148:149], v[4:5], v[144:145]
	scratch_store_dwordx4 off, v[146:149], off offset:64
.LBB108_383:
	s_or_b64 exec, exec, s[2:3]
	scratch_load_dwordx4 v[2:5], v139, off
	v_cmp_gt_u32_e32 vcc, 5, v0
	s_waitcnt vmcnt(0)
	ds_write_b128 v9, v[2:5]
	s_waitcnt lgkmcnt(0)
	; wave barrier
	s_waitcnt lgkmcnt(0)
	s_and_saveexec_b64 s[2:3], vcc
	s_cbranch_execz .LBB108_391
; %bb.384:
	ds_read_b128 v[2:5], v9
	s_and_b64 vcc, exec, s[0:1]
	s_cbranch_vccnz .LBB108_386
; %bb.385:
	scratch_load_dwordx4 v[144:147], v8, off
	s_waitcnt vmcnt(0) lgkmcnt(0)
	v_mul_f64 v[6:7], v[4:5], v[146:147]
	v_mul_f64 v[146:147], v[2:3], v[146:147]
	v_fmac_f64_e32 v[146:147], v[4:5], v[144:145]
	v_fma_f64 v[2:3], v[2:3], v[144:145], -v[6:7]
	v_mov_b64_e32 v[4:5], v[146:147]
.LBB108_386:
	v_cmp_ne_u32_e32 vcc, 4, v0
	s_and_saveexec_b64 s[6:7], vcc
	s_cbranch_execz .LBB108_390
; %bb.387:
	v_mov_b32_e32 v7, 0
	v_add_u32_e32 v6, 0x2e0, v58
	v_add3_u32 v7, v58, v7, 24
	s_mov_b64 s[8:9], 0
	v_mov_b32_e32 v144, v0
.LBB108_388:                            ; =>This Inner Loop Header: Depth=1
	v_add_u32_e32 v145, -8, v7
	scratch_load_dwordx4 v[146:149], v145, off
	ds_read_b128 v[150:153], v6
	v_add_u32_e32 v144, 1, v144
	v_cmp_lt_u32_e32 vcc, 3, v144
	v_add_u32_e32 v6, 16, v6
	v_add_u32_e32 v7, 16, v7
	s_or_b64 s[8:9], vcc, s[8:9]
	s_waitcnt vmcnt(0) lgkmcnt(0)
	v_mul_f64 v[154:155], v[152:153], v[148:149]
	v_mul_f64 v[148:149], v[150:151], v[148:149]
	v_fma_f64 v[150:151], v[150:151], v[146:147], -v[154:155]
	v_fmac_f64_e32 v[148:149], v[152:153], v[146:147]
	v_add_f64 v[2:3], v[2:3], v[150:151]
	v_add_f64 v[4:5], v[4:5], v[148:149]
	s_andn2_b64 exec, exec, s[8:9]
	s_cbranch_execnz .LBB108_388
; %bb.389:
	s_or_b64 exec, exec, s[8:9]
.LBB108_390:
	s_or_b64 exec, exec, s[6:7]
	v_mov_b32_e32 v6, 0
	ds_read_b128 v[144:147], v6 offset:80
	s_waitcnt lgkmcnt(0)
	v_mul_f64 v[6:7], v[4:5], v[146:147]
	v_mul_f64 v[148:149], v[2:3], v[146:147]
	v_fma_f64 v[146:147], v[2:3], v[144:145], -v[6:7]
	v_fmac_f64_e32 v[148:149], v[4:5], v[144:145]
	scratch_store_dwordx4 off, v[146:149], off offset:80
.LBB108_391:
	;; [unrolled: 63-line block ×39, first 2 shown]
	s_or_b64 exec, exec, s[2:3]
	scratch_load_dwordx4 v[2:5], v10, off
	v_cmp_gt_u32_e64 s[2:3], 43, v0
	s_waitcnt vmcnt(0)
	ds_write_b128 v9, v[2:5]
	s_waitcnt lgkmcnt(0)
	; wave barrier
	s_waitcnt lgkmcnt(0)
	s_and_saveexec_b64 s[6:7], s[2:3]
	s_cbranch_execz .LBB108_695
; %bb.688:
	ds_read_b128 v[2:5], v9
	s_and_b64 vcc, exec, s[0:1]
	s_cbranch_vccnz .LBB108_690
; %bb.689:
	scratch_load_dwordx4 v[144:147], v8, off
	s_waitcnt vmcnt(0) lgkmcnt(0)
	v_mul_f64 v[6:7], v[4:5], v[146:147]
	v_mul_f64 v[146:147], v[2:3], v[146:147]
	v_fmac_f64_e32 v[146:147], v[4:5], v[144:145]
	v_fma_f64 v[2:3], v[2:3], v[144:145], -v[6:7]
	v_mov_b64_e32 v[4:5], v[146:147]
.LBB108_690:
	v_cmp_ne_u32_e32 vcc, 42, v0
	s_and_saveexec_b64 s[8:9], vcc
	s_cbranch_execz .LBB108_694
; %bb.691:
	v_mov_b32_e32 v7, 0
	v_add_u32_e32 v6, 0x2e0, v58
	v_add3_u32 v7, v58, v7, 24
	s_mov_b64 s[10:11], 0
	v_mov_b32_e32 v144, v0
.LBB108_692:                            ; =>This Inner Loop Header: Depth=1
	v_add_u32_e32 v145, -8, v7
	scratch_load_dwordx4 v[146:149], v145, off
	ds_read_b128 v[150:153], v6
	v_add_u32_e32 v144, 1, v144
	v_cmp_lt_u32_e32 vcc, 41, v144
	v_add_u32_e32 v6, 16, v6
	v_add_u32_e32 v7, 16, v7
	s_or_b64 s[10:11], vcc, s[10:11]
	s_waitcnt vmcnt(0) lgkmcnt(0)
	v_mul_f64 v[154:155], v[152:153], v[148:149]
	v_mul_f64 v[148:149], v[150:151], v[148:149]
	v_fma_f64 v[150:151], v[150:151], v[146:147], -v[154:155]
	v_fmac_f64_e32 v[148:149], v[152:153], v[146:147]
	v_add_f64 v[2:3], v[2:3], v[150:151]
	v_add_f64 v[4:5], v[4:5], v[148:149]
	s_andn2_b64 exec, exec, s[10:11]
	s_cbranch_execnz .LBB108_692
; %bb.693:
	s_or_b64 exec, exec, s[10:11]
.LBB108_694:
	s_or_b64 exec, exec, s[8:9]
	v_mov_b32_e32 v6, 0
	ds_read_b128 v[144:147], v6 offset:688
	s_waitcnt lgkmcnt(0)
	v_mul_f64 v[6:7], v[4:5], v[146:147]
	v_mul_f64 v[148:149], v[2:3], v[146:147]
	v_fma_f64 v[146:147], v[2:3], v[144:145], -v[6:7]
	v_fmac_f64_e32 v[148:149], v[4:5], v[144:145]
	scratch_store_dwordx4 off, v[146:149], off offset:688
.LBB108_695:
	s_or_b64 exec, exec, s[6:7]
	scratch_load_dwordx4 v[2:5], v1, off
	v_cmp_ne_u32_e32 vcc, 44, v0
                                        ; implicit-def: $vgpr6_vgpr7
                                        ; implicit-def: $vgpr144
	s_waitcnt vmcnt(0)
	ds_write_b128 v9, v[2:5]
	s_waitcnt lgkmcnt(0)
	; wave barrier
	s_waitcnt lgkmcnt(0)
	s_and_saveexec_b64 s[6:7], vcc
	s_cbranch_execz .LBB108_703
; %bb.696:
	ds_read_b128 v[2:5], v9
	s_and_b64 vcc, exec, s[0:1]
	s_cbranch_vccnz .LBB108_698
; %bb.697:
	scratch_load_dwordx4 v[6:9], v8, off
	s_waitcnt vmcnt(0) lgkmcnt(0)
	v_mul_f64 v[144:145], v[4:5], v[8:9]
	v_mul_f64 v[8:9], v[2:3], v[8:9]
	v_fmac_f64_e32 v[8:9], v[4:5], v[6:7]
	v_fma_f64 v[2:3], v[2:3], v[6:7], -v[144:145]
	v_mov_b64_e32 v[4:5], v[8:9]
.LBB108_698:
	s_and_saveexec_b64 s[0:1], s[2:3]
	s_cbranch_execz .LBB108_702
; %bb.699:
	v_mov_b32_e32 v7, 0
	v_add_u32_e32 v6, 0x2e0, v58
	v_add3_u32 v7, v58, v7, 24
	s_mov_b64 s[2:3], 0
.LBB108_700:                            ; =>This Inner Loop Header: Depth=1
	v_add_u32_e32 v8, -8, v7
	scratch_load_dwordx4 v[144:147], v8, off
	ds_read_b128 v[148:151], v6
	v_add_u32_e32 v0, 1, v0
	v_cmp_lt_u32_e32 vcc, 42, v0
	v_add_u32_e32 v6, 16, v6
	v_add_u32_e32 v7, 16, v7
	s_or_b64 s[2:3], vcc, s[2:3]
	s_waitcnt vmcnt(0) lgkmcnt(0)
	v_mul_f64 v[8:9], v[150:151], v[146:147]
	v_mul_f64 v[146:147], v[148:149], v[146:147]
	v_fma_f64 v[8:9], v[148:149], v[144:145], -v[8:9]
	v_fmac_f64_e32 v[146:147], v[150:151], v[144:145]
	v_add_f64 v[2:3], v[2:3], v[8:9]
	v_add_f64 v[4:5], v[4:5], v[146:147]
	s_andn2_b64 exec, exec, s[2:3]
	s_cbranch_execnz .LBB108_700
; %bb.701:
	s_or_b64 exec, exec, s[2:3]
.LBB108_702:
	s_or_b64 exec, exec, s[0:1]
	v_mov_b32_e32 v0, 0
	ds_read_b128 v[146:149], v0 offset:704
	v_mov_b32_e32 v0, 0
	v_add_u32_e32 v144, 0x2c8, v0
	s_or_b64 s[4:5], s[4:5], exec
	s_waitcnt lgkmcnt(0)
	v_mul_f64 v[8:9], v[4:5], v[148:149]
	v_mul_f64 v[6:7], v[2:3], v[148:149]
	v_fma_f64 v[2:3], v[2:3], v[146:147], -v[8:9]
	v_fmac_f64_e32 v[6:7], v[4:5], v[146:147]
	scratch_store_dwordx2 off, v[2:3], off offset:704
.LBB108_703:
	s_or_b64 exec, exec, s[6:7]
.LBB108_704:
	s_and_saveexec_b64 s[0:1], s[4:5]
	s_cbranch_execz .LBB108_706
; %bb.705:
	scratch_store_dwordx2 v144, v[6:7], off
.LBB108_706:
	s_or_b64 exec, exec, s[0:1]
	scratch_load_dwordx4 v[2:5], off, off
	scratch_load_dwordx4 v[6:9], v143, off
	s_nop 0
	scratch_load_dwordx4 v[142:145], v142, off
	s_nop 0
	scratch_load_dwordx4 v[146:149], v141, off
	scratch_load_dwordx4 v[150:153], v140, off
	;; [unrolled: 1-line block ×3, first 2 shown]
	s_nop 0
	scratch_load_dwordx4 v[138:141], v138, off
	s_nop 0
	scratch_load_dwordx4 v[158:161], v137, off
	scratch_load_dwordx4 v[162:165], v136, off
	s_waitcnt vmcnt(8)
	global_store_dwordx4 v[12:13], v[2:5], off
	scratch_load_dwordx4 v[2:5], v135, off
	s_nop 0
	scratch_load_dwordx4 v[134:137], v134, off
	s_waitcnt vmcnt(10)
	global_store_dwordx4 v[14:15], v[6:9], off
	scratch_load_dwordx4 v[6:9], v133, off
	s_nop 0
	;; [unrolled: 5-line block ×18, first 2 shown]
	scratch_load_dwordx4 v[150:153], v1, off
	s_waitcnt vmcnt(39)
	global_store_dwordx4 v[48:49], v[126:129], off
	s_waitcnt vmcnt(38)
	global_store_dwordx4 v[50:51], v[20:23], off
	;; [unrolled: 2-line block ×27, first 2 shown]
.LBB108_707:
	s_endpgm
	.section	.rodata,"a",@progbits
	.p2align	6, 0x0
	.amdhsa_kernel _ZN9rocsolver6v33100L18trti2_kernel_smallILi45E19rocblas_complex_numIdEPKPS3_EEv13rocblas_fill_17rocblas_diagonal_T1_iil
		.amdhsa_group_segment_fixed_size 1440
		.amdhsa_private_segment_fixed_size 736
		.amdhsa_kernarg_size 32
		.amdhsa_user_sgpr_count 2
		.amdhsa_user_sgpr_dispatch_ptr 0
		.amdhsa_user_sgpr_queue_ptr 0
		.amdhsa_user_sgpr_kernarg_segment_ptr 1
		.amdhsa_user_sgpr_dispatch_id 0
		.amdhsa_user_sgpr_kernarg_preload_length 0
		.amdhsa_user_sgpr_kernarg_preload_offset 0
		.amdhsa_user_sgpr_private_segment_size 0
		.amdhsa_uses_dynamic_stack 0
		.amdhsa_enable_private_segment 1
		.amdhsa_system_sgpr_workgroup_id_x 1
		.amdhsa_system_sgpr_workgroup_id_y 0
		.amdhsa_system_sgpr_workgroup_id_z 0
		.amdhsa_system_sgpr_workgroup_info 0
		.amdhsa_system_vgpr_workitem_id 0
		.amdhsa_next_free_vgpr 170
		.amdhsa_next_free_sgpr 12
		.amdhsa_accum_offset 172
		.amdhsa_reserve_vcc 1
		.amdhsa_float_round_mode_32 0
		.amdhsa_float_round_mode_16_64 0
		.amdhsa_float_denorm_mode_32 3
		.amdhsa_float_denorm_mode_16_64 3
		.amdhsa_dx10_clamp 1
		.amdhsa_ieee_mode 1
		.amdhsa_fp16_overflow 0
		.amdhsa_tg_split 0
		.amdhsa_exception_fp_ieee_invalid_op 0
		.amdhsa_exception_fp_denorm_src 0
		.amdhsa_exception_fp_ieee_div_zero 0
		.amdhsa_exception_fp_ieee_overflow 0
		.amdhsa_exception_fp_ieee_underflow 0
		.amdhsa_exception_fp_ieee_inexact 0
		.amdhsa_exception_int_div_zero 0
	.end_amdhsa_kernel
	.section	.text._ZN9rocsolver6v33100L18trti2_kernel_smallILi45E19rocblas_complex_numIdEPKPS3_EEv13rocblas_fill_17rocblas_diagonal_T1_iil,"axG",@progbits,_ZN9rocsolver6v33100L18trti2_kernel_smallILi45E19rocblas_complex_numIdEPKPS3_EEv13rocblas_fill_17rocblas_diagonal_T1_iil,comdat
.Lfunc_end108:
	.size	_ZN9rocsolver6v33100L18trti2_kernel_smallILi45E19rocblas_complex_numIdEPKPS3_EEv13rocblas_fill_17rocblas_diagonal_T1_iil, .Lfunc_end108-_ZN9rocsolver6v33100L18trti2_kernel_smallILi45E19rocblas_complex_numIdEPKPS3_EEv13rocblas_fill_17rocblas_diagonal_T1_iil
                                        ; -- End function
	.section	.AMDGPU.csdata,"",@progbits
; Kernel info:
; codeLenInByte = 29668
; NumSgprs: 18
; NumVgprs: 170
; NumAgprs: 0
; TotalNumVgprs: 170
; ScratchSize: 736
; MemoryBound: 0
; FloatMode: 240
; IeeeMode: 1
; LDSByteSize: 1440 bytes/workgroup (compile time only)
; SGPRBlocks: 2
; VGPRBlocks: 21
; NumSGPRsForWavesPerEU: 18
; NumVGPRsForWavesPerEU: 170
; AccumOffset: 172
; Occupancy: 2
; WaveLimiterHint : 1
; COMPUTE_PGM_RSRC2:SCRATCH_EN: 1
; COMPUTE_PGM_RSRC2:USER_SGPR: 2
; COMPUTE_PGM_RSRC2:TRAP_HANDLER: 0
; COMPUTE_PGM_RSRC2:TGID_X_EN: 1
; COMPUTE_PGM_RSRC2:TGID_Y_EN: 0
; COMPUTE_PGM_RSRC2:TGID_Z_EN: 0
; COMPUTE_PGM_RSRC2:TIDIG_COMP_CNT: 0
; COMPUTE_PGM_RSRC3_GFX90A:ACCUM_OFFSET: 42
; COMPUTE_PGM_RSRC3_GFX90A:TG_SPLIT: 0
	.section	.text._ZN9rocsolver6v33100L18trti2_kernel_smallILi46E19rocblas_complex_numIdEPKPS3_EEv13rocblas_fill_17rocblas_diagonal_T1_iil,"axG",@progbits,_ZN9rocsolver6v33100L18trti2_kernel_smallILi46E19rocblas_complex_numIdEPKPS3_EEv13rocblas_fill_17rocblas_diagonal_T1_iil,comdat
	.globl	_ZN9rocsolver6v33100L18trti2_kernel_smallILi46E19rocblas_complex_numIdEPKPS3_EEv13rocblas_fill_17rocblas_diagonal_T1_iil ; -- Begin function _ZN9rocsolver6v33100L18trti2_kernel_smallILi46E19rocblas_complex_numIdEPKPS3_EEv13rocblas_fill_17rocblas_diagonal_T1_iil
	.p2align	8
	.type	_ZN9rocsolver6v33100L18trti2_kernel_smallILi46E19rocblas_complex_numIdEPKPS3_EEv13rocblas_fill_17rocblas_diagonal_T1_iil,@function
_ZN9rocsolver6v33100L18trti2_kernel_smallILi46E19rocblas_complex_numIdEPKPS3_EEv13rocblas_fill_17rocblas_diagonal_T1_iil: ; @_ZN9rocsolver6v33100L18trti2_kernel_smallILi46E19rocblas_complex_numIdEPKPS3_EEv13rocblas_fill_17rocblas_diagonal_T1_iil
; %bb.0:
	v_cmp_gt_u32_e32 vcc, 46, v0
	s_and_saveexec_b64 s[4:5], vcc
	s_cbranch_execz .LBB109_723
; %bb.1:
	s_load_dwordx2 s[8:9], s[0:1], 0x10
	s_load_dwordx4 s[4:7], s[0:1], 0x0
	s_ashr_i32 s3, s2, 31
	s_lshl_b64 s[2:3], s[2:3], 3
	v_lshlrev_b32_e32 v104, 4, v0
	s_waitcnt lgkmcnt(0)
	s_ashr_i32 s1, s8, 31
	s_add_u32 s2, s6, s2
	s_addc_u32 s3, s7, s3
	s_load_dwordx2 s[2:3], s[2:3], 0x0
	s_mov_b32 s0, s8
	s_lshl_b64 s[0:1], s[0:1], 4
	v_mov_b32_e32 v105, 0
	v_mov_b32_e32 v1, 0
	s_waitcnt lgkmcnt(0)
	s_add_u32 s0, s2, s0
	s_addc_u32 s1, s3, s1
	s_add_i32 s2, s9, s9
	v_add_u32_e32 v6, s2, v0
	v_add_u32_e32 v10, s9, v6
	;; [unrolled: 1-line block ×11, first 2 shown]
	s_mov_b32 s2, s9
	s_ashr_i32 s3, s9, 31
	v_lshl_add_u64 v[38:39], s[0:1], 0, v[104:105]
	v_ashrrev_i32_e32 v11, 31, v10
	v_ashrrev_i32_e32 v15, 31, v14
	;; [unrolled: 1-line block ×6, first 2 shown]
	v_lshl_add_u64 v[36:37], s[2:3], 4, v[38:39]
	v_lshl_add_u64 v[34:35], v[10:11], 4, s[0:1]
	v_ashrrev_i32_e32 v13, 31, v12
	v_lshl_add_u64 v[32:33], v[14:15], 4, s[0:1]
	v_ashrrev_i32_e32 v17, 31, v16
	v_lshl_add_u64 v[26:27], v[18:19], 4, s[0:1]
	v_ashrrev_i32_e32 v21, 31, v20
	v_lshl_add_u64 v[22:23], v[22:23], 4, s[0:1]
	v_ashrrev_i32_e32 v69, 31, v68
	v_lshl_add_u64 v[18:19], v[76:77], 4, s[0:1]
	v_ashrrev_i32_e32 v85, 31, v84
	global_load_dwordx4 v[2:5], v104, s[0:1]
	v_lshl_add_u64 v[28:29], v[6:7], 4, s[0:1]
	global_load_dwordx4 v[6:9], v[36:37], off
	global_load_dwordx4 v[40:43], v[28:29], off
	v_lshl_add_u64 v[30:31], v[12:13], 4, s[0:1]
	global_load_dwordx4 v[44:47], v[34:35], off
	global_load_dwordx4 v[48:51], v[30:31], off
	;; [unrolled: 3-line block ×6, first 2 shown]
	v_add_u32_e32 v10, s9, v84
	v_add_u32_e32 v84, s9, v10
	;; [unrolled: 1-line block ×33, first 2 shown]
	v_ashrrev_i32_e32 v13, 31, v12
	v_lshl_add_u64 v[12:13], v[12:13], 4, s[0:1]
	v_ashrrev_i32_e32 v11, 31, v10
	v_ashrrev_i32_e32 v87, 31, v86
	;; [unrolled: 1-line block ×8, first 2 shown]
	global_load_dwordx4 v[106:109], v[12:13], off
	v_ashrrev_i32_e32 v85, 31, v84
	v_ashrrev_i32_e32 v89, 31, v88
	;; [unrolled: 1-line block ×3, first 2 shown]
	s_waitcnt vmcnt(13)
	scratch_store_dwordx4 off, v[2:5], off
	s_waitcnt vmcnt(13)
	scratch_store_dwordx4 off, v[6:9], off offset:16
	s_waitcnt vmcnt(13)
	scratch_store_dwordx4 off, v[40:43], off offset:32
	;; [unrolled: 2-line block ×12, first 2 shown]
	v_lshl_add_u64 v[54:55], v[10:11], 4, s[0:1]
	v_lshl_add_u64 v[52:53], v[86:87], 4, s[0:1]
	;; [unrolled: 1-line block ×4, first 2 shown]
	v_ashrrev_i32_e32 v97, 31, v96
	v_lshl_add_u64 v[56:57], v[98:99], 4, s[0:1]
	v_ashrrev_i32_e32 v101, 31, v100
	v_lshl_add_u64 v[60:61], v[110:111], 4, s[0:1]
	;; [unrolled: 2-line block ×5, first 2 shown]
	global_load_dwordx4 v[2:5], v[54:55], off
	global_load_dwordx4 v[6:9], v[50:51], off
	v_lshl_add_u64 v[44:45], v[88:89], 4, s[0:1]
	global_load_dwordx4 v[72:75], v[52:53], off
	global_load_dwordx4 v[76:79], v[44:45], off
	v_lshl_add_u64 v[40:41], v[92:93], 4, s[0:1]
	;; [unrolled: 3-line block ×7, first 2 shown]
	global_load_dwordx4 v[126:129], v[68:69], off
	global_load_dwordx4 v[130:133], v[70:71], off
	v_ashrrev_i32_e32 v135, 31, v134
	v_ashrrev_i32_e32 v139, 31, v138
	v_ashrrev_i32_e32 v143, 31, v142
	v_ashrrev_i32_e32 v147, 31, v146
	v_ashrrev_i32_e32 v151, 31, v150
	v_ashrrev_i32_e32 v155, 31, v154
	v_ashrrev_i32_e32 v159, 31, v158
	v_ashrrev_i32_e32 v163, 31, v162
	v_ashrrev_i32_e32 v137, 31, v136
	v_ashrrev_i32_e32 v141, 31, v140
	v_ashrrev_i32_e32 v145, 31, v144
	v_ashrrev_i32_e32 v149, 31, v148
	v_ashrrev_i32_e32 v153, 31, v152
	v_ashrrev_i32_e32 v157, 31, v156
	v_ashrrev_i32_e32 v161, 31, v160
	v_ashrrev_i32_e32 v165, 31, v164
	s_cmpk_lg_i32 s5, 0x84
	s_cselect_b64 s[6:7], -1, 0
	s_cmpk_eq_i32 s5, 0x84
	s_waitcnt vmcnt(15)
	scratch_store_dwordx4 off, v[2:5], off offset:208
	s_waitcnt vmcnt(15)
	scratch_store_dwordx4 off, v[6:9], off offset:224
	;; [unrolled: 2-line block ×16, first 2 shown]
	v_lshl_add_u64 v[72:73], v[134:135], 4, s[0:1]
	v_lshl_add_u64 v[76:77], v[138:139], 4, s[0:1]
	;; [unrolled: 1-line block ×9, first 2 shown]
	global_load_dwordx4 v[2:5], v[72:73], off
	global_load_dwordx4 v[6:9], v[74:75], off
	v_lshl_add_u64 v[78:79], v[140:141], 4, s[0:1]
	global_load_dwordx4 v[110:113], v[76:77], off
	global_load_dwordx4 v[114:117], v[78:79], off
	v_lshl_add_u64 v[82:83], v[144:145], 4, s[0:1]
	;; [unrolled: 3-line block ×7, first 2 shown]
	global_load_dwordx4 v[158:161], v[100:101], off
	global_load_dwordx4 v[162:165], v[102:103], off
	s_waitcnt vmcnt(15)
	scratch_store_dwordx4 off, v[2:5], off offset:464
	s_waitcnt vmcnt(15)
	scratch_store_dwordx4 off, v[6:9], off offset:480
	;; [unrolled: 2-line block ×16, first 2 shown]
	scratch_store_dwordx4 off, v[106:109], off offset:720
	s_cbranch_scc1 .LBB109_7
; %bb.2:
	scratch_load_dwordx4 v[8:11], v104, off
                                        ; implicit-def: $vgpr6_vgpr7
	s_waitcnt vmcnt(0)
	v_xor_b32_e32 v3, 0x80000000, v9
	v_cmp_gt_f64_e32 vcc, 0, v[8:9]
	v_xor_b32_e32 v4, 0x80000000, v11
	v_mov_b32_e32 v2, v8
	v_cndmask_b32_e32 v3, v9, v3, vcc
	v_cmp_gt_f64_e32 vcc, 0, v[10:11]
	s_nop 1
	v_cndmask_b32_e32 v5, v11, v4, vcc
	v_mov_b32_e32 v4, v10
	v_cmp_ngt_f64_e32 vcc, v[2:3], v[4:5]
                                        ; implicit-def: $vgpr2_vgpr3
	s_and_saveexec_b64 s[0:1], vcc
	s_xor_b64 s[0:1], exec, s[0:1]
	s_cbranch_execz .LBB109_4
; %bb.3:
	v_div_scale_f64 v[2:3], s[2:3], v[10:11], v[10:11], v[8:9]
	v_rcp_f64_e32 v[4:5], v[2:3]
	v_div_scale_f64 v[6:7], vcc, v[8:9], v[10:11], v[8:9]
	v_fma_f64 v[106:107], -v[2:3], v[4:5], 1.0
	v_fmac_f64_e32 v[4:5], v[4:5], v[106:107]
	v_fma_f64 v[106:107], -v[2:3], v[4:5], 1.0
	v_fmac_f64_e32 v[4:5], v[4:5], v[106:107]
	v_mul_f64 v[106:107], v[6:7], v[4:5]
	v_fma_f64 v[2:3], -v[2:3], v[106:107], v[6:7]
	v_div_fmas_f64 v[2:3], v[2:3], v[4:5], v[106:107]
	v_div_fixup_f64 v[2:3], v[2:3], v[10:11], v[8:9]
	v_fmac_f64_e32 v[10:11], v[8:9], v[2:3]
	v_div_scale_f64 v[4:5], s[2:3], v[10:11], v[10:11], 1.0
	v_rcp_f64_e32 v[6:7], v[4:5]
	s_nop 0
	v_fma_f64 v[8:9], -v[4:5], v[6:7], 1.0
	v_fmac_f64_e32 v[6:7], v[6:7], v[8:9]
	v_fma_f64 v[8:9], -v[4:5], v[6:7], 1.0
	v_fmac_f64_e32 v[6:7], v[6:7], v[8:9]
	v_div_scale_f64 v[8:9], vcc, 1.0, v[10:11], 1.0
	v_mul_f64 v[106:107], v[8:9], v[6:7]
	v_fma_f64 v[4:5], -v[4:5], v[106:107], v[8:9]
                                        ; implicit-def: $vgpr8_vgpr9
	s_nop 1
	v_div_fmas_f64 v[4:5], v[4:5], v[6:7], v[106:107]
	v_div_fixup_f64 v[4:5], v[4:5], v[10:11], 1.0
	v_mul_f64 v[2:3], v[2:3], v[4:5]
	v_xor_b32_e32 v5, 0x80000000, v5
	v_xor_b32_e32 v7, 0x80000000, v3
	v_mov_b32_e32 v6, v2
.LBB109_4:
	s_or_saveexec_b64 s[0:1], s[0:1]
	v_add_u32_e32 v105, 0, v104
	s_xor_b64 exec, exec, s[0:1]
	s_cbranch_execz .LBB109_6
; %bb.5:
	v_div_scale_f64 v[2:3], s[2:3], v[8:9], v[8:9], v[10:11]
	v_rcp_f64_e32 v[4:5], v[2:3]
	v_div_scale_f64 v[6:7], vcc, v[10:11], v[8:9], v[10:11]
	v_fma_f64 v[106:107], -v[2:3], v[4:5], 1.0
	v_fmac_f64_e32 v[4:5], v[4:5], v[106:107]
	v_fma_f64 v[106:107], -v[2:3], v[4:5], 1.0
	v_fmac_f64_e32 v[4:5], v[4:5], v[106:107]
	v_mul_f64 v[106:107], v[6:7], v[4:5]
	v_fma_f64 v[2:3], -v[2:3], v[106:107], v[6:7]
	v_div_fmas_f64 v[2:3], v[2:3], v[4:5], v[106:107]
	v_div_fixup_f64 v[4:5], v[2:3], v[8:9], v[10:11]
	v_fmac_f64_e32 v[8:9], v[10:11], v[4:5]
	v_div_scale_f64 v[2:3], s[2:3], v[8:9], v[8:9], 1.0
	v_rcp_f64_e32 v[6:7], v[2:3]
	s_nop 0
	v_fma_f64 v[10:11], -v[2:3], v[6:7], 1.0
	v_fmac_f64_e32 v[6:7], v[6:7], v[10:11]
	v_fma_f64 v[10:11], -v[2:3], v[6:7], 1.0
	v_fmac_f64_e32 v[6:7], v[6:7], v[10:11]
	v_div_scale_f64 v[10:11], vcc, 1.0, v[8:9], 1.0
	v_mul_f64 v[106:107], v[10:11], v[6:7]
	v_fma_f64 v[2:3], -v[2:3], v[106:107], v[10:11]
	s_nop 1
	v_div_fmas_f64 v[2:3], v[2:3], v[6:7], v[106:107]
	v_div_fixup_f64 v[2:3], v[2:3], v[8:9], 1.0
	v_xor_b32_e32 v7, 0x80000000, v3
	v_mov_b32_e32 v6, v2
	v_mul_f64 v[4:5], v[4:5], -v[2:3]
.LBB109_6:
	s_or_b64 exec, exec, s[0:1]
	scratch_store_dwordx4 v105, v[2:5], off
	s_nop 1
	v_xor_b32_e32 v5, 0x80000000, v5
	s_branch .LBB109_8
.LBB109_7:
	v_mov_b64_e32 v[4:5], 0
	v_mov_b64_e32 v[6:7], -1.0
.LBB109_8:
	v_mov_b32_e32 v8, v4
	v_mov_b32_e32 v9, v5
	v_add_u32_e32 v146, 16, v1
	v_add_u32_e32 v145, 32, v1
	;; [unrolled: 1-line block ×45, first 2 shown]
	ds_write_b128 v104, v[6:9]
	s_cmpk_eq_i32 s4, 0x79
	v_add_u32_e32 v9, 0x2e0, v104
	v_add_u32_e32 v8, 0, v104
	s_cbranch_scc1 .LBB109_364
; %bb.9:
	scratch_load_dwordx4 v[2:5], v10, off
	v_cmp_eq_u32_e64 s[0:1], 45, v0
	s_waitcnt vmcnt(0)
	ds_write_b128 v9, v[2:5]
	s_waitcnt lgkmcnt(0)
	; wave barrier
	s_waitcnt lgkmcnt(0)
	s_and_saveexec_b64 s[2:3], s[0:1]
	s_cbranch_execz .LBB109_13
; %bb.10:
	ds_read_b128 v[2:5], v9
	s_andn2_b64 vcc, exec, s[6:7]
	s_cbranch_vccnz .LBB109_12
; %bb.11:
	scratch_load_dwordx4 v[148:151], v8, off
	s_waitcnt vmcnt(0) lgkmcnt(0)
	v_mul_f64 v[6:7], v[4:5], v[150:151]
	v_mul_f64 v[150:151], v[2:3], v[150:151]
	v_fmac_f64_e32 v[150:151], v[4:5], v[148:149]
	v_fma_f64 v[2:3], v[2:3], v[148:149], -v[6:7]
	v_mov_b64_e32 v[4:5], v[150:151]
.LBB109_12:
	v_mov_b32_e32 v6, 0
	ds_read_b128 v[148:151], v6 offset:704
	s_waitcnt lgkmcnt(0)
	v_mul_f64 v[6:7], v[4:5], v[150:151]
	v_mul_f64 v[152:153], v[2:3], v[150:151]
	v_fma_f64 v[150:151], v[2:3], v[148:149], -v[6:7]
	v_fmac_f64_e32 v[152:153], v[4:5], v[148:149]
	scratch_store_dwordx4 off, v[150:153], off offset:704
.LBB109_13:
	s_or_b64 exec, exec, s[2:3]
	scratch_load_dwordx4 v[2:5], v11, off
	v_cmp_lt_u32_e64 s[2:3], 43, v0
	s_waitcnt vmcnt(0)
	ds_write_b128 v9, v[2:5]
	s_waitcnt lgkmcnt(0)
	; wave barrier
	s_waitcnt lgkmcnt(0)
	s_and_saveexec_b64 s[4:5], s[2:3]
	s_cbranch_execz .LBB109_19
; %bb.14:
	ds_read_b128 v[2:5], v9
	s_andn2_b64 vcc, exec, s[6:7]
	s_cbranch_vccnz .LBB109_16
; %bb.15:
	scratch_load_dwordx4 v[148:151], v8, off
	s_waitcnt vmcnt(0) lgkmcnt(0)
	v_mul_f64 v[6:7], v[4:5], v[150:151]
	v_mul_f64 v[150:151], v[2:3], v[150:151]
	v_fmac_f64_e32 v[150:151], v[4:5], v[148:149]
	v_fma_f64 v[2:3], v[2:3], v[148:149], -v[6:7]
	v_mov_b64_e32 v[4:5], v[150:151]
.LBB109_16:
	s_and_saveexec_b64 s[8:9], s[0:1]
	s_cbranch_execz .LBB109_18
; %bb.17:
	scratch_load_dwordx4 v[148:151], off, off offset:704
	v_mov_b32_e32 v6, 0
	ds_read_b128 v[152:155], v6 offset:1440
	s_waitcnt vmcnt(0) lgkmcnt(0)
	v_mul_f64 v[6:7], v[152:153], v[150:151]
	v_mul_f64 v[150:151], v[154:155], v[150:151]
	v_fmac_f64_e32 v[6:7], v[154:155], v[148:149]
	v_fma_f64 v[148:149], v[152:153], v[148:149], -v[150:151]
	v_add_f64 v[4:5], v[4:5], v[6:7]
	v_add_f64 v[2:3], v[2:3], v[148:149]
.LBB109_18:
	s_or_b64 exec, exec, s[8:9]
	v_mov_b32_e32 v6, 0
	ds_read_b128 v[148:151], v6 offset:688
	s_waitcnt lgkmcnt(0)
	v_mul_f64 v[6:7], v[4:5], v[150:151]
	v_mul_f64 v[152:153], v[2:3], v[150:151]
	v_fma_f64 v[150:151], v[2:3], v[148:149], -v[6:7]
	v_fmac_f64_e32 v[152:153], v[4:5], v[148:149]
	scratch_store_dwordx4 off, v[150:153], off offset:688
.LBB109_19:
	s_or_b64 exec, exec, s[4:5]
	scratch_load_dwordx4 v[2:5], v105, off
	v_cmp_lt_u32_e64 s[0:1], 42, v0
	s_waitcnt vmcnt(0)
	ds_write_b128 v9, v[2:5]
	s_waitcnt lgkmcnt(0)
	; wave barrier
	s_waitcnt lgkmcnt(0)
	s_and_saveexec_b64 s[4:5], s[0:1]
	s_cbranch_execz .LBB109_27
; %bb.20:
	ds_read_b128 v[2:5], v9
	s_andn2_b64 vcc, exec, s[6:7]
	s_cbranch_vccnz .LBB109_22
; %bb.21:
	scratch_load_dwordx4 v[148:151], v8, off
	s_waitcnt vmcnt(0) lgkmcnt(0)
	v_mul_f64 v[6:7], v[4:5], v[150:151]
	v_mul_f64 v[150:151], v[2:3], v[150:151]
	v_fmac_f64_e32 v[150:151], v[4:5], v[148:149]
	v_fma_f64 v[2:3], v[2:3], v[148:149], -v[6:7]
	v_mov_b64_e32 v[4:5], v[150:151]
.LBB109_22:
	s_and_saveexec_b64 s[8:9], s[2:3]
	s_cbranch_execz .LBB109_26
; %bb.23:
	v_mov_b32_e32 v7, 0
	v_subrev_u32_e32 v6, 43, v0
	v_add_u32_e32 v7, 0x2b8, v7
	s_movk_i32 s10, 0x590
	s_mov_b64 s[2:3], 0
.LBB109_24:                             ; =>This Inner Loop Header: Depth=1
	v_add_u32_e32 v147, -8, v7
	scratch_load_dwordx4 v[148:151], v147, off
	v_mov_b32_e32 v147, s10
	ds_read_b128 v[152:155], v147
	v_add_u32_e32 v6, -1, v6
	s_add_i32 s10, s10, 16
	v_cmp_eq_u32_e32 vcc, 0, v6
	v_add_u32_e32 v7, 16, v7
	s_or_b64 s[2:3], vcc, s[2:3]
	s_waitcnt vmcnt(0) lgkmcnt(0)
	v_mul_f64 v[156:157], v[154:155], v[150:151]
	v_mul_f64 v[150:151], v[152:153], v[150:151]
	v_fma_f64 v[152:153], v[152:153], v[148:149], -v[156:157]
	v_fmac_f64_e32 v[150:151], v[154:155], v[148:149]
	v_add_f64 v[2:3], v[2:3], v[152:153]
	v_add_f64 v[4:5], v[4:5], v[150:151]
	s_andn2_b64 exec, exec, s[2:3]
	s_cbranch_execnz .LBB109_24
; %bb.25:
	s_or_b64 exec, exec, s[2:3]
.LBB109_26:
	s_or_b64 exec, exec, s[8:9]
	v_mov_b32_e32 v6, 0
	ds_read_b128 v[148:151], v6 offset:672
	s_waitcnt lgkmcnt(0)
	v_mul_f64 v[6:7], v[4:5], v[150:151]
	v_mul_f64 v[152:153], v[2:3], v[150:151]
	v_fma_f64 v[150:151], v[2:3], v[148:149], -v[6:7]
	v_fmac_f64_e32 v[152:153], v[4:5], v[148:149]
	scratch_store_dwordx4 off, v[150:153], off offset:672
.LBB109_27:
	s_or_b64 exec, exec, s[4:5]
	scratch_load_dwordx4 v[2:5], v106, off
	v_cmp_lt_u32_e64 s[2:3], 41, v0
	s_waitcnt vmcnt(0)
	ds_write_b128 v9, v[2:5]
	s_waitcnt lgkmcnt(0)
	; wave barrier
	s_waitcnt lgkmcnt(0)
	s_and_saveexec_b64 s[4:5], s[2:3]
	s_cbranch_execz .LBB109_35
; %bb.28:
	ds_read_b128 v[2:5], v9
	s_andn2_b64 vcc, exec, s[6:7]
	s_cbranch_vccnz .LBB109_30
; %bb.29:
	scratch_load_dwordx4 v[148:151], v8, off
	s_waitcnt vmcnt(0) lgkmcnt(0)
	v_mul_f64 v[6:7], v[4:5], v[150:151]
	v_mul_f64 v[150:151], v[2:3], v[150:151]
	v_fmac_f64_e32 v[150:151], v[4:5], v[148:149]
	v_fma_f64 v[2:3], v[2:3], v[148:149], -v[6:7]
	v_mov_b64_e32 v[4:5], v[150:151]
.LBB109_30:
	s_and_saveexec_b64 s[8:9], s[0:1]
	s_cbranch_execz .LBB109_34
; %bb.31:
	v_mov_b32_e32 v7, 0
	v_subrev_u32_e32 v6, 42, v0
	v_add_u32_e32 v7, 0x2a8, v7
	s_movk_i32 s10, 0x580
	s_mov_b64 s[0:1], 0
.LBB109_32:                             ; =>This Inner Loop Header: Depth=1
	v_add_u32_e32 v147, -8, v7
	scratch_load_dwordx4 v[148:151], v147, off
	v_mov_b32_e32 v147, s10
	ds_read_b128 v[152:155], v147
	v_add_u32_e32 v6, -1, v6
	s_add_i32 s10, s10, 16
	v_cmp_eq_u32_e32 vcc, 0, v6
	v_add_u32_e32 v7, 16, v7
	s_or_b64 s[0:1], vcc, s[0:1]
	s_waitcnt vmcnt(0) lgkmcnt(0)
	v_mul_f64 v[156:157], v[154:155], v[150:151]
	v_mul_f64 v[150:151], v[152:153], v[150:151]
	v_fma_f64 v[152:153], v[152:153], v[148:149], -v[156:157]
	v_fmac_f64_e32 v[150:151], v[154:155], v[148:149]
	v_add_f64 v[2:3], v[2:3], v[152:153]
	v_add_f64 v[4:5], v[4:5], v[150:151]
	s_andn2_b64 exec, exec, s[0:1]
	s_cbranch_execnz .LBB109_32
; %bb.33:
	s_or_b64 exec, exec, s[0:1]
.LBB109_34:
	s_or_b64 exec, exec, s[8:9]
	v_mov_b32_e32 v6, 0
	ds_read_b128 v[148:151], v6 offset:656
	s_waitcnt lgkmcnt(0)
	v_mul_f64 v[6:7], v[4:5], v[150:151]
	v_mul_f64 v[152:153], v[2:3], v[150:151]
	v_fma_f64 v[150:151], v[2:3], v[148:149], -v[6:7]
	v_fmac_f64_e32 v[152:153], v[4:5], v[148:149]
	scratch_store_dwordx4 off, v[150:153], off offset:656
.LBB109_35:
	;; [unrolled: 63-line block ×10, first 2 shown]
	s_or_b64 exec, exec, s[4:5]
	scratch_load_dwordx4 v[2:5], v115, off
	v_cmp_lt_u32_e64 s[0:1], 32, v0
	s_waitcnt vmcnt(0)
	ds_write_b128 v9, v[2:5]
	s_waitcnt lgkmcnt(0)
	; wave barrier
	s_waitcnt lgkmcnt(0)
	s_and_saveexec_b64 s[4:5], s[0:1]
	s_cbranch_execz .LBB109_107
; %bb.100:
	ds_read_b128 v[2:5], v9
	s_andn2_b64 vcc, exec, s[6:7]
	s_cbranch_vccnz .LBB109_102
; %bb.101:
	scratch_load_dwordx4 v[148:151], v8, off
	s_waitcnt vmcnt(0) lgkmcnt(0)
	v_mul_f64 v[6:7], v[4:5], v[150:151]
	v_mul_f64 v[150:151], v[2:3], v[150:151]
	v_fmac_f64_e32 v[150:151], v[4:5], v[148:149]
	v_fma_f64 v[2:3], v[2:3], v[148:149], -v[6:7]
	v_mov_b64_e32 v[4:5], v[150:151]
.LBB109_102:
	s_and_saveexec_b64 s[8:9], s[2:3]
	s_cbranch_execz .LBB109_106
; %bb.103:
	v_mov_b32_e32 v7, 0
	v_subrev_u32_e32 v6, 33, v0
	v_add_u32_e32 v7, 0x218, v7
	s_movk_i32 s10, 0x4f0
	s_mov_b64 s[2:3], 0
.LBB109_104:                            ; =>This Inner Loop Header: Depth=1
	v_add_u32_e32 v147, -8, v7
	scratch_load_dwordx4 v[148:151], v147, off
	v_mov_b32_e32 v147, s10
	ds_read_b128 v[152:155], v147
	v_add_u32_e32 v6, -1, v6
	s_add_i32 s10, s10, 16
	v_cmp_eq_u32_e32 vcc, 0, v6
	v_add_u32_e32 v7, 16, v7
	s_or_b64 s[2:3], vcc, s[2:3]
	s_waitcnt vmcnt(0) lgkmcnt(0)
	v_mul_f64 v[156:157], v[154:155], v[150:151]
	v_mul_f64 v[150:151], v[152:153], v[150:151]
	v_fma_f64 v[152:153], v[152:153], v[148:149], -v[156:157]
	v_fmac_f64_e32 v[150:151], v[154:155], v[148:149]
	v_add_f64 v[2:3], v[2:3], v[152:153]
	v_add_f64 v[4:5], v[4:5], v[150:151]
	s_andn2_b64 exec, exec, s[2:3]
	s_cbranch_execnz .LBB109_104
; %bb.105:
	s_or_b64 exec, exec, s[2:3]
.LBB109_106:
	s_or_b64 exec, exec, s[8:9]
	v_mov_b32_e32 v6, 0
	ds_read_b128 v[148:151], v6 offset:512
	s_waitcnt lgkmcnt(0)
	v_mul_f64 v[6:7], v[4:5], v[150:151]
	v_mul_f64 v[152:153], v[2:3], v[150:151]
	v_fma_f64 v[150:151], v[2:3], v[148:149], -v[6:7]
	v_fmac_f64_e32 v[152:153], v[4:5], v[148:149]
	scratch_store_dwordx4 off, v[150:153], off offset:512
.LBB109_107:
	s_or_b64 exec, exec, s[4:5]
	scratch_load_dwordx4 v[2:5], v116, off
	v_cmp_lt_u32_e64 s[2:3], 31, v0
	s_waitcnt vmcnt(0)
	ds_write_b128 v9, v[2:5]
	s_waitcnt lgkmcnt(0)
	; wave barrier
	s_waitcnt lgkmcnt(0)
	s_and_saveexec_b64 s[4:5], s[2:3]
	s_cbranch_execz .LBB109_115
; %bb.108:
	ds_read_b128 v[2:5], v9
	s_andn2_b64 vcc, exec, s[6:7]
	s_cbranch_vccnz .LBB109_110
; %bb.109:
	scratch_load_dwordx4 v[148:151], v8, off
	s_waitcnt vmcnt(0) lgkmcnt(0)
	v_mul_f64 v[6:7], v[4:5], v[150:151]
	v_mul_f64 v[150:151], v[2:3], v[150:151]
	v_fmac_f64_e32 v[150:151], v[4:5], v[148:149]
	v_fma_f64 v[2:3], v[2:3], v[148:149], -v[6:7]
	v_mov_b64_e32 v[4:5], v[150:151]
.LBB109_110:
	s_and_saveexec_b64 s[8:9], s[0:1]
	s_cbranch_execz .LBB109_114
; %bb.111:
	v_mov_b32_e32 v7, 0
	v_subrev_u32_e32 v6, 32, v0
	v_add_u32_e32 v7, 0x208, v7
	s_movk_i32 s10, 0x4e0
	s_mov_b64 s[0:1], 0
.LBB109_112:                            ; =>This Inner Loop Header: Depth=1
	v_add_u32_e32 v147, -8, v7
	scratch_load_dwordx4 v[148:151], v147, off
	v_mov_b32_e32 v147, s10
	ds_read_b128 v[152:155], v147
	v_add_u32_e32 v6, -1, v6
	s_add_i32 s10, s10, 16
	v_cmp_eq_u32_e32 vcc, 0, v6
	v_add_u32_e32 v7, 16, v7
	s_or_b64 s[0:1], vcc, s[0:1]
	s_waitcnt vmcnt(0) lgkmcnt(0)
	v_mul_f64 v[156:157], v[154:155], v[150:151]
	v_mul_f64 v[150:151], v[152:153], v[150:151]
	v_fma_f64 v[152:153], v[152:153], v[148:149], -v[156:157]
	v_fmac_f64_e32 v[150:151], v[154:155], v[148:149]
	v_add_f64 v[2:3], v[2:3], v[152:153]
	v_add_f64 v[4:5], v[4:5], v[150:151]
	s_andn2_b64 exec, exec, s[0:1]
	s_cbranch_execnz .LBB109_112
; %bb.113:
	s_or_b64 exec, exec, s[0:1]
.LBB109_114:
	s_or_b64 exec, exec, s[8:9]
	v_mov_b32_e32 v6, 0
	ds_read_b128 v[148:151], v6 offset:496
	s_waitcnt lgkmcnt(0)
	v_mul_f64 v[6:7], v[4:5], v[150:151]
	v_mul_f64 v[152:153], v[2:3], v[150:151]
	v_fma_f64 v[150:151], v[2:3], v[148:149], -v[6:7]
	v_fmac_f64_e32 v[152:153], v[4:5], v[148:149]
	scratch_store_dwordx4 off, v[150:153], off offset:496
.LBB109_115:
	;; [unrolled: 63-line block ×17, first 2 shown]
	s_or_b64 exec, exec, s[4:5]
	scratch_load_dwordx4 v[2:5], v132, off
	v_cmp_lt_u32_e64 s[2:3], 15, v0
	s_waitcnt vmcnt(0)
	ds_write_b128 v9, v[2:5]
	s_waitcnt lgkmcnt(0)
	; wave barrier
	s_waitcnt lgkmcnt(0)
	s_and_saveexec_b64 s[4:5], s[2:3]
	s_cbranch_execz .LBB109_243
; %bb.236:
	ds_read_b128 v[2:5], v9
	s_andn2_b64 vcc, exec, s[6:7]
	s_cbranch_vccnz .LBB109_238
; %bb.237:
	scratch_load_dwordx4 v[148:151], v8, off
	s_waitcnt vmcnt(0) lgkmcnt(0)
	v_mul_f64 v[6:7], v[4:5], v[150:151]
	v_mul_f64 v[150:151], v[2:3], v[150:151]
	v_fmac_f64_e32 v[150:151], v[4:5], v[148:149]
	v_fma_f64 v[2:3], v[2:3], v[148:149], -v[6:7]
	v_mov_b64_e32 v[4:5], v[150:151]
.LBB109_238:
	s_and_saveexec_b64 s[8:9], s[0:1]
	s_cbranch_execz .LBB109_242
; %bb.239:
	v_mov_b32_e32 v7, 0
	v_add_u32_e32 v6, -16, v0
	v_add_u32_e32 v7, 0x108, v7
	s_movk_i32 s10, 0x3e0
	s_mov_b64 s[0:1], 0
.LBB109_240:                            ; =>This Inner Loop Header: Depth=1
	v_add_u32_e32 v147, -8, v7
	scratch_load_dwordx4 v[148:151], v147, off
	v_mov_b32_e32 v147, s10
	ds_read_b128 v[152:155], v147
	v_add_u32_e32 v6, -1, v6
	s_add_i32 s10, s10, 16
	v_cmp_eq_u32_e32 vcc, 0, v6
	v_add_u32_e32 v7, 16, v7
	s_or_b64 s[0:1], vcc, s[0:1]
	s_waitcnt vmcnt(0) lgkmcnt(0)
	v_mul_f64 v[156:157], v[154:155], v[150:151]
	v_mul_f64 v[150:151], v[152:153], v[150:151]
	v_fma_f64 v[152:153], v[152:153], v[148:149], -v[156:157]
	v_fmac_f64_e32 v[150:151], v[154:155], v[148:149]
	v_add_f64 v[2:3], v[2:3], v[152:153]
	v_add_f64 v[4:5], v[4:5], v[150:151]
	s_andn2_b64 exec, exec, s[0:1]
	s_cbranch_execnz .LBB109_240
; %bb.241:
	s_or_b64 exec, exec, s[0:1]
.LBB109_242:
	s_or_b64 exec, exec, s[8:9]
	v_mov_b32_e32 v6, 0
	ds_read_b128 v[148:151], v6 offset:240
	s_waitcnt lgkmcnt(0)
	v_mul_f64 v[6:7], v[4:5], v[150:151]
	v_mul_f64 v[152:153], v[2:3], v[150:151]
	v_fma_f64 v[150:151], v[2:3], v[148:149], -v[6:7]
	v_fmac_f64_e32 v[152:153], v[4:5], v[148:149]
	scratch_store_dwordx4 off, v[150:153], off offset:240
.LBB109_243:
	s_or_b64 exec, exec, s[4:5]
	scratch_load_dwordx4 v[2:5], v133, off
	v_cmp_lt_u32_e64 s[0:1], 14, v0
	s_waitcnt vmcnt(0)
	ds_write_b128 v9, v[2:5]
	s_waitcnt lgkmcnt(0)
	; wave barrier
	s_waitcnt lgkmcnt(0)
	s_and_saveexec_b64 s[4:5], s[0:1]
	s_cbranch_execz .LBB109_251
; %bb.244:
	ds_read_b128 v[2:5], v9
	s_andn2_b64 vcc, exec, s[6:7]
	s_cbranch_vccnz .LBB109_246
; %bb.245:
	scratch_load_dwordx4 v[148:151], v8, off
	s_waitcnt vmcnt(0) lgkmcnt(0)
	v_mul_f64 v[6:7], v[4:5], v[150:151]
	v_mul_f64 v[150:151], v[2:3], v[150:151]
	v_fmac_f64_e32 v[150:151], v[4:5], v[148:149]
	v_fma_f64 v[2:3], v[2:3], v[148:149], -v[6:7]
	v_mov_b64_e32 v[4:5], v[150:151]
.LBB109_246:
	s_and_saveexec_b64 s[8:9], s[2:3]
	s_cbranch_execz .LBB109_250
; %bb.247:
	v_mov_b32_e32 v7, 0
	v_add_u32_e32 v6, -15, v0
	v_add_u32_e32 v7, 0xf8, v7
	s_movk_i32 s10, 0x3d0
	s_mov_b64 s[2:3], 0
.LBB109_248:                            ; =>This Inner Loop Header: Depth=1
	v_add_u32_e32 v147, -8, v7
	scratch_load_dwordx4 v[148:151], v147, off
	v_mov_b32_e32 v147, s10
	ds_read_b128 v[152:155], v147
	v_add_u32_e32 v6, -1, v6
	s_add_i32 s10, s10, 16
	v_cmp_eq_u32_e32 vcc, 0, v6
	v_add_u32_e32 v7, 16, v7
	s_or_b64 s[2:3], vcc, s[2:3]
	s_waitcnt vmcnt(0) lgkmcnt(0)
	v_mul_f64 v[156:157], v[154:155], v[150:151]
	v_mul_f64 v[150:151], v[152:153], v[150:151]
	v_fma_f64 v[152:153], v[152:153], v[148:149], -v[156:157]
	v_fmac_f64_e32 v[150:151], v[154:155], v[148:149]
	v_add_f64 v[2:3], v[2:3], v[152:153]
	v_add_f64 v[4:5], v[4:5], v[150:151]
	s_andn2_b64 exec, exec, s[2:3]
	s_cbranch_execnz .LBB109_248
; %bb.249:
	s_or_b64 exec, exec, s[2:3]
.LBB109_250:
	s_or_b64 exec, exec, s[8:9]
	v_mov_b32_e32 v6, 0
	ds_read_b128 v[148:151], v6 offset:224
	s_waitcnt lgkmcnt(0)
	v_mul_f64 v[6:7], v[4:5], v[150:151]
	v_mul_f64 v[152:153], v[2:3], v[150:151]
	v_fma_f64 v[150:151], v[2:3], v[148:149], -v[6:7]
	v_fmac_f64_e32 v[152:153], v[4:5], v[148:149]
	scratch_store_dwordx4 off, v[150:153], off offset:224
.LBB109_251:
	;; [unrolled: 63-line block ×15, first 2 shown]
	s_or_b64 exec, exec, s[2:3]
	scratch_load_dwordx4 v[2:5], off, off
	v_cmp_ne_u32_e32 vcc, 0, v0
	s_mov_b64 s[2:3], 0
	s_mov_b64 s[4:5], 0
                                        ; implicit-def: $vgpr6_vgpr7
                                        ; implicit-def: $vgpr147
	s_waitcnt vmcnt(0)
	ds_write_b128 v9, v[2:5]
	s_waitcnt lgkmcnt(0)
	; wave barrier
	s_waitcnt lgkmcnt(0)
	s_and_saveexec_b64 s[8:9], vcc
	s_cbranch_execz .LBB109_363
; %bb.356:
	ds_read_b128 v[2:5], v9
	s_andn2_b64 vcc, exec, s[6:7]
	s_cbranch_vccnz .LBB109_358
; %bb.357:
	scratch_load_dwordx4 v[148:151], v8, off
	s_waitcnt vmcnt(0) lgkmcnt(0)
	v_mul_f64 v[6:7], v[4:5], v[150:151]
	v_mul_f64 v[150:151], v[2:3], v[150:151]
	v_fmac_f64_e32 v[150:151], v[4:5], v[148:149]
	v_fma_f64 v[2:3], v[2:3], v[148:149], -v[6:7]
	v_mov_b64_e32 v[4:5], v[150:151]
.LBB109_358:
	s_and_saveexec_b64 s[4:5], s[0:1]
	s_cbranch_execz .LBB109_362
; %bb.359:
	v_mov_b32_e32 v7, 0
	v_add_u32_e32 v6, -1, v0
	v_add_u32_e32 v7, 24, v7
	s_movk_i32 s10, 0x2f0
	s_mov_b64 s[0:1], 0
.LBB109_360:                            ; =>This Inner Loop Header: Depth=1
	v_add_u32_e32 v147, -8, v7
	scratch_load_dwordx4 v[148:151], v147, off
	v_mov_b32_e32 v147, s10
	ds_read_b128 v[152:155], v147
	v_add_u32_e32 v6, -1, v6
	s_add_i32 s10, s10, 16
	v_cmp_eq_u32_e32 vcc, 0, v6
	v_add_u32_e32 v7, 16, v7
	s_or_b64 s[0:1], vcc, s[0:1]
	s_waitcnt vmcnt(0) lgkmcnt(0)
	v_mul_f64 v[156:157], v[154:155], v[150:151]
	v_mul_f64 v[150:151], v[152:153], v[150:151]
	v_fma_f64 v[152:153], v[152:153], v[148:149], -v[156:157]
	v_fmac_f64_e32 v[150:151], v[154:155], v[148:149]
	v_add_f64 v[2:3], v[2:3], v[152:153]
	v_add_f64 v[4:5], v[4:5], v[150:151]
	s_andn2_b64 exec, exec, s[0:1]
	s_cbranch_execnz .LBB109_360
; %bb.361:
	s_or_b64 exec, exec, s[0:1]
.LBB109_362:
	s_or_b64 exec, exec, s[4:5]
	v_mov_b32_e32 v6, 0
	ds_read_b128 v[148:151], v6
	v_mov_b32_e32 v6, 0
	v_or_b32_e32 v147, 8, v6
	s_mov_b64 s[4:5], exec
	s_waitcnt lgkmcnt(0)
	v_mul_f64 v[152:153], v[4:5], v[150:151]
	v_mul_f64 v[6:7], v[2:3], v[150:151]
	v_fma_f64 v[2:3], v[2:3], v[148:149], -v[152:153]
	v_fmac_f64_e32 v[6:7], v[4:5], v[148:149]
	scratch_store_dwordx2 off, v[2:3], off
.LBB109_363:
	s_or_b64 exec, exec, s[8:9]
	s_and_b64 vcc, exec, s[2:3]
	s_cbranch_vccnz .LBB109_365
	s_branch .LBB109_720
.LBB109_364:
	s_mov_b64 s[4:5], 0
                                        ; implicit-def: $vgpr6_vgpr7
                                        ; implicit-def: $vgpr147
	s_cbranch_execz .LBB109_720
.LBB109_365:
	scratch_load_dwordx4 v[2:5], v146, off
	v_cndmask_b32_e64 v6, 0, 1, s[6:7]
	v_cmp_eq_u32_e64 s[2:3], 0, v0
	v_cmp_ne_u32_e64 s[0:1], 1, v6
	s_waitcnt vmcnt(0)
	ds_write_b128 v9, v[2:5]
	s_waitcnt lgkmcnt(0)
	; wave barrier
	s_waitcnt lgkmcnt(0)
	s_and_saveexec_b64 s[6:7], s[2:3]
	s_cbranch_execz .LBB109_369
; %bb.366:
	ds_read_b128 v[2:5], v9
	s_and_b64 vcc, exec, s[0:1]
	s_cbranch_vccnz .LBB109_368
; %bb.367:
	scratch_load_dwordx4 v[148:151], v8, off
	s_waitcnt vmcnt(0) lgkmcnt(0)
	v_mul_f64 v[6:7], v[4:5], v[150:151]
	v_mul_f64 v[150:151], v[2:3], v[150:151]
	v_fmac_f64_e32 v[150:151], v[4:5], v[148:149]
	v_fma_f64 v[2:3], v[2:3], v[148:149], -v[6:7]
	v_mov_b64_e32 v[4:5], v[150:151]
.LBB109_368:
	v_mov_b32_e32 v6, 0
	ds_read_b128 v[148:151], v6 offset:16
	s_waitcnt lgkmcnt(0)
	v_mul_f64 v[6:7], v[4:5], v[150:151]
	v_mul_f64 v[152:153], v[2:3], v[150:151]
	v_fma_f64 v[150:151], v[2:3], v[148:149], -v[6:7]
	v_fmac_f64_e32 v[152:153], v[4:5], v[148:149]
	scratch_store_dwordx4 off, v[150:153], off offset:16
.LBB109_369:
	s_or_b64 exec, exec, s[6:7]
	scratch_load_dwordx4 v[2:5], v145, off
	v_cmp_gt_u32_e32 vcc, 2, v0
	s_waitcnt vmcnt(0)
	ds_write_b128 v9, v[2:5]
	s_waitcnt lgkmcnt(0)
	; wave barrier
	s_waitcnt lgkmcnt(0)
	s_and_saveexec_b64 s[6:7], vcc
	s_cbranch_execz .LBB109_375
; %bb.370:
	ds_read_b128 v[2:5], v9
	s_and_b64 vcc, exec, s[0:1]
	s_cbranch_vccnz .LBB109_372
; %bb.371:
	scratch_load_dwordx4 v[148:151], v8, off
	s_waitcnt vmcnt(0) lgkmcnt(0)
	v_mul_f64 v[6:7], v[4:5], v[150:151]
	v_mul_f64 v[150:151], v[2:3], v[150:151]
	v_fmac_f64_e32 v[150:151], v[4:5], v[148:149]
	v_fma_f64 v[2:3], v[2:3], v[148:149], -v[6:7]
	v_mov_b64_e32 v[4:5], v[150:151]
.LBB109_372:
	s_and_saveexec_b64 s[8:9], s[2:3]
	s_cbranch_execz .LBB109_374
; %bb.373:
	scratch_load_dwordx4 v[148:151], v8, off offset:16
	ds_read_b128 v[152:155], v9 offset:16
	s_waitcnt vmcnt(0) lgkmcnt(0)
	v_mul_f64 v[6:7], v[154:155], v[150:151]
	v_mul_f64 v[150:151], v[152:153], v[150:151]
	v_fma_f64 v[6:7], v[152:153], v[148:149], -v[6:7]
	v_fmac_f64_e32 v[150:151], v[154:155], v[148:149]
	v_add_f64 v[2:3], v[2:3], v[6:7]
	v_add_f64 v[4:5], v[4:5], v[150:151]
.LBB109_374:
	s_or_b64 exec, exec, s[8:9]
	v_mov_b32_e32 v6, 0
	ds_read_b128 v[148:151], v6 offset:32
	s_waitcnt lgkmcnt(0)
	v_mul_f64 v[6:7], v[4:5], v[150:151]
	v_mul_f64 v[152:153], v[2:3], v[150:151]
	v_fma_f64 v[150:151], v[2:3], v[148:149], -v[6:7]
	v_fmac_f64_e32 v[152:153], v[4:5], v[148:149]
	scratch_store_dwordx4 off, v[150:153], off offset:32
.LBB109_375:
	s_or_b64 exec, exec, s[6:7]
	scratch_load_dwordx4 v[2:5], v144, off
	v_cmp_gt_u32_e32 vcc, 3, v0
	s_waitcnt vmcnt(0)
	ds_write_b128 v9, v[2:5]
	s_waitcnt lgkmcnt(0)
	; wave barrier
	s_waitcnt lgkmcnt(0)
	s_and_saveexec_b64 s[6:7], vcc
	s_cbranch_execz .LBB109_383
; %bb.376:
	ds_read_b128 v[2:5], v9
	s_and_b64 vcc, exec, s[0:1]
	s_cbranch_vccnz .LBB109_378
; %bb.377:
	scratch_load_dwordx4 v[148:151], v8, off
	s_waitcnt vmcnt(0) lgkmcnt(0)
	v_mul_f64 v[6:7], v[4:5], v[150:151]
	v_mul_f64 v[150:151], v[2:3], v[150:151]
	v_fmac_f64_e32 v[150:151], v[4:5], v[148:149]
	v_fma_f64 v[2:3], v[2:3], v[148:149], -v[6:7]
	v_mov_b64_e32 v[4:5], v[150:151]
.LBB109_378:
	v_cmp_ne_u32_e32 vcc, 2, v0
	s_and_saveexec_b64 s[8:9], vcc
	s_cbranch_execz .LBB109_382
; %bb.379:
	scratch_load_dwordx4 v[148:151], v8, off offset:16
	ds_read_b128 v[152:155], v9 offset:16
	s_waitcnt vmcnt(0) lgkmcnt(0)
	v_mul_f64 v[6:7], v[154:155], v[150:151]
	v_mul_f64 v[150:151], v[152:153], v[150:151]
	v_fma_f64 v[6:7], v[152:153], v[148:149], -v[6:7]
	v_fmac_f64_e32 v[150:151], v[154:155], v[148:149]
	v_add_f64 v[2:3], v[2:3], v[6:7]
	v_add_f64 v[4:5], v[4:5], v[150:151]
	s_and_saveexec_b64 s[10:11], s[2:3]
	s_cbranch_execz .LBB109_381
; %bb.380:
	scratch_load_dwordx4 v[148:151], off, off offset:32
	v_mov_b32_e32 v6, 0
	ds_read_b128 v[152:155], v6 offset:768
	s_waitcnt vmcnt(0) lgkmcnt(0)
	v_mul_f64 v[6:7], v[152:153], v[150:151]
	v_mul_f64 v[150:151], v[154:155], v[150:151]
	v_fmac_f64_e32 v[6:7], v[154:155], v[148:149]
	v_fma_f64 v[148:149], v[152:153], v[148:149], -v[150:151]
	v_add_f64 v[4:5], v[4:5], v[6:7]
	v_add_f64 v[2:3], v[2:3], v[148:149]
.LBB109_381:
	s_or_b64 exec, exec, s[10:11]
.LBB109_382:
	s_or_b64 exec, exec, s[8:9]
	v_mov_b32_e32 v6, 0
	ds_read_b128 v[148:151], v6 offset:48
	s_waitcnt lgkmcnt(0)
	v_mul_f64 v[6:7], v[4:5], v[150:151]
	v_mul_f64 v[152:153], v[2:3], v[150:151]
	v_fma_f64 v[150:151], v[2:3], v[148:149], -v[6:7]
	v_fmac_f64_e32 v[152:153], v[4:5], v[148:149]
	scratch_store_dwordx4 off, v[150:153], off offset:48
.LBB109_383:
	s_or_b64 exec, exec, s[6:7]
	scratch_load_dwordx4 v[2:5], v143, off
	v_cmp_gt_u32_e32 vcc, 4, v0
	s_waitcnt vmcnt(0)
	ds_write_b128 v9, v[2:5]
	s_waitcnt lgkmcnt(0)
	; wave barrier
	s_waitcnt lgkmcnt(0)
	s_and_saveexec_b64 s[2:3], vcc
	s_cbranch_execz .LBB109_391
; %bb.384:
	ds_read_b128 v[2:5], v9
	s_and_b64 vcc, exec, s[0:1]
	s_cbranch_vccnz .LBB109_386
; %bb.385:
	scratch_load_dwordx4 v[148:151], v8, off
	s_waitcnt vmcnt(0) lgkmcnt(0)
	v_mul_f64 v[6:7], v[4:5], v[150:151]
	v_mul_f64 v[150:151], v[2:3], v[150:151]
	v_fmac_f64_e32 v[150:151], v[4:5], v[148:149]
	v_fma_f64 v[2:3], v[2:3], v[148:149], -v[6:7]
	v_mov_b64_e32 v[4:5], v[150:151]
.LBB109_386:
	v_cmp_ne_u32_e32 vcc, 3, v0
	s_and_saveexec_b64 s[6:7], vcc
	s_cbranch_execz .LBB109_390
; %bb.387:
	v_mov_b32_e32 v7, 0
	v_add_u32_e32 v6, 0x2f0, v104
	v_add3_u32 v7, v104, v7, 24
	s_mov_b64 s[8:9], 0
	v_mov_b32_e32 v147, v0
.LBB109_388:                            ; =>This Inner Loop Header: Depth=1
	v_add_u32_e32 v148, -8, v7
	scratch_load_dwordx4 v[148:151], v148, off
	ds_read_b128 v[152:155], v6
	v_add_u32_e32 v147, 1, v147
	v_cmp_lt_u32_e32 vcc, 2, v147
	v_add_u32_e32 v6, 16, v6
	v_add_u32_e32 v7, 16, v7
	s_or_b64 s[8:9], vcc, s[8:9]
	s_waitcnt vmcnt(0) lgkmcnt(0)
	v_mul_f64 v[156:157], v[154:155], v[150:151]
	v_mul_f64 v[150:151], v[152:153], v[150:151]
	v_fma_f64 v[152:153], v[152:153], v[148:149], -v[156:157]
	v_fmac_f64_e32 v[150:151], v[154:155], v[148:149]
	v_add_f64 v[2:3], v[2:3], v[152:153]
	v_add_f64 v[4:5], v[4:5], v[150:151]
	s_andn2_b64 exec, exec, s[8:9]
	s_cbranch_execnz .LBB109_388
; %bb.389:
	s_or_b64 exec, exec, s[8:9]
.LBB109_390:
	s_or_b64 exec, exec, s[6:7]
	v_mov_b32_e32 v6, 0
	ds_read_b128 v[148:151], v6 offset:64
	s_waitcnt lgkmcnt(0)
	v_mul_f64 v[6:7], v[4:5], v[150:151]
	v_mul_f64 v[152:153], v[2:3], v[150:151]
	v_fma_f64 v[150:151], v[2:3], v[148:149], -v[6:7]
	v_fmac_f64_e32 v[152:153], v[4:5], v[148:149]
	scratch_store_dwordx4 off, v[150:153], off offset:64
.LBB109_391:
	s_or_b64 exec, exec, s[2:3]
	scratch_load_dwordx4 v[2:5], v142, off
	v_cmp_gt_u32_e32 vcc, 5, v0
	s_waitcnt vmcnt(0)
	ds_write_b128 v9, v[2:5]
	s_waitcnt lgkmcnt(0)
	; wave barrier
	s_waitcnt lgkmcnt(0)
	s_and_saveexec_b64 s[2:3], vcc
	s_cbranch_execz .LBB109_399
; %bb.392:
	ds_read_b128 v[2:5], v9
	s_and_b64 vcc, exec, s[0:1]
	s_cbranch_vccnz .LBB109_394
; %bb.393:
	scratch_load_dwordx4 v[148:151], v8, off
	s_waitcnt vmcnt(0) lgkmcnt(0)
	v_mul_f64 v[6:7], v[4:5], v[150:151]
	v_mul_f64 v[150:151], v[2:3], v[150:151]
	v_fmac_f64_e32 v[150:151], v[4:5], v[148:149]
	v_fma_f64 v[2:3], v[2:3], v[148:149], -v[6:7]
	v_mov_b64_e32 v[4:5], v[150:151]
.LBB109_394:
	v_cmp_ne_u32_e32 vcc, 4, v0
	s_and_saveexec_b64 s[6:7], vcc
	s_cbranch_execz .LBB109_398
; %bb.395:
	v_mov_b32_e32 v7, 0
	v_add_u32_e32 v6, 0x2f0, v104
	v_add3_u32 v7, v104, v7, 24
	s_mov_b64 s[8:9], 0
	v_mov_b32_e32 v147, v0
.LBB109_396:                            ; =>This Inner Loop Header: Depth=1
	v_add_u32_e32 v148, -8, v7
	scratch_load_dwordx4 v[148:151], v148, off
	ds_read_b128 v[152:155], v6
	v_add_u32_e32 v147, 1, v147
	v_cmp_lt_u32_e32 vcc, 3, v147
	v_add_u32_e32 v6, 16, v6
	v_add_u32_e32 v7, 16, v7
	s_or_b64 s[8:9], vcc, s[8:9]
	s_waitcnt vmcnt(0) lgkmcnt(0)
	v_mul_f64 v[156:157], v[154:155], v[150:151]
	v_mul_f64 v[150:151], v[152:153], v[150:151]
	v_fma_f64 v[152:153], v[152:153], v[148:149], -v[156:157]
	v_fmac_f64_e32 v[150:151], v[154:155], v[148:149]
	v_add_f64 v[2:3], v[2:3], v[152:153]
	v_add_f64 v[4:5], v[4:5], v[150:151]
	s_andn2_b64 exec, exec, s[8:9]
	s_cbranch_execnz .LBB109_396
; %bb.397:
	s_or_b64 exec, exec, s[8:9]
.LBB109_398:
	s_or_b64 exec, exec, s[6:7]
	v_mov_b32_e32 v6, 0
	ds_read_b128 v[148:151], v6 offset:80
	s_waitcnt lgkmcnt(0)
	v_mul_f64 v[6:7], v[4:5], v[150:151]
	v_mul_f64 v[152:153], v[2:3], v[150:151]
	v_fma_f64 v[150:151], v[2:3], v[148:149], -v[6:7]
	v_fmac_f64_e32 v[152:153], v[4:5], v[148:149]
	scratch_store_dwordx4 off, v[150:153], off offset:80
.LBB109_399:
	;; [unrolled: 63-line block ×40, first 2 shown]
	s_or_b64 exec, exec, s[2:3]
	scratch_load_dwordx4 v[2:5], v10, off
	v_cmp_gt_u32_e64 s[2:3], 44, v0
	s_waitcnt vmcnt(0)
	ds_write_b128 v9, v[2:5]
	s_waitcnt lgkmcnt(0)
	; wave barrier
	s_waitcnt lgkmcnt(0)
	s_and_saveexec_b64 s[6:7], s[2:3]
	s_cbranch_execz .LBB109_711
; %bb.704:
	ds_read_b128 v[2:5], v9
	s_and_b64 vcc, exec, s[0:1]
	s_cbranch_vccnz .LBB109_706
; %bb.705:
	scratch_load_dwordx4 v[148:151], v8, off
	s_waitcnt vmcnt(0) lgkmcnt(0)
	v_mul_f64 v[6:7], v[4:5], v[150:151]
	v_mul_f64 v[150:151], v[2:3], v[150:151]
	v_fmac_f64_e32 v[150:151], v[4:5], v[148:149]
	v_fma_f64 v[2:3], v[2:3], v[148:149], -v[6:7]
	v_mov_b64_e32 v[4:5], v[150:151]
.LBB109_706:
	v_cmp_ne_u32_e32 vcc, 43, v0
	s_and_saveexec_b64 s[8:9], vcc
	s_cbranch_execz .LBB109_710
; %bb.707:
	v_mov_b32_e32 v7, 0
	v_add_u32_e32 v6, 0x2f0, v104
	v_add3_u32 v7, v104, v7, 24
	s_mov_b64 s[10:11], 0
	v_mov_b32_e32 v147, v0
.LBB109_708:                            ; =>This Inner Loop Header: Depth=1
	v_add_u32_e32 v148, -8, v7
	scratch_load_dwordx4 v[148:151], v148, off
	ds_read_b128 v[152:155], v6
	v_add_u32_e32 v147, 1, v147
	v_cmp_lt_u32_e32 vcc, 42, v147
	v_add_u32_e32 v6, 16, v6
	v_add_u32_e32 v7, 16, v7
	s_or_b64 s[10:11], vcc, s[10:11]
	s_waitcnt vmcnt(0) lgkmcnt(0)
	v_mul_f64 v[156:157], v[154:155], v[150:151]
	v_mul_f64 v[150:151], v[152:153], v[150:151]
	v_fma_f64 v[152:153], v[152:153], v[148:149], -v[156:157]
	v_fmac_f64_e32 v[150:151], v[154:155], v[148:149]
	v_add_f64 v[2:3], v[2:3], v[152:153]
	v_add_f64 v[4:5], v[4:5], v[150:151]
	s_andn2_b64 exec, exec, s[10:11]
	s_cbranch_execnz .LBB109_708
; %bb.709:
	s_or_b64 exec, exec, s[10:11]
.LBB109_710:
	s_or_b64 exec, exec, s[8:9]
	v_mov_b32_e32 v6, 0
	ds_read_b128 v[148:151], v6 offset:704
	s_waitcnt lgkmcnt(0)
	v_mul_f64 v[6:7], v[4:5], v[150:151]
	v_mul_f64 v[152:153], v[2:3], v[150:151]
	v_fma_f64 v[150:151], v[2:3], v[148:149], -v[6:7]
	v_fmac_f64_e32 v[152:153], v[4:5], v[148:149]
	scratch_store_dwordx4 off, v[150:153], off offset:704
.LBB109_711:
	s_or_b64 exec, exec, s[6:7]
	scratch_load_dwordx4 v[2:5], v1, off
	v_cmp_ne_u32_e32 vcc, 45, v0
                                        ; implicit-def: $vgpr6_vgpr7
                                        ; implicit-def: $vgpr147
	s_waitcnt vmcnt(0)
	ds_write_b128 v9, v[2:5]
	s_waitcnt lgkmcnt(0)
	; wave barrier
	s_waitcnt lgkmcnt(0)
	s_and_saveexec_b64 s[6:7], vcc
	s_cbranch_execz .LBB109_719
; %bb.712:
	ds_read_b128 v[2:5], v9
	s_and_b64 vcc, exec, s[0:1]
	s_cbranch_vccnz .LBB109_714
; %bb.713:
	scratch_load_dwordx4 v[6:9], v8, off
	s_waitcnt vmcnt(0) lgkmcnt(0)
	v_mul_f64 v[148:149], v[4:5], v[8:9]
	v_mul_f64 v[8:9], v[2:3], v[8:9]
	v_fmac_f64_e32 v[8:9], v[4:5], v[6:7]
	v_fma_f64 v[2:3], v[2:3], v[6:7], -v[148:149]
	v_mov_b64_e32 v[4:5], v[8:9]
.LBB109_714:
	s_and_saveexec_b64 s[0:1], s[2:3]
	s_cbranch_execz .LBB109_718
; %bb.715:
	v_mov_b32_e32 v7, 0
	v_add_u32_e32 v6, 0x2f0, v104
	v_add3_u32 v7, v104, v7, 24
	s_mov_b64 s[2:3], 0
.LBB109_716:                            ; =>This Inner Loop Header: Depth=1
	v_add_u32_e32 v8, -8, v7
	scratch_load_dwordx4 v[148:151], v8, off
	ds_read_b128 v[152:155], v6
	v_add_u32_e32 v0, 1, v0
	v_cmp_lt_u32_e32 vcc, 43, v0
	v_add_u32_e32 v6, 16, v6
	v_add_u32_e32 v7, 16, v7
	s_or_b64 s[2:3], vcc, s[2:3]
	s_waitcnt vmcnt(0) lgkmcnt(0)
	v_mul_f64 v[8:9], v[154:155], v[150:151]
	v_mul_f64 v[150:151], v[152:153], v[150:151]
	v_fma_f64 v[8:9], v[152:153], v[148:149], -v[8:9]
	v_fmac_f64_e32 v[150:151], v[154:155], v[148:149]
	v_add_f64 v[2:3], v[2:3], v[8:9]
	v_add_f64 v[4:5], v[4:5], v[150:151]
	s_andn2_b64 exec, exec, s[2:3]
	s_cbranch_execnz .LBB109_716
; %bb.717:
	s_or_b64 exec, exec, s[2:3]
.LBB109_718:
	s_or_b64 exec, exec, s[0:1]
	v_mov_b32_e32 v0, 0
	ds_read_b128 v[148:151], v0 offset:720
	v_mov_b32_e32 v0, 0
	v_add_u32_e32 v147, 0x2d8, v0
	s_or_b64 s[4:5], s[4:5], exec
	s_waitcnt lgkmcnt(0)
	v_mul_f64 v[8:9], v[4:5], v[150:151]
	v_mul_f64 v[6:7], v[2:3], v[150:151]
	v_fma_f64 v[2:3], v[2:3], v[148:149], -v[8:9]
	v_fmac_f64_e32 v[6:7], v[4:5], v[148:149]
	scratch_store_dwordx2 off, v[2:3], off offset:720
.LBB109_719:
	s_or_b64 exec, exec, s[6:7]
.LBB109_720:
	s_and_saveexec_b64 s[0:1], s[4:5]
	s_cbranch_execz .LBB109_722
; %bb.721:
	scratch_store_dwordx2 v147, v[6:7], off
.LBB109_722:
	s_or_b64 exec, exec, s[0:1]
	scratch_load_dwordx4 v[2:5], off, off
	scratch_load_dwordx4 v[6:9], v146, off
	s_nop 0
	scratch_load_dwordx4 v[146:149], v145, off
	scratch_load_dwordx4 v[150:153], v144, off
	;; [unrolled: 1-line block ×3, first 2 shown]
	s_nop 0
	scratch_load_dwordx4 v[142:145], v142, off
	s_nop 0
	scratch_load_dwordx4 v[158:161], v141, off
	scratch_load_dwordx4 v[162:165], v140, off
	s_waitcnt vmcnt(7)
	global_store_dwordx4 v[38:39], v[2:5], off
	scratch_load_dwordx4 v[2:5], v139, off
	s_nop 0
	scratch_load_dwordx4 v[138:141], v138, off
	s_waitcnt vmcnt(9)
	global_store_dwordx4 v[36:37], v[6:9], off
	scratch_load_dwordx4 v[6:9], v137, off
	s_nop 0
	;; [unrolled: 5-line block ×19, first 2 shown]
	scratch_load_dwordx4 v[174:177], v1, off
	s_waitcnt vmcnt(39)
	global_store_dwordx4 v[42:43], v[142:145], off
	s_waitcnt vmcnt(38)
	global_store_dwordx4 v[46:47], v[154:157], off
	;; [unrolled: 2-line block ×27, first 2 shown]
.LBB109_723:
	s_endpgm
	.section	.rodata,"a",@progbits
	.p2align	6, 0x0
	.amdhsa_kernel _ZN9rocsolver6v33100L18trti2_kernel_smallILi46E19rocblas_complex_numIdEPKPS3_EEv13rocblas_fill_17rocblas_diagonal_T1_iil
		.amdhsa_group_segment_fixed_size 1472
		.amdhsa_private_segment_fixed_size 752
		.amdhsa_kernarg_size 32
		.amdhsa_user_sgpr_count 2
		.amdhsa_user_sgpr_dispatch_ptr 0
		.amdhsa_user_sgpr_queue_ptr 0
		.amdhsa_user_sgpr_kernarg_segment_ptr 1
		.amdhsa_user_sgpr_dispatch_id 0
		.amdhsa_user_sgpr_kernarg_preload_length 0
		.amdhsa_user_sgpr_kernarg_preload_offset 0
		.amdhsa_user_sgpr_private_segment_size 0
		.amdhsa_uses_dynamic_stack 0
		.amdhsa_enable_private_segment 1
		.amdhsa_system_sgpr_workgroup_id_x 1
		.amdhsa_system_sgpr_workgroup_id_y 0
		.amdhsa_system_sgpr_workgroup_id_z 0
		.amdhsa_system_sgpr_workgroup_info 0
		.amdhsa_system_vgpr_workitem_id 0
		.amdhsa_next_free_vgpr 178
		.amdhsa_next_free_sgpr 12
		.amdhsa_accum_offset 180
		.amdhsa_reserve_vcc 1
		.amdhsa_float_round_mode_32 0
		.amdhsa_float_round_mode_16_64 0
		.amdhsa_float_denorm_mode_32 3
		.amdhsa_float_denorm_mode_16_64 3
		.amdhsa_dx10_clamp 1
		.amdhsa_ieee_mode 1
		.amdhsa_fp16_overflow 0
		.amdhsa_tg_split 0
		.amdhsa_exception_fp_ieee_invalid_op 0
		.amdhsa_exception_fp_denorm_src 0
		.amdhsa_exception_fp_ieee_div_zero 0
		.amdhsa_exception_fp_ieee_overflow 0
		.amdhsa_exception_fp_ieee_underflow 0
		.amdhsa_exception_fp_ieee_inexact 0
		.amdhsa_exception_int_div_zero 0
	.end_amdhsa_kernel
	.section	.text._ZN9rocsolver6v33100L18trti2_kernel_smallILi46E19rocblas_complex_numIdEPKPS3_EEv13rocblas_fill_17rocblas_diagonal_T1_iil,"axG",@progbits,_ZN9rocsolver6v33100L18trti2_kernel_smallILi46E19rocblas_complex_numIdEPKPS3_EEv13rocblas_fill_17rocblas_diagonal_T1_iil,comdat
.Lfunc_end109:
	.size	_ZN9rocsolver6v33100L18trti2_kernel_smallILi46E19rocblas_complex_numIdEPKPS3_EEv13rocblas_fill_17rocblas_diagonal_T1_iil, .Lfunc_end109-_ZN9rocsolver6v33100L18trti2_kernel_smallILi46E19rocblas_complex_numIdEPKPS3_EEv13rocblas_fill_17rocblas_diagonal_T1_iil
                                        ; -- End function
	.section	.AMDGPU.csdata,"",@progbits
; Kernel info:
; codeLenInByte = 30328
; NumSgprs: 18
; NumVgprs: 178
; NumAgprs: 0
; TotalNumVgprs: 178
; ScratchSize: 752
; MemoryBound: 0
; FloatMode: 240
; IeeeMode: 1
; LDSByteSize: 1472 bytes/workgroup (compile time only)
; SGPRBlocks: 2
; VGPRBlocks: 22
; NumSGPRsForWavesPerEU: 18
; NumVGPRsForWavesPerEU: 178
; AccumOffset: 180
; Occupancy: 2
; WaveLimiterHint : 1
; COMPUTE_PGM_RSRC2:SCRATCH_EN: 1
; COMPUTE_PGM_RSRC2:USER_SGPR: 2
; COMPUTE_PGM_RSRC2:TRAP_HANDLER: 0
; COMPUTE_PGM_RSRC2:TGID_X_EN: 1
; COMPUTE_PGM_RSRC2:TGID_Y_EN: 0
; COMPUTE_PGM_RSRC2:TGID_Z_EN: 0
; COMPUTE_PGM_RSRC2:TIDIG_COMP_CNT: 0
; COMPUTE_PGM_RSRC3_GFX90A:ACCUM_OFFSET: 44
; COMPUTE_PGM_RSRC3_GFX90A:TG_SPLIT: 0
	.section	.text._ZN9rocsolver6v33100L18trti2_kernel_smallILi47E19rocblas_complex_numIdEPKPS3_EEv13rocblas_fill_17rocblas_diagonal_T1_iil,"axG",@progbits,_ZN9rocsolver6v33100L18trti2_kernel_smallILi47E19rocblas_complex_numIdEPKPS3_EEv13rocblas_fill_17rocblas_diagonal_T1_iil,comdat
	.globl	_ZN9rocsolver6v33100L18trti2_kernel_smallILi47E19rocblas_complex_numIdEPKPS3_EEv13rocblas_fill_17rocblas_diagonal_T1_iil ; -- Begin function _ZN9rocsolver6v33100L18trti2_kernel_smallILi47E19rocblas_complex_numIdEPKPS3_EEv13rocblas_fill_17rocblas_diagonal_T1_iil
	.p2align	8
	.type	_ZN9rocsolver6v33100L18trti2_kernel_smallILi47E19rocblas_complex_numIdEPKPS3_EEv13rocblas_fill_17rocblas_diagonal_T1_iil,@function
_ZN9rocsolver6v33100L18trti2_kernel_smallILi47E19rocblas_complex_numIdEPKPS3_EEv13rocblas_fill_17rocblas_diagonal_T1_iil: ; @_ZN9rocsolver6v33100L18trti2_kernel_smallILi47E19rocblas_complex_numIdEPKPS3_EEv13rocblas_fill_17rocblas_diagonal_T1_iil
; %bb.0:
	v_cmp_gt_u32_e32 vcc, 47, v0
	s_and_saveexec_b64 s[4:5], vcc
	s_cbranch_execz .LBB110_739
; %bb.1:
	s_load_dwordx2 s[8:9], s[0:1], 0x10
	s_load_dwordx4 s[4:7], s[0:1], 0x0
	s_ashr_i32 s3, s2, 31
	s_lshl_b64 s[0:1], s[2:3], 3
	v_lshlrev_b32_e32 v62, 4, v0
	s_waitcnt lgkmcnt(0)
	s_ashr_i32 s3, s8, 31
	s_add_u32 s0, s6, s0
	s_addc_u32 s1, s7, s1
	s_load_dwordx2 s[0:1], s[0:1], 0x0
	s_mov_b32 s2, s8
	s_lshl_b64 s[2:3], s[2:3], 4
	v_mov_b32_e32 v63, 0
	v_mov_b32_e32 v1, 0
	s_waitcnt lgkmcnt(0)
	s_add_u32 s0, s0, s2
	s_addc_u32 s1, s1, s3
	v_lshl_add_u64 v[12:13], s[0:1], 0, v[62:63]
	s_ashr_i32 s3, s9, 31
	s_mov_b32 s2, s9
	v_lshl_add_u64 v[14:15], s[2:3], 4, v[12:13]
	s_add_i32 s2, s9, s9
	v_add_u32_e32 v10, s2, v0
	v_ashrrev_i32_e32 v11, 31, v10
	v_lshl_add_u64 v[16:17], v[10:11], 4, s[0:1]
	v_add_u32_e32 v10, s9, v10
	v_ashrrev_i32_e32 v11, 31, v10
	v_lshl_add_u64 v[18:19], v[10:11], 4, s[0:1]
	;; [unrolled: 3-line block ×4, first 2 shown]
	v_add_u32_e32 v10, s9, v10
	v_ashrrev_i32_e32 v11, 31, v10
	global_load_dwordx4 v[2:5], v62, s[0:1]
	global_load_dwordx4 v[6:9], v[14:15], off
	global_load_dwordx4 v[54:57], v[16:17], off
	;; [unrolled: 1-line block ×4, first 2 shown]
	v_lshl_add_u64 v[24:25], v[10:11], 4, s[0:1]
	global_load_dwordx4 v[68:71], v[22:23], off
	global_load_dwordx4 v[72:75], v[24:25], off
	v_add_u32_e32 v10, s9, v10
	v_ashrrev_i32_e32 v11, 31, v10
	v_add_u32_e32 v28, s9, v10
	v_lshl_add_u64 v[26:27], v[10:11], 4, s[0:1]
	v_add_u32_e32 v10, s9, v28
	v_ashrrev_i32_e32 v11, 31, v10
	v_add_u32_e32 v32, s9, v10
	v_lshl_add_u64 v[30:31], v[10:11], 4, s[0:1]
	;; [unrolled: 4-line block ×7, first 2 shown]
	v_add_u32_e32 v10, s9, v124
	v_ashrrev_i32_e32 v29, 31, v28
	v_ashrrev_i32_e32 v33, 31, v32
	;; [unrolled: 1-line block ×7, first 2 shown]
	v_lshl_add_u64 v[28:29], v[28:29], 4, s[0:1]
	global_load_dwordx4 v[76:79], v[26:27], off
	global_load_dwordx4 v[80:83], v[28:29], off
	v_lshl_add_u64 v[32:33], v[32:33], 4, s[0:1]
	global_load_dwordx4 v[84:87], v[30:31], off
	global_load_dwordx4 v[88:91], v[32:33], off
	;; [unrolled: 3-line block ×6, first 2 shown]
	v_ashrrev_i32_e32 v125, 31, v124
	v_lshl_add_u64 v[50:51], v[124:125], 4, s[0:1]
	s_cmpk_lg_i32 s5, 0x84
	s_cselect_b64 s[6:7], -1, 0
	s_cmpk_eq_i32 s5, 0x84
	s_waitcnt vmcnt(18)
	scratch_store_dwordx4 off, v[2:5], off
	s_waitcnt vmcnt(18)
	scratch_store_dwordx4 off, v[6:9], off offset:16
	s_waitcnt vmcnt(18)
	scratch_store_dwordx4 off, v[54:57], off offset:32
	;; [unrolled: 2-line block ×6, first 2 shown]
	v_lshl_add_u64 v[54:55], v[10:11], 4, s[0:1]
	v_add_u32_e32 v10, s9, v10
	v_ashrrev_i32_e32 v11, 31, v10
	v_lshl_add_u64 v[56:57], v[10:11], 4, s[0:1]
	v_add_u32_e32 v10, s9, v10
	v_ashrrev_i32_e32 v11, 31, v10
	;; [unrolled: 3-line block ×9, first 2 shown]
	global_load_dwordx4 v[2:5], v[52:53], off
	global_load_dwordx4 v[6:9], v[50:51], off
	;; [unrolled: 1-line block ×10, first 2 shown]
	v_lshl_add_u64 v[74:75], v[10:11], 4, s[0:1]
	global_load_dwordx4 v[156:159], v[72:73], off
	global_load_dwordx4 v[160:163], v[74:75], off
	s_waitcnt vmcnt(30)
	scratch_store_dwordx4 off, v[76:79], off offset:112
	s_waitcnt vmcnt(30)
	scratch_store_dwordx4 off, v[80:83], off offset:128
	;; [unrolled: 2-line block ×24, first 2 shown]
	v_add_u32_e32 v2, s9, v10
	v_add_u32_e32 v10, s9, v2
	v_ashrrev_i32_e32 v11, 31, v10
	v_lshl_add_u64 v[78:79], v[10:11], 4, s[0:1]
	v_add_u32_e32 v10, s9, v10
	v_ashrrev_i32_e32 v11, 31, v10
	v_lshl_add_u64 v[80:81], v[10:11], 4, s[0:1]
	;; [unrolled: 3-line block ×13, first 2 shown]
	v_add_u32_e32 v10, s9, v10
	v_ashrrev_i32_e32 v11, 31, v10
	v_ashrrev_i32_e32 v3, 31, v2
	v_lshl_add_u64 v[104:105], v[10:11], 4, s[0:1]
	v_add_u32_e32 v10, s9, v10
	v_lshl_add_u64 v[76:77], v[2:3], 4, s[0:1]
	v_ashrrev_i32_e32 v11, 31, v10
	global_load_dwordx4 v[2:5], v[76:77], off
	global_load_dwordx4 v[6:9], v[78:79], off
	;; [unrolled: 1-line block ×14, first 2 shown]
	v_lshl_add_u64 v[106:107], v[10:11], 4, s[0:1]
	global_load_dwordx4 v[156:159], v[104:105], off
	global_load_dwordx4 v[160:163], v[106:107], off
	s_waitcnt vmcnt(15)
	scratch_store_dwordx4 off, v[2:5], off offset:496
	s_waitcnt vmcnt(15)
	scratch_store_dwordx4 off, v[6:9], off offset:512
	s_waitcnt vmcnt(15)
	scratch_store_dwordx4 off, v[108:111], off offset:528
	s_waitcnt vmcnt(15)
	scratch_store_dwordx4 off, v[112:115], off offset:544
	s_waitcnt vmcnt(15)
	scratch_store_dwordx4 off, v[116:119], off offset:560
	s_waitcnt vmcnt(15)
	scratch_store_dwordx4 off, v[120:123], off offset:576
	s_waitcnt vmcnt(15)
	scratch_store_dwordx4 off, v[124:127], off offset:592
	s_waitcnt vmcnt(15)
	scratch_store_dwordx4 off, v[128:131], off offset:608
	s_waitcnt vmcnt(15)
	scratch_store_dwordx4 off, v[132:135], off offset:624
	s_waitcnt vmcnt(15)
	scratch_store_dwordx4 off, v[136:139], off offset:640
	s_waitcnt vmcnt(15)
	scratch_store_dwordx4 off, v[140:143], off offset:656
	s_waitcnt vmcnt(15)
	scratch_store_dwordx4 off, v[144:147], off offset:672
	s_waitcnt vmcnt(15)
	scratch_store_dwordx4 off, v[148:151], off offset:688
	s_waitcnt vmcnt(15)
	scratch_store_dwordx4 off, v[152:155], off offset:704
	s_waitcnt vmcnt(15)
	scratch_store_dwordx4 off, v[156:159], off offset:720
	s_waitcnt vmcnt(15)
	scratch_store_dwordx4 off, v[160:163], off offset:736
	s_cbranch_scc1 .LBB110_7
; %bb.2:
	scratch_load_dwordx4 v[8:11], v62, off
                                        ; implicit-def: $vgpr6_vgpr7
	s_waitcnt vmcnt(0)
	v_xor_b32_e32 v3, 0x80000000, v9
	v_cmp_gt_f64_e32 vcc, 0, v[8:9]
	v_xor_b32_e32 v4, 0x80000000, v11
	v_mov_b32_e32 v2, v8
	v_cndmask_b32_e32 v3, v9, v3, vcc
	v_cmp_gt_f64_e32 vcc, 0, v[10:11]
	s_nop 1
	v_cndmask_b32_e32 v5, v11, v4, vcc
	v_mov_b32_e32 v4, v10
	v_cmp_ngt_f64_e32 vcc, v[2:3], v[4:5]
                                        ; implicit-def: $vgpr2_vgpr3
	s_and_saveexec_b64 s[0:1], vcc
	s_xor_b64 s[0:1], exec, s[0:1]
	s_cbranch_execz .LBB110_4
; %bb.3:
	v_div_scale_f64 v[2:3], s[2:3], v[10:11], v[10:11], v[8:9]
	v_rcp_f64_e32 v[4:5], v[2:3]
	v_div_scale_f64 v[6:7], vcc, v[8:9], v[10:11], v[8:9]
	v_fma_f64 v[108:109], -v[2:3], v[4:5], 1.0
	v_fmac_f64_e32 v[4:5], v[4:5], v[108:109]
	v_fma_f64 v[108:109], -v[2:3], v[4:5], 1.0
	v_fmac_f64_e32 v[4:5], v[4:5], v[108:109]
	v_mul_f64 v[108:109], v[6:7], v[4:5]
	v_fma_f64 v[2:3], -v[2:3], v[108:109], v[6:7]
	v_div_fmas_f64 v[2:3], v[2:3], v[4:5], v[108:109]
	v_div_fixup_f64 v[2:3], v[2:3], v[10:11], v[8:9]
	v_fmac_f64_e32 v[10:11], v[8:9], v[2:3]
	v_div_scale_f64 v[4:5], s[2:3], v[10:11], v[10:11], 1.0
	v_rcp_f64_e32 v[6:7], v[4:5]
	s_nop 0
	v_fma_f64 v[8:9], -v[4:5], v[6:7], 1.0
	v_fmac_f64_e32 v[6:7], v[6:7], v[8:9]
	v_fma_f64 v[8:9], -v[4:5], v[6:7], 1.0
	v_fmac_f64_e32 v[6:7], v[6:7], v[8:9]
	v_div_scale_f64 v[8:9], vcc, 1.0, v[10:11], 1.0
	v_mul_f64 v[108:109], v[8:9], v[6:7]
	v_fma_f64 v[4:5], -v[4:5], v[108:109], v[8:9]
                                        ; implicit-def: $vgpr8_vgpr9
	s_nop 1
	v_div_fmas_f64 v[4:5], v[4:5], v[6:7], v[108:109]
	v_div_fixup_f64 v[4:5], v[4:5], v[10:11], 1.0
	v_mul_f64 v[2:3], v[2:3], v[4:5]
	v_xor_b32_e32 v5, 0x80000000, v5
	v_xor_b32_e32 v7, 0x80000000, v3
	v_mov_b32_e32 v6, v2
.LBB110_4:
	s_or_saveexec_b64 s[0:1], s[0:1]
	v_add_u32_e32 v63, 0, v62
	s_xor_b64 exec, exec, s[0:1]
	s_cbranch_execz .LBB110_6
; %bb.5:
	v_div_scale_f64 v[2:3], s[2:3], v[8:9], v[8:9], v[10:11]
	v_rcp_f64_e32 v[4:5], v[2:3]
	v_div_scale_f64 v[6:7], vcc, v[10:11], v[8:9], v[10:11]
	v_fma_f64 v[108:109], -v[2:3], v[4:5], 1.0
	v_fmac_f64_e32 v[4:5], v[4:5], v[108:109]
	v_fma_f64 v[108:109], -v[2:3], v[4:5], 1.0
	v_fmac_f64_e32 v[4:5], v[4:5], v[108:109]
	v_mul_f64 v[108:109], v[6:7], v[4:5]
	v_fma_f64 v[2:3], -v[2:3], v[108:109], v[6:7]
	v_div_fmas_f64 v[2:3], v[2:3], v[4:5], v[108:109]
	v_div_fixup_f64 v[4:5], v[2:3], v[8:9], v[10:11]
	v_fmac_f64_e32 v[8:9], v[10:11], v[4:5]
	v_div_scale_f64 v[2:3], s[2:3], v[8:9], v[8:9], 1.0
	v_rcp_f64_e32 v[6:7], v[2:3]
	s_nop 0
	v_fma_f64 v[10:11], -v[2:3], v[6:7], 1.0
	v_fmac_f64_e32 v[6:7], v[6:7], v[10:11]
	v_fma_f64 v[10:11], -v[2:3], v[6:7], 1.0
	v_fmac_f64_e32 v[6:7], v[6:7], v[10:11]
	v_div_scale_f64 v[10:11], vcc, 1.0, v[8:9], 1.0
	v_mul_f64 v[108:109], v[10:11], v[6:7]
	v_fma_f64 v[2:3], -v[2:3], v[108:109], v[10:11]
	s_nop 1
	v_div_fmas_f64 v[2:3], v[2:3], v[6:7], v[108:109]
	v_div_fixup_f64 v[2:3], v[2:3], v[8:9], 1.0
	v_xor_b32_e32 v7, 0x80000000, v3
	v_mov_b32_e32 v6, v2
	v_mul_f64 v[4:5], v[4:5], -v[2:3]
.LBB110_6:
	s_or_b64 exec, exec, s[0:1]
	scratch_store_dwordx4 v63, v[2:5], off
	s_nop 1
	v_xor_b32_e32 v5, 0x80000000, v5
	s_branch .LBB110_8
.LBB110_7:
	v_mov_b64_e32 v[4:5], 0
	v_mov_b64_e32 v[6:7], -1.0
.LBB110_8:
	v_mov_b32_e32 v8, v4
	v_mov_b32_e32 v9, v5
	v_add_u32_e32 v149, 16, v1
	v_add_u32_e32 v148, 32, v1
	v_add_u32_e32 v147, 48, v1
	v_add_u32_e32 v146, 64, v1
	v_add_u32_e32 v145, 0x50, v1
	v_add_u32_e32 v144, 0x60, v1
	v_add_u32_e32 v143, 0x70, v1
	v_add_u32_e32 v142, 0x80, v1
	v_add_u32_e32 v141, 0x90, v1
	v_add_u32_e32 v140, 0xa0, v1
	v_add_u32_e32 v139, 0xb0, v1
	v_add_u32_e32 v138, 0xc0, v1
	v_add_u32_e32 v137, 0xd0, v1
	v_add_u32_e32 v136, 0xe0, v1
	v_add_u32_e32 v135, 0xf0, v1
	v_add_u32_e32 v134, 0x100, v1
	v_add_u32_e32 v133, 0x110, v1
	v_add_u32_e32 v132, 0x120, v1
	v_add_u32_e32 v131, 0x130, v1
	v_add_u32_e32 v130, 0x140, v1
	v_add_u32_e32 v129, 0x150, v1
	v_add_u32_e32 v128, 0x160, v1
	v_add_u32_e32 v127, 0x170, v1
	v_add_u32_e32 v126, 0x180, v1
	v_add_u32_e32 v125, 0x190, v1
	v_add_u32_e32 v124, 0x1a0, v1
	v_add_u32_e32 v123, 0x1b0, v1
	v_add_u32_e32 v122, 0x1c0, v1
	v_add_u32_e32 v121, 0x1d0, v1
	v_add_u32_e32 v120, 0x1e0, v1
	v_add_u32_e32 v119, 0x1f0, v1
	v_add_u32_e32 v118, 0x200, v1
	v_add_u32_e32 v117, 0x210, v1
	v_add_u32_e32 v116, 0x220, v1
	v_add_u32_e32 v115, 0x230, v1
	v_add_u32_e32 v114, 0x240, v1
	v_add_u32_e32 v113, 0x250, v1
	v_add_u32_e32 v112, 0x260, v1
	v_add_u32_e32 v111, 0x270, v1
	v_add_u32_e32 v110, 0x280, v1
	v_add_u32_e32 v109, 0x290, v1
	v_add_u32_e32 v108, 0x2a0, v1
	v_add_u32_e32 v63, 0x2b0, v1
	v_add_u32_e32 v11, 0x2c0, v1
	v_add_u32_e32 v10, 0x2d0, v1
	v_add_u32_e32 v1, 0x2e0, v1
	ds_write_b128 v62, v[6:9]
	s_cmpk_eq_i32 s4, 0x79
	v_add_u32_e32 v9, 0x2f0, v62
	v_add_u32_e32 v8, 0, v62
	s_cbranch_scc1 .LBB110_372
; %bb.9:
	scratch_load_dwordx4 v[2:5], v10, off
	v_cmp_eq_u32_e64 s[0:1], 46, v0
	s_waitcnt vmcnt(0)
	ds_write_b128 v9, v[2:5]
	s_waitcnt lgkmcnt(0)
	; wave barrier
	s_waitcnt lgkmcnt(0)
	s_and_saveexec_b64 s[2:3], s[0:1]
	s_cbranch_execz .LBB110_13
; %bb.10:
	ds_read_b128 v[2:5], v9
	s_andn2_b64 vcc, exec, s[6:7]
	s_cbranch_vccnz .LBB110_12
; %bb.11:
	scratch_load_dwordx4 v[150:153], v8, off
	s_waitcnt vmcnt(0) lgkmcnt(0)
	v_mul_f64 v[6:7], v[4:5], v[152:153]
	v_mul_f64 v[152:153], v[2:3], v[152:153]
	v_fmac_f64_e32 v[152:153], v[4:5], v[150:151]
	v_fma_f64 v[2:3], v[2:3], v[150:151], -v[6:7]
	v_mov_b64_e32 v[4:5], v[152:153]
.LBB110_12:
	v_mov_b32_e32 v6, 0
	ds_read_b128 v[150:153], v6 offset:720
	s_waitcnt lgkmcnt(0)
	v_mul_f64 v[6:7], v[4:5], v[152:153]
	v_mul_f64 v[154:155], v[2:3], v[152:153]
	v_fma_f64 v[152:153], v[2:3], v[150:151], -v[6:7]
	v_fmac_f64_e32 v[154:155], v[4:5], v[150:151]
	scratch_store_dwordx4 off, v[152:155], off offset:720
.LBB110_13:
	s_or_b64 exec, exec, s[2:3]
	scratch_load_dwordx4 v[2:5], v11, off
	v_cmp_lt_u32_e64 s[2:3], 44, v0
	s_waitcnt vmcnt(0)
	ds_write_b128 v9, v[2:5]
	s_waitcnt lgkmcnt(0)
	; wave barrier
	s_waitcnt lgkmcnt(0)
	s_and_saveexec_b64 s[4:5], s[2:3]
	s_cbranch_execz .LBB110_19
; %bb.14:
	ds_read_b128 v[2:5], v9
	s_andn2_b64 vcc, exec, s[6:7]
	s_cbranch_vccnz .LBB110_16
; %bb.15:
	scratch_load_dwordx4 v[150:153], v8, off
	s_waitcnt vmcnt(0) lgkmcnt(0)
	v_mul_f64 v[6:7], v[4:5], v[152:153]
	v_mul_f64 v[152:153], v[2:3], v[152:153]
	v_fmac_f64_e32 v[152:153], v[4:5], v[150:151]
	v_fma_f64 v[2:3], v[2:3], v[150:151], -v[6:7]
	v_mov_b64_e32 v[4:5], v[152:153]
.LBB110_16:
	s_and_saveexec_b64 s[8:9], s[0:1]
	s_cbranch_execz .LBB110_18
; %bb.17:
	scratch_load_dwordx4 v[150:153], off, off offset:720
	v_mov_b32_e32 v6, 0
	ds_read_b128 v[154:157], v6 offset:1472
	s_waitcnt vmcnt(0) lgkmcnt(0)
	v_mul_f64 v[6:7], v[154:155], v[152:153]
	v_mul_f64 v[152:153], v[156:157], v[152:153]
	v_fmac_f64_e32 v[6:7], v[156:157], v[150:151]
	v_fma_f64 v[150:151], v[154:155], v[150:151], -v[152:153]
	v_add_f64 v[4:5], v[4:5], v[6:7]
	v_add_f64 v[2:3], v[2:3], v[150:151]
.LBB110_18:
	s_or_b64 exec, exec, s[8:9]
	v_mov_b32_e32 v6, 0
	ds_read_b128 v[150:153], v6 offset:704
	s_waitcnt lgkmcnt(0)
	v_mul_f64 v[6:7], v[4:5], v[152:153]
	v_mul_f64 v[154:155], v[2:3], v[152:153]
	v_fma_f64 v[152:153], v[2:3], v[150:151], -v[6:7]
	v_fmac_f64_e32 v[154:155], v[4:5], v[150:151]
	scratch_store_dwordx4 off, v[152:155], off offset:704
.LBB110_19:
	s_or_b64 exec, exec, s[4:5]
	scratch_load_dwordx4 v[2:5], v63, off
	v_cmp_lt_u32_e64 s[0:1], 43, v0
	s_waitcnt vmcnt(0)
	ds_write_b128 v9, v[2:5]
	s_waitcnt lgkmcnt(0)
	; wave barrier
	s_waitcnt lgkmcnt(0)
	s_and_saveexec_b64 s[4:5], s[0:1]
	s_cbranch_execz .LBB110_27
; %bb.20:
	ds_read_b128 v[2:5], v9
	s_andn2_b64 vcc, exec, s[6:7]
	s_cbranch_vccnz .LBB110_22
; %bb.21:
	scratch_load_dwordx4 v[150:153], v8, off
	s_waitcnt vmcnt(0) lgkmcnt(0)
	v_mul_f64 v[6:7], v[4:5], v[152:153]
	v_mul_f64 v[152:153], v[2:3], v[152:153]
	v_fmac_f64_e32 v[152:153], v[4:5], v[150:151]
	v_fma_f64 v[2:3], v[2:3], v[150:151], -v[6:7]
	v_mov_b64_e32 v[4:5], v[152:153]
.LBB110_22:
	s_and_saveexec_b64 s[8:9], s[2:3]
	s_cbranch_execz .LBB110_26
; %bb.23:
	v_mov_b32_e32 v7, 0
	v_subrev_u32_e32 v6, 44, v0
	v_add_u32_e32 v7, 0x2c8, v7
	s_movk_i32 s10, 0x5b0
	s_mov_b64 s[2:3], 0
.LBB110_24:                             ; =>This Inner Loop Header: Depth=1
	v_add_u32_e32 v150, -8, v7
	scratch_load_dwordx4 v[150:153], v150, off
	v_mov_b32_e32 v154, s10
	ds_read_b128 v[154:157], v154
	v_add_u32_e32 v6, -1, v6
	s_add_i32 s10, s10, 16
	v_cmp_eq_u32_e32 vcc, 0, v6
	v_add_u32_e32 v7, 16, v7
	s_or_b64 s[2:3], vcc, s[2:3]
	s_waitcnt vmcnt(0) lgkmcnt(0)
	v_mul_f64 v[158:159], v[156:157], v[152:153]
	v_mul_f64 v[152:153], v[154:155], v[152:153]
	v_fma_f64 v[154:155], v[154:155], v[150:151], -v[158:159]
	v_fmac_f64_e32 v[152:153], v[156:157], v[150:151]
	v_add_f64 v[2:3], v[2:3], v[154:155]
	v_add_f64 v[4:5], v[4:5], v[152:153]
	s_andn2_b64 exec, exec, s[2:3]
	s_cbranch_execnz .LBB110_24
; %bb.25:
	s_or_b64 exec, exec, s[2:3]
.LBB110_26:
	s_or_b64 exec, exec, s[8:9]
	v_mov_b32_e32 v6, 0
	ds_read_b128 v[150:153], v6 offset:688
	s_waitcnt lgkmcnt(0)
	v_mul_f64 v[6:7], v[4:5], v[152:153]
	v_mul_f64 v[154:155], v[2:3], v[152:153]
	v_fma_f64 v[152:153], v[2:3], v[150:151], -v[6:7]
	v_fmac_f64_e32 v[154:155], v[4:5], v[150:151]
	scratch_store_dwordx4 off, v[152:155], off offset:688
.LBB110_27:
	s_or_b64 exec, exec, s[4:5]
	scratch_load_dwordx4 v[2:5], v108, off
	v_cmp_lt_u32_e64 s[2:3], 42, v0
	s_waitcnt vmcnt(0)
	ds_write_b128 v9, v[2:5]
	s_waitcnt lgkmcnt(0)
	; wave barrier
	s_waitcnt lgkmcnt(0)
	s_and_saveexec_b64 s[4:5], s[2:3]
	s_cbranch_execz .LBB110_35
; %bb.28:
	ds_read_b128 v[2:5], v9
	s_andn2_b64 vcc, exec, s[6:7]
	s_cbranch_vccnz .LBB110_30
; %bb.29:
	scratch_load_dwordx4 v[150:153], v8, off
	s_waitcnt vmcnt(0) lgkmcnt(0)
	v_mul_f64 v[6:7], v[4:5], v[152:153]
	v_mul_f64 v[152:153], v[2:3], v[152:153]
	v_fmac_f64_e32 v[152:153], v[4:5], v[150:151]
	v_fma_f64 v[2:3], v[2:3], v[150:151], -v[6:7]
	v_mov_b64_e32 v[4:5], v[152:153]
.LBB110_30:
	s_and_saveexec_b64 s[8:9], s[0:1]
	s_cbranch_execz .LBB110_34
; %bb.31:
	v_mov_b32_e32 v7, 0
	v_subrev_u32_e32 v6, 43, v0
	v_add_u32_e32 v7, 0x2b8, v7
	s_movk_i32 s10, 0x5a0
	s_mov_b64 s[0:1], 0
.LBB110_32:                             ; =>This Inner Loop Header: Depth=1
	v_add_u32_e32 v150, -8, v7
	scratch_load_dwordx4 v[150:153], v150, off
	v_mov_b32_e32 v154, s10
	ds_read_b128 v[154:157], v154
	v_add_u32_e32 v6, -1, v6
	s_add_i32 s10, s10, 16
	v_cmp_eq_u32_e32 vcc, 0, v6
	v_add_u32_e32 v7, 16, v7
	s_or_b64 s[0:1], vcc, s[0:1]
	s_waitcnt vmcnt(0) lgkmcnt(0)
	v_mul_f64 v[158:159], v[156:157], v[152:153]
	v_mul_f64 v[152:153], v[154:155], v[152:153]
	v_fma_f64 v[154:155], v[154:155], v[150:151], -v[158:159]
	v_fmac_f64_e32 v[152:153], v[156:157], v[150:151]
	v_add_f64 v[2:3], v[2:3], v[154:155]
	v_add_f64 v[4:5], v[4:5], v[152:153]
	s_andn2_b64 exec, exec, s[0:1]
	s_cbranch_execnz .LBB110_32
; %bb.33:
	s_or_b64 exec, exec, s[0:1]
.LBB110_34:
	s_or_b64 exec, exec, s[8:9]
	v_mov_b32_e32 v6, 0
	ds_read_b128 v[150:153], v6 offset:672
	s_waitcnt lgkmcnt(0)
	v_mul_f64 v[6:7], v[4:5], v[152:153]
	v_mul_f64 v[154:155], v[2:3], v[152:153]
	v_fma_f64 v[152:153], v[2:3], v[150:151], -v[6:7]
	v_fmac_f64_e32 v[154:155], v[4:5], v[150:151]
	scratch_store_dwordx4 off, v[152:155], off offset:672
.LBB110_35:
	;; [unrolled: 63-line block ×10, first 2 shown]
	s_or_b64 exec, exec, s[4:5]
	scratch_load_dwordx4 v[2:5], v117, off
	v_cmp_lt_u32_e64 s[0:1], 33, v0
	s_waitcnt vmcnt(0)
	ds_write_b128 v9, v[2:5]
	s_waitcnt lgkmcnt(0)
	; wave barrier
	s_waitcnt lgkmcnt(0)
	s_and_saveexec_b64 s[4:5], s[0:1]
	s_cbranch_execz .LBB110_107
; %bb.100:
	ds_read_b128 v[2:5], v9
	s_andn2_b64 vcc, exec, s[6:7]
	s_cbranch_vccnz .LBB110_102
; %bb.101:
	scratch_load_dwordx4 v[150:153], v8, off
	s_waitcnt vmcnt(0) lgkmcnt(0)
	v_mul_f64 v[6:7], v[4:5], v[152:153]
	v_mul_f64 v[152:153], v[2:3], v[152:153]
	v_fmac_f64_e32 v[152:153], v[4:5], v[150:151]
	v_fma_f64 v[2:3], v[2:3], v[150:151], -v[6:7]
	v_mov_b64_e32 v[4:5], v[152:153]
.LBB110_102:
	s_and_saveexec_b64 s[8:9], s[2:3]
	s_cbranch_execz .LBB110_106
; %bb.103:
	v_mov_b32_e32 v7, 0
	v_subrev_u32_e32 v6, 34, v0
	v_add_u32_e32 v7, 0x228, v7
	s_movk_i32 s10, 0x510
	s_mov_b64 s[2:3], 0
.LBB110_104:                            ; =>This Inner Loop Header: Depth=1
	v_add_u32_e32 v150, -8, v7
	scratch_load_dwordx4 v[150:153], v150, off
	v_mov_b32_e32 v154, s10
	ds_read_b128 v[154:157], v154
	v_add_u32_e32 v6, -1, v6
	s_add_i32 s10, s10, 16
	v_cmp_eq_u32_e32 vcc, 0, v6
	v_add_u32_e32 v7, 16, v7
	s_or_b64 s[2:3], vcc, s[2:3]
	s_waitcnt vmcnt(0) lgkmcnt(0)
	v_mul_f64 v[158:159], v[156:157], v[152:153]
	v_mul_f64 v[152:153], v[154:155], v[152:153]
	v_fma_f64 v[154:155], v[154:155], v[150:151], -v[158:159]
	v_fmac_f64_e32 v[152:153], v[156:157], v[150:151]
	v_add_f64 v[2:3], v[2:3], v[154:155]
	v_add_f64 v[4:5], v[4:5], v[152:153]
	s_andn2_b64 exec, exec, s[2:3]
	s_cbranch_execnz .LBB110_104
; %bb.105:
	s_or_b64 exec, exec, s[2:3]
.LBB110_106:
	s_or_b64 exec, exec, s[8:9]
	v_mov_b32_e32 v6, 0
	ds_read_b128 v[150:153], v6 offset:528
	s_waitcnt lgkmcnt(0)
	v_mul_f64 v[6:7], v[4:5], v[152:153]
	v_mul_f64 v[154:155], v[2:3], v[152:153]
	v_fma_f64 v[152:153], v[2:3], v[150:151], -v[6:7]
	v_fmac_f64_e32 v[154:155], v[4:5], v[150:151]
	scratch_store_dwordx4 off, v[152:155], off offset:528
.LBB110_107:
	s_or_b64 exec, exec, s[4:5]
	scratch_load_dwordx4 v[2:5], v118, off
	v_cmp_lt_u32_e64 s[2:3], 32, v0
	s_waitcnt vmcnt(0)
	ds_write_b128 v9, v[2:5]
	s_waitcnt lgkmcnt(0)
	; wave barrier
	s_waitcnt lgkmcnt(0)
	s_and_saveexec_b64 s[4:5], s[2:3]
	s_cbranch_execz .LBB110_115
; %bb.108:
	ds_read_b128 v[2:5], v9
	s_andn2_b64 vcc, exec, s[6:7]
	s_cbranch_vccnz .LBB110_110
; %bb.109:
	scratch_load_dwordx4 v[150:153], v8, off
	s_waitcnt vmcnt(0) lgkmcnt(0)
	v_mul_f64 v[6:7], v[4:5], v[152:153]
	v_mul_f64 v[152:153], v[2:3], v[152:153]
	v_fmac_f64_e32 v[152:153], v[4:5], v[150:151]
	v_fma_f64 v[2:3], v[2:3], v[150:151], -v[6:7]
	v_mov_b64_e32 v[4:5], v[152:153]
.LBB110_110:
	s_and_saveexec_b64 s[8:9], s[0:1]
	s_cbranch_execz .LBB110_114
; %bb.111:
	v_mov_b32_e32 v7, 0
	v_subrev_u32_e32 v6, 33, v0
	v_add_u32_e32 v7, 0x218, v7
	s_movk_i32 s10, 0x500
	s_mov_b64 s[0:1], 0
.LBB110_112:                            ; =>This Inner Loop Header: Depth=1
	v_add_u32_e32 v150, -8, v7
	scratch_load_dwordx4 v[150:153], v150, off
	v_mov_b32_e32 v154, s10
	ds_read_b128 v[154:157], v154
	v_add_u32_e32 v6, -1, v6
	s_add_i32 s10, s10, 16
	v_cmp_eq_u32_e32 vcc, 0, v6
	v_add_u32_e32 v7, 16, v7
	s_or_b64 s[0:1], vcc, s[0:1]
	s_waitcnt vmcnt(0) lgkmcnt(0)
	v_mul_f64 v[158:159], v[156:157], v[152:153]
	v_mul_f64 v[152:153], v[154:155], v[152:153]
	v_fma_f64 v[154:155], v[154:155], v[150:151], -v[158:159]
	v_fmac_f64_e32 v[152:153], v[156:157], v[150:151]
	v_add_f64 v[2:3], v[2:3], v[154:155]
	v_add_f64 v[4:5], v[4:5], v[152:153]
	s_andn2_b64 exec, exec, s[0:1]
	s_cbranch_execnz .LBB110_112
; %bb.113:
	s_or_b64 exec, exec, s[0:1]
.LBB110_114:
	s_or_b64 exec, exec, s[8:9]
	v_mov_b32_e32 v6, 0
	ds_read_b128 v[150:153], v6 offset:512
	s_waitcnt lgkmcnt(0)
	v_mul_f64 v[6:7], v[4:5], v[152:153]
	v_mul_f64 v[154:155], v[2:3], v[152:153]
	v_fma_f64 v[152:153], v[2:3], v[150:151], -v[6:7]
	v_fmac_f64_e32 v[154:155], v[4:5], v[150:151]
	scratch_store_dwordx4 off, v[152:155], off offset:512
.LBB110_115:
	;; [unrolled: 63-line block ×18, first 2 shown]
	s_or_b64 exec, exec, s[4:5]
	scratch_load_dwordx4 v[2:5], v135, off
	v_cmp_lt_u32_e64 s[0:1], 15, v0
	s_waitcnt vmcnt(0)
	ds_write_b128 v9, v[2:5]
	s_waitcnt lgkmcnt(0)
	; wave barrier
	s_waitcnt lgkmcnt(0)
	s_and_saveexec_b64 s[4:5], s[0:1]
	s_cbranch_execz .LBB110_251
; %bb.244:
	ds_read_b128 v[2:5], v9
	s_andn2_b64 vcc, exec, s[6:7]
	s_cbranch_vccnz .LBB110_246
; %bb.245:
	scratch_load_dwordx4 v[150:153], v8, off
	s_waitcnt vmcnt(0) lgkmcnt(0)
	v_mul_f64 v[6:7], v[4:5], v[152:153]
	v_mul_f64 v[152:153], v[2:3], v[152:153]
	v_fmac_f64_e32 v[152:153], v[4:5], v[150:151]
	v_fma_f64 v[2:3], v[2:3], v[150:151], -v[6:7]
	v_mov_b64_e32 v[4:5], v[152:153]
.LBB110_246:
	s_and_saveexec_b64 s[8:9], s[2:3]
	s_cbranch_execz .LBB110_250
; %bb.247:
	v_mov_b32_e32 v7, 0
	v_add_u32_e32 v6, -16, v0
	v_add_u32_e32 v7, 0x108, v7
	s_movk_i32 s10, 0x3f0
	s_mov_b64 s[2:3], 0
.LBB110_248:                            ; =>This Inner Loop Header: Depth=1
	v_add_u32_e32 v150, -8, v7
	scratch_load_dwordx4 v[150:153], v150, off
	v_mov_b32_e32 v154, s10
	ds_read_b128 v[154:157], v154
	v_add_u32_e32 v6, -1, v6
	s_add_i32 s10, s10, 16
	v_cmp_eq_u32_e32 vcc, 0, v6
	v_add_u32_e32 v7, 16, v7
	s_or_b64 s[2:3], vcc, s[2:3]
	s_waitcnt vmcnt(0) lgkmcnt(0)
	v_mul_f64 v[158:159], v[156:157], v[152:153]
	v_mul_f64 v[152:153], v[154:155], v[152:153]
	v_fma_f64 v[154:155], v[154:155], v[150:151], -v[158:159]
	v_fmac_f64_e32 v[152:153], v[156:157], v[150:151]
	v_add_f64 v[2:3], v[2:3], v[154:155]
	v_add_f64 v[4:5], v[4:5], v[152:153]
	s_andn2_b64 exec, exec, s[2:3]
	s_cbranch_execnz .LBB110_248
; %bb.249:
	s_or_b64 exec, exec, s[2:3]
.LBB110_250:
	s_or_b64 exec, exec, s[8:9]
	v_mov_b32_e32 v6, 0
	ds_read_b128 v[150:153], v6 offset:240
	s_waitcnt lgkmcnt(0)
	v_mul_f64 v[6:7], v[4:5], v[152:153]
	v_mul_f64 v[154:155], v[2:3], v[152:153]
	v_fma_f64 v[152:153], v[2:3], v[150:151], -v[6:7]
	v_fmac_f64_e32 v[154:155], v[4:5], v[150:151]
	scratch_store_dwordx4 off, v[152:155], off offset:240
.LBB110_251:
	s_or_b64 exec, exec, s[4:5]
	scratch_load_dwordx4 v[2:5], v136, off
	v_cmp_lt_u32_e64 s[2:3], 14, v0
	s_waitcnt vmcnt(0)
	ds_write_b128 v9, v[2:5]
	s_waitcnt lgkmcnt(0)
	; wave barrier
	s_waitcnt lgkmcnt(0)
	s_and_saveexec_b64 s[4:5], s[2:3]
	s_cbranch_execz .LBB110_259
; %bb.252:
	ds_read_b128 v[2:5], v9
	s_andn2_b64 vcc, exec, s[6:7]
	s_cbranch_vccnz .LBB110_254
; %bb.253:
	scratch_load_dwordx4 v[150:153], v8, off
	s_waitcnt vmcnt(0) lgkmcnt(0)
	v_mul_f64 v[6:7], v[4:5], v[152:153]
	v_mul_f64 v[152:153], v[2:3], v[152:153]
	v_fmac_f64_e32 v[152:153], v[4:5], v[150:151]
	v_fma_f64 v[2:3], v[2:3], v[150:151], -v[6:7]
	v_mov_b64_e32 v[4:5], v[152:153]
.LBB110_254:
	s_and_saveexec_b64 s[8:9], s[0:1]
	s_cbranch_execz .LBB110_258
; %bb.255:
	v_mov_b32_e32 v7, 0
	v_add_u32_e32 v6, -15, v0
	v_add_u32_e32 v7, 0xf8, v7
	s_movk_i32 s10, 0x3e0
	s_mov_b64 s[0:1], 0
.LBB110_256:                            ; =>This Inner Loop Header: Depth=1
	v_add_u32_e32 v150, -8, v7
	scratch_load_dwordx4 v[150:153], v150, off
	v_mov_b32_e32 v154, s10
	ds_read_b128 v[154:157], v154
	v_add_u32_e32 v6, -1, v6
	s_add_i32 s10, s10, 16
	v_cmp_eq_u32_e32 vcc, 0, v6
	v_add_u32_e32 v7, 16, v7
	s_or_b64 s[0:1], vcc, s[0:1]
	s_waitcnt vmcnt(0) lgkmcnt(0)
	v_mul_f64 v[158:159], v[156:157], v[152:153]
	v_mul_f64 v[152:153], v[154:155], v[152:153]
	v_fma_f64 v[154:155], v[154:155], v[150:151], -v[158:159]
	v_fmac_f64_e32 v[152:153], v[156:157], v[150:151]
	v_add_f64 v[2:3], v[2:3], v[154:155]
	v_add_f64 v[4:5], v[4:5], v[152:153]
	s_andn2_b64 exec, exec, s[0:1]
	s_cbranch_execnz .LBB110_256
; %bb.257:
	s_or_b64 exec, exec, s[0:1]
.LBB110_258:
	s_or_b64 exec, exec, s[8:9]
	v_mov_b32_e32 v6, 0
	ds_read_b128 v[150:153], v6 offset:224
	s_waitcnt lgkmcnt(0)
	v_mul_f64 v[6:7], v[4:5], v[152:153]
	v_mul_f64 v[154:155], v[2:3], v[152:153]
	v_fma_f64 v[152:153], v[2:3], v[150:151], -v[6:7]
	v_fmac_f64_e32 v[154:155], v[4:5], v[150:151]
	scratch_store_dwordx4 off, v[152:155], off offset:224
.LBB110_259:
	;; [unrolled: 63-line block ×15, first 2 shown]
	s_or_b64 exec, exec, s[4:5]
	scratch_load_dwordx4 v[2:5], off, off
	v_cmp_ne_u32_e32 vcc, 0, v0
	s_mov_b64 s[2:3], 0
	s_mov_b64 s[4:5], 0
                                        ; implicit-def: $vgpr6_vgpr7
                                        ; implicit-def: $vgpr150
	s_waitcnt vmcnt(0)
	ds_write_b128 v9, v[2:5]
	s_waitcnt lgkmcnt(0)
	; wave barrier
	s_waitcnt lgkmcnt(0)
	s_and_saveexec_b64 s[8:9], vcc
	s_cbranch_execz .LBB110_371
; %bb.364:
	ds_read_b128 v[2:5], v9
	s_andn2_b64 vcc, exec, s[6:7]
	s_cbranch_vccnz .LBB110_366
; %bb.365:
	scratch_load_dwordx4 v[150:153], v8, off
	s_waitcnt vmcnt(0) lgkmcnt(0)
	v_mul_f64 v[6:7], v[4:5], v[152:153]
	v_mul_f64 v[152:153], v[2:3], v[152:153]
	v_fmac_f64_e32 v[152:153], v[4:5], v[150:151]
	v_fma_f64 v[2:3], v[2:3], v[150:151], -v[6:7]
	v_mov_b64_e32 v[4:5], v[152:153]
.LBB110_366:
	s_and_saveexec_b64 s[4:5], s[0:1]
	s_cbranch_execz .LBB110_370
; %bb.367:
	v_mov_b32_e32 v7, 0
	v_add_u32_e32 v6, -1, v0
	v_add_u32_e32 v7, 24, v7
	s_movk_i32 s10, 0x300
	s_mov_b64 s[0:1], 0
.LBB110_368:                            ; =>This Inner Loop Header: Depth=1
	v_add_u32_e32 v150, -8, v7
	scratch_load_dwordx4 v[150:153], v150, off
	v_mov_b32_e32 v154, s10
	ds_read_b128 v[154:157], v154
	v_add_u32_e32 v6, -1, v6
	s_add_i32 s10, s10, 16
	v_cmp_eq_u32_e32 vcc, 0, v6
	v_add_u32_e32 v7, 16, v7
	s_or_b64 s[0:1], vcc, s[0:1]
	s_waitcnt vmcnt(0) lgkmcnt(0)
	v_mul_f64 v[158:159], v[156:157], v[152:153]
	v_mul_f64 v[152:153], v[154:155], v[152:153]
	v_fma_f64 v[154:155], v[154:155], v[150:151], -v[158:159]
	v_fmac_f64_e32 v[152:153], v[156:157], v[150:151]
	v_add_f64 v[2:3], v[2:3], v[154:155]
	v_add_f64 v[4:5], v[4:5], v[152:153]
	s_andn2_b64 exec, exec, s[0:1]
	s_cbranch_execnz .LBB110_368
; %bb.369:
	s_or_b64 exec, exec, s[0:1]
.LBB110_370:
	s_or_b64 exec, exec, s[4:5]
	v_mov_b32_e32 v6, 0
	ds_read_b128 v[152:155], v6
	v_mov_b32_e32 v6, 0
	v_or_b32_e32 v150, 8, v6
	s_mov_b64 s[4:5], exec
	s_waitcnt lgkmcnt(0)
	v_mul_f64 v[156:157], v[4:5], v[154:155]
	v_mul_f64 v[6:7], v[2:3], v[154:155]
	v_fma_f64 v[2:3], v[2:3], v[152:153], -v[156:157]
	v_fmac_f64_e32 v[6:7], v[4:5], v[152:153]
	scratch_store_dwordx2 off, v[2:3], off
.LBB110_371:
	s_or_b64 exec, exec, s[8:9]
	s_and_b64 vcc, exec, s[2:3]
	s_cbranch_vccnz .LBB110_373
	s_branch .LBB110_736
.LBB110_372:
	s_mov_b64 s[4:5], 0
                                        ; implicit-def: $vgpr6_vgpr7
                                        ; implicit-def: $vgpr150
	s_cbranch_execz .LBB110_736
.LBB110_373:
	scratch_load_dwordx4 v[2:5], v149, off
	v_cndmask_b32_e64 v6, 0, 1, s[6:7]
	v_cmp_eq_u32_e64 s[2:3], 0, v0
	v_cmp_ne_u32_e64 s[0:1], 1, v6
	s_waitcnt vmcnt(0)
	ds_write_b128 v9, v[2:5]
	s_waitcnt lgkmcnt(0)
	; wave barrier
	s_waitcnt lgkmcnt(0)
	s_and_saveexec_b64 s[6:7], s[2:3]
	s_cbranch_execz .LBB110_377
; %bb.374:
	ds_read_b128 v[2:5], v9
	s_and_b64 vcc, exec, s[0:1]
	s_cbranch_vccnz .LBB110_376
; %bb.375:
	scratch_load_dwordx4 v[150:153], v8, off
	s_waitcnt vmcnt(0) lgkmcnt(0)
	v_mul_f64 v[6:7], v[4:5], v[152:153]
	v_mul_f64 v[152:153], v[2:3], v[152:153]
	v_fmac_f64_e32 v[152:153], v[4:5], v[150:151]
	v_fma_f64 v[2:3], v[2:3], v[150:151], -v[6:7]
	v_mov_b64_e32 v[4:5], v[152:153]
.LBB110_376:
	v_mov_b32_e32 v6, 0
	ds_read_b128 v[150:153], v6 offset:16
	s_waitcnt lgkmcnt(0)
	v_mul_f64 v[6:7], v[4:5], v[152:153]
	v_mul_f64 v[154:155], v[2:3], v[152:153]
	v_fma_f64 v[152:153], v[2:3], v[150:151], -v[6:7]
	v_fmac_f64_e32 v[154:155], v[4:5], v[150:151]
	scratch_store_dwordx4 off, v[152:155], off offset:16
.LBB110_377:
	s_or_b64 exec, exec, s[6:7]
	scratch_load_dwordx4 v[2:5], v148, off
	v_cmp_gt_u32_e32 vcc, 2, v0
	s_waitcnt vmcnt(0)
	ds_write_b128 v9, v[2:5]
	s_waitcnt lgkmcnt(0)
	; wave barrier
	s_waitcnt lgkmcnt(0)
	s_and_saveexec_b64 s[6:7], vcc
	s_cbranch_execz .LBB110_383
; %bb.378:
	ds_read_b128 v[2:5], v9
	s_and_b64 vcc, exec, s[0:1]
	s_cbranch_vccnz .LBB110_380
; %bb.379:
	scratch_load_dwordx4 v[150:153], v8, off
	s_waitcnt vmcnt(0) lgkmcnt(0)
	v_mul_f64 v[6:7], v[4:5], v[152:153]
	v_mul_f64 v[152:153], v[2:3], v[152:153]
	v_fmac_f64_e32 v[152:153], v[4:5], v[150:151]
	v_fma_f64 v[2:3], v[2:3], v[150:151], -v[6:7]
	v_mov_b64_e32 v[4:5], v[152:153]
.LBB110_380:
	s_and_saveexec_b64 s[8:9], s[2:3]
	s_cbranch_execz .LBB110_382
; %bb.381:
	scratch_load_dwordx4 v[150:153], v8, off offset:16
	ds_read_b128 v[154:157], v9 offset:16
	s_waitcnt vmcnt(0) lgkmcnt(0)
	v_mul_f64 v[6:7], v[156:157], v[152:153]
	v_mul_f64 v[152:153], v[154:155], v[152:153]
	v_fma_f64 v[6:7], v[154:155], v[150:151], -v[6:7]
	v_fmac_f64_e32 v[152:153], v[156:157], v[150:151]
	v_add_f64 v[2:3], v[2:3], v[6:7]
	v_add_f64 v[4:5], v[4:5], v[152:153]
.LBB110_382:
	s_or_b64 exec, exec, s[8:9]
	v_mov_b32_e32 v6, 0
	ds_read_b128 v[150:153], v6 offset:32
	s_waitcnt lgkmcnt(0)
	v_mul_f64 v[6:7], v[4:5], v[152:153]
	v_mul_f64 v[154:155], v[2:3], v[152:153]
	v_fma_f64 v[152:153], v[2:3], v[150:151], -v[6:7]
	v_fmac_f64_e32 v[154:155], v[4:5], v[150:151]
	scratch_store_dwordx4 off, v[152:155], off offset:32
.LBB110_383:
	s_or_b64 exec, exec, s[6:7]
	scratch_load_dwordx4 v[2:5], v147, off
	v_cmp_gt_u32_e32 vcc, 3, v0
	s_waitcnt vmcnt(0)
	ds_write_b128 v9, v[2:5]
	s_waitcnt lgkmcnt(0)
	; wave barrier
	s_waitcnt lgkmcnt(0)
	s_and_saveexec_b64 s[6:7], vcc
	s_cbranch_execz .LBB110_391
; %bb.384:
	ds_read_b128 v[2:5], v9
	s_and_b64 vcc, exec, s[0:1]
	s_cbranch_vccnz .LBB110_386
; %bb.385:
	scratch_load_dwordx4 v[150:153], v8, off
	s_waitcnt vmcnt(0) lgkmcnt(0)
	v_mul_f64 v[6:7], v[4:5], v[152:153]
	v_mul_f64 v[152:153], v[2:3], v[152:153]
	v_fmac_f64_e32 v[152:153], v[4:5], v[150:151]
	v_fma_f64 v[2:3], v[2:3], v[150:151], -v[6:7]
	v_mov_b64_e32 v[4:5], v[152:153]
.LBB110_386:
	v_cmp_ne_u32_e32 vcc, 2, v0
	s_and_saveexec_b64 s[8:9], vcc
	s_cbranch_execz .LBB110_390
; %bb.387:
	scratch_load_dwordx4 v[150:153], v8, off offset:16
	ds_read_b128 v[154:157], v9 offset:16
	s_waitcnt vmcnt(0) lgkmcnt(0)
	v_mul_f64 v[6:7], v[156:157], v[152:153]
	v_mul_f64 v[152:153], v[154:155], v[152:153]
	v_fma_f64 v[6:7], v[154:155], v[150:151], -v[6:7]
	v_fmac_f64_e32 v[152:153], v[156:157], v[150:151]
	v_add_f64 v[2:3], v[2:3], v[6:7]
	v_add_f64 v[4:5], v[4:5], v[152:153]
	s_and_saveexec_b64 s[10:11], s[2:3]
	s_cbranch_execz .LBB110_389
; %bb.388:
	scratch_load_dwordx4 v[150:153], off, off offset:32
	v_mov_b32_e32 v6, 0
	ds_read_b128 v[154:157], v6 offset:784
	s_waitcnt vmcnt(0) lgkmcnt(0)
	v_mul_f64 v[6:7], v[154:155], v[152:153]
	v_mul_f64 v[152:153], v[156:157], v[152:153]
	v_fmac_f64_e32 v[6:7], v[156:157], v[150:151]
	v_fma_f64 v[150:151], v[154:155], v[150:151], -v[152:153]
	v_add_f64 v[4:5], v[4:5], v[6:7]
	v_add_f64 v[2:3], v[2:3], v[150:151]
.LBB110_389:
	s_or_b64 exec, exec, s[10:11]
.LBB110_390:
	s_or_b64 exec, exec, s[8:9]
	v_mov_b32_e32 v6, 0
	ds_read_b128 v[150:153], v6 offset:48
	s_waitcnt lgkmcnt(0)
	v_mul_f64 v[6:7], v[4:5], v[152:153]
	v_mul_f64 v[154:155], v[2:3], v[152:153]
	v_fma_f64 v[152:153], v[2:3], v[150:151], -v[6:7]
	v_fmac_f64_e32 v[154:155], v[4:5], v[150:151]
	scratch_store_dwordx4 off, v[152:155], off offset:48
.LBB110_391:
	s_or_b64 exec, exec, s[6:7]
	scratch_load_dwordx4 v[2:5], v146, off
	v_cmp_gt_u32_e32 vcc, 4, v0
	s_waitcnt vmcnt(0)
	ds_write_b128 v9, v[2:5]
	s_waitcnt lgkmcnt(0)
	; wave barrier
	s_waitcnt lgkmcnt(0)
	s_and_saveexec_b64 s[2:3], vcc
	s_cbranch_execz .LBB110_399
; %bb.392:
	ds_read_b128 v[2:5], v9
	s_and_b64 vcc, exec, s[0:1]
	s_cbranch_vccnz .LBB110_394
; %bb.393:
	scratch_load_dwordx4 v[150:153], v8, off
	s_waitcnt vmcnt(0) lgkmcnt(0)
	v_mul_f64 v[6:7], v[4:5], v[152:153]
	v_mul_f64 v[152:153], v[2:3], v[152:153]
	v_fmac_f64_e32 v[152:153], v[4:5], v[150:151]
	v_fma_f64 v[2:3], v[2:3], v[150:151], -v[6:7]
	v_mov_b64_e32 v[4:5], v[152:153]
.LBB110_394:
	v_cmp_ne_u32_e32 vcc, 3, v0
	s_and_saveexec_b64 s[6:7], vcc
	s_cbranch_execz .LBB110_398
; %bb.395:
	v_mov_b32_e32 v7, 0
	v_add_u32_e32 v6, 0x300, v62
	v_add3_u32 v7, v62, v7, 24
	s_mov_b64 s[8:9], 0
	v_mov_b32_e32 v150, v0
.LBB110_396:                            ; =>This Inner Loop Header: Depth=1
	v_add_u32_e32 v151, -8, v7
	scratch_load_dwordx4 v[152:155], v151, off
	ds_read_b128 v[156:159], v6
	v_add_u32_e32 v150, 1, v150
	v_cmp_lt_u32_e32 vcc, 2, v150
	v_add_u32_e32 v6, 16, v6
	v_add_u32_e32 v7, 16, v7
	s_or_b64 s[8:9], vcc, s[8:9]
	s_waitcnt vmcnt(0) lgkmcnt(0)
	v_mul_f64 v[160:161], v[158:159], v[154:155]
	v_mul_f64 v[154:155], v[156:157], v[154:155]
	v_fma_f64 v[156:157], v[156:157], v[152:153], -v[160:161]
	v_fmac_f64_e32 v[154:155], v[158:159], v[152:153]
	v_add_f64 v[2:3], v[2:3], v[156:157]
	v_add_f64 v[4:5], v[4:5], v[154:155]
	s_andn2_b64 exec, exec, s[8:9]
	s_cbranch_execnz .LBB110_396
; %bb.397:
	s_or_b64 exec, exec, s[8:9]
.LBB110_398:
	s_or_b64 exec, exec, s[6:7]
	v_mov_b32_e32 v6, 0
	ds_read_b128 v[150:153], v6 offset:64
	s_waitcnt lgkmcnt(0)
	v_mul_f64 v[6:7], v[4:5], v[152:153]
	v_mul_f64 v[154:155], v[2:3], v[152:153]
	v_fma_f64 v[152:153], v[2:3], v[150:151], -v[6:7]
	v_fmac_f64_e32 v[154:155], v[4:5], v[150:151]
	scratch_store_dwordx4 off, v[152:155], off offset:64
.LBB110_399:
	s_or_b64 exec, exec, s[2:3]
	scratch_load_dwordx4 v[2:5], v145, off
	v_cmp_gt_u32_e32 vcc, 5, v0
	s_waitcnt vmcnt(0)
	ds_write_b128 v9, v[2:5]
	s_waitcnt lgkmcnt(0)
	; wave barrier
	s_waitcnt lgkmcnt(0)
	s_and_saveexec_b64 s[2:3], vcc
	s_cbranch_execz .LBB110_407
; %bb.400:
	ds_read_b128 v[2:5], v9
	s_and_b64 vcc, exec, s[0:1]
	s_cbranch_vccnz .LBB110_402
; %bb.401:
	scratch_load_dwordx4 v[150:153], v8, off
	s_waitcnt vmcnt(0) lgkmcnt(0)
	v_mul_f64 v[6:7], v[4:5], v[152:153]
	v_mul_f64 v[152:153], v[2:3], v[152:153]
	v_fmac_f64_e32 v[152:153], v[4:5], v[150:151]
	v_fma_f64 v[2:3], v[2:3], v[150:151], -v[6:7]
	v_mov_b64_e32 v[4:5], v[152:153]
.LBB110_402:
	v_cmp_ne_u32_e32 vcc, 4, v0
	s_and_saveexec_b64 s[6:7], vcc
	s_cbranch_execz .LBB110_406
; %bb.403:
	v_mov_b32_e32 v7, 0
	v_add_u32_e32 v6, 0x300, v62
	v_add3_u32 v7, v62, v7, 24
	s_mov_b64 s[8:9], 0
	v_mov_b32_e32 v150, v0
.LBB110_404:                            ; =>This Inner Loop Header: Depth=1
	v_add_u32_e32 v151, -8, v7
	scratch_load_dwordx4 v[152:155], v151, off
	ds_read_b128 v[156:159], v6
	v_add_u32_e32 v150, 1, v150
	v_cmp_lt_u32_e32 vcc, 3, v150
	v_add_u32_e32 v6, 16, v6
	v_add_u32_e32 v7, 16, v7
	s_or_b64 s[8:9], vcc, s[8:9]
	s_waitcnt vmcnt(0) lgkmcnt(0)
	v_mul_f64 v[160:161], v[158:159], v[154:155]
	v_mul_f64 v[154:155], v[156:157], v[154:155]
	v_fma_f64 v[156:157], v[156:157], v[152:153], -v[160:161]
	v_fmac_f64_e32 v[154:155], v[158:159], v[152:153]
	v_add_f64 v[2:3], v[2:3], v[156:157]
	v_add_f64 v[4:5], v[4:5], v[154:155]
	s_andn2_b64 exec, exec, s[8:9]
	s_cbranch_execnz .LBB110_404
; %bb.405:
	s_or_b64 exec, exec, s[8:9]
.LBB110_406:
	s_or_b64 exec, exec, s[6:7]
	v_mov_b32_e32 v6, 0
	ds_read_b128 v[150:153], v6 offset:80
	s_waitcnt lgkmcnt(0)
	v_mul_f64 v[6:7], v[4:5], v[152:153]
	v_mul_f64 v[154:155], v[2:3], v[152:153]
	v_fma_f64 v[152:153], v[2:3], v[150:151], -v[6:7]
	v_fmac_f64_e32 v[154:155], v[4:5], v[150:151]
	scratch_store_dwordx4 off, v[152:155], off offset:80
.LBB110_407:
	s_or_b64 exec, exec, s[2:3]
	scratch_load_dwordx4 v[2:5], v144, off
	v_cmp_gt_u32_e32 vcc, 6, v0
	s_waitcnt vmcnt(0)
	ds_write_b128 v9, v[2:5]
	s_waitcnt lgkmcnt(0)
	; wave barrier
	s_waitcnt lgkmcnt(0)
	s_and_saveexec_b64 s[2:3], vcc
	s_cbranch_execz .LBB110_415
; %bb.408:
	ds_read_b128 v[2:5], v9
	s_and_b64 vcc, exec, s[0:1]
	s_cbranch_vccnz .LBB110_410
; %bb.409:
	scratch_load_dwordx4 v[150:153], v8, off
	s_waitcnt vmcnt(0) lgkmcnt(0)
	v_mul_f64 v[6:7], v[4:5], v[152:153]
	v_mul_f64 v[152:153], v[2:3], v[152:153]
	v_fmac_f64_e32 v[152:153], v[4:5], v[150:151]
	v_fma_f64 v[2:3], v[2:3], v[150:151], -v[6:7]
	v_mov_b64_e32 v[4:5], v[152:153]
.LBB110_410:
	v_cmp_ne_u32_e32 vcc, 5, v0
	s_and_saveexec_b64 s[6:7], vcc
	s_cbranch_execz .LBB110_414
; %bb.411:
	v_mov_b32_e32 v7, 0
	v_add_u32_e32 v6, 0x300, v62
	v_add3_u32 v7, v62, v7, 24
	s_mov_b64 s[8:9], 0
	v_mov_b32_e32 v150, v0
.LBB110_412:                            ; =>This Inner Loop Header: Depth=1
	v_add_u32_e32 v151, -8, v7
	scratch_load_dwordx4 v[152:155], v151, off
	ds_read_b128 v[156:159], v6
	v_add_u32_e32 v150, 1, v150
	v_cmp_lt_u32_e32 vcc, 4, v150
	v_add_u32_e32 v6, 16, v6
	v_add_u32_e32 v7, 16, v7
	s_or_b64 s[8:9], vcc, s[8:9]
	s_waitcnt vmcnt(0) lgkmcnt(0)
	v_mul_f64 v[160:161], v[158:159], v[154:155]
	v_mul_f64 v[154:155], v[156:157], v[154:155]
	v_fma_f64 v[156:157], v[156:157], v[152:153], -v[160:161]
	v_fmac_f64_e32 v[154:155], v[158:159], v[152:153]
	v_add_f64 v[2:3], v[2:3], v[156:157]
	v_add_f64 v[4:5], v[4:5], v[154:155]
	s_andn2_b64 exec, exec, s[8:9]
	s_cbranch_execnz .LBB110_412
; %bb.413:
	s_or_b64 exec, exec, s[8:9]
.LBB110_414:
	s_or_b64 exec, exec, s[6:7]
	v_mov_b32_e32 v6, 0
	ds_read_b128 v[150:153], v6 offset:96
	s_waitcnt lgkmcnt(0)
	v_mul_f64 v[6:7], v[4:5], v[152:153]
	v_mul_f64 v[154:155], v[2:3], v[152:153]
	v_fma_f64 v[152:153], v[2:3], v[150:151], -v[6:7]
	v_fmac_f64_e32 v[154:155], v[4:5], v[150:151]
	scratch_store_dwordx4 off, v[152:155], off offset:96
.LBB110_415:
	s_or_b64 exec, exec, s[2:3]
	scratch_load_dwordx4 v[2:5], v143, off
	v_cmp_gt_u32_e32 vcc, 7, v0
	s_waitcnt vmcnt(0)
	ds_write_b128 v9, v[2:5]
	s_waitcnt lgkmcnt(0)
	; wave barrier
	s_waitcnt lgkmcnt(0)
	s_and_saveexec_b64 s[2:3], vcc
	s_cbranch_execz .LBB110_423
; %bb.416:
	ds_read_b128 v[2:5], v9
	s_and_b64 vcc, exec, s[0:1]
	s_cbranch_vccnz .LBB110_418
; %bb.417:
	scratch_load_dwordx4 v[150:153], v8, off
	s_waitcnt vmcnt(0) lgkmcnt(0)
	v_mul_f64 v[6:7], v[4:5], v[152:153]
	v_mul_f64 v[152:153], v[2:3], v[152:153]
	v_fmac_f64_e32 v[152:153], v[4:5], v[150:151]
	v_fma_f64 v[2:3], v[2:3], v[150:151], -v[6:7]
	v_mov_b64_e32 v[4:5], v[152:153]
.LBB110_418:
	v_cmp_ne_u32_e32 vcc, 6, v0
	s_and_saveexec_b64 s[6:7], vcc
	s_cbranch_execz .LBB110_422
; %bb.419:
	v_mov_b32_e32 v7, 0
	v_add_u32_e32 v6, 0x300, v62
	v_add3_u32 v7, v62, v7, 24
	s_mov_b64 s[8:9], 0
	v_mov_b32_e32 v150, v0
.LBB110_420:                            ; =>This Inner Loop Header: Depth=1
	v_add_u32_e32 v151, -8, v7
	scratch_load_dwordx4 v[152:155], v151, off
	ds_read_b128 v[156:159], v6
	v_add_u32_e32 v150, 1, v150
	v_cmp_lt_u32_e32 vcc, 5, v150
	v_add_u32_e32 v6, 16, v6
	v_add_u32_e32 v7, 16, v7
	s_or_b64 s[8:9], vcc, s[8:9]
	s_waitcnt vmcnt(0) lgkmcnt(0)
	v_mul_f64 v[160:161], v[158:159], v[154:155]
	v_mul_f64 v[154:155], v[156:157], v[154:155]
	v_fma_f64 v[156:157], v[156:157], v[152:153], -v[160:161]
	v_fmac_f64_e32 v[154:155], v[158:159], v[152:153]
	v_add_f64 v[2:3], v[2:3], v[156:157]
	v_add_f64 v[4:5], v[4:5], v[154:155]
	s_andn2_b64 exec, exec, s[8:9]
	s_cbranch_execnz .LBB110_420
; %bb.421:
	s_or_b64 exec, exec, s[8:9]
.LBB110_422:
	s_or_b64 exec, exec, s[6:7]
	v_mov_b32_e32 v6, 0
	ds_read_b128 v[150:153], v6 offset:112
	s_waitcnt lgkmcnt(0)
	v_mul_f64 v[6:7], v[4:5], v[152:153]
	v_mul_f64 v[154:155], v[2:3], v[152:153]
	v_fma_f64 v[152:153], v[2:3], v[150:151], -v[6:7]
	v_fmac_f64_e32 v[154:155], v[4:5], v[150:151]
	scratch_store_dwordx4 off, v[152:155], off offset:112
.LBB110_423:
	s_or_b64 exec, exec, s[2:3]
	scratch_load_dwordx4 v[2:5], v142, off
	v_cmp_gt_u32_e32 vcc, 8, v0
	s_waitcnt vmcnt(0)
	ds_write_b128 v9, v[2:5]
	s_waitcnt lgkmcnt(0)
	; wave barrier
	s_waitcnt lgkmcnt(0)
	s_and_saveexec_b64 s[2:3], vcc
	s_cbranch_execz .LBB110_431
; %bb.424:
	ds_read_b128 v[2:5], v9
	s_and_b64 vcc, exec, s[0:1]
	s_cbranch_vccnz .LBB110_426
; %bb.425:
	scratch_load_dwordx4 v[150:153], v8, off
	s_waitcnt vmcnt(0) lgkmcnt(0)
	v_mul_f64 v[6:7], v[4:5], v[152:153]
	v_mul_f64 v[152:153], v[2:3], v[152:153]
	v_fmac_f64_e32 v[152:153], v[4:5], v[150:151]
	v_fma_f64 v[2:3], v[2:3], v[150:151], -v[6:7]
	v_mov_b64_e32 v[4:5], v[152:153]
.LBB110_426:
	v_cmp_ne_u32_e32 vcc, 7, v0
	s_and_saveexec_b64 s[6:7], vcc
	s_cbranch_execz .LBB110_430
; %bb.427:
	v_mov_b32_e32 v7, 0
	v_add_u32_e32 v6, 0x300, v62
	v_add3_u32 v7, v62, v7, 24
	s_mov_b64 s[8:9], 0
	v_mov_b32_e32 v150, v0
.LBB110_428:                            ; =>This Inner Loop Header: Depth=1
	v_add_u32_e32 v151, -8, v7
	scratch_load_dwordx4 v[152:155], v151, off
	ds_read_b128 v[156:159], v6
	v_add_u32_e32 v150, 1, v150
	v_cmp_lt_u32_e32 vcc, 6, v150
	v_add_u32_e32 v6, 16, v6
	v_add_u32_e32 v7, 16, v7
	s_or_b64 s[8:9], vcc, s[8:9]
	s_waitcnt vmcnt(0) lgkmcnt(0)
	v_mul_f64 v[160:161], v[158:159], v[154:155]
	v_mul_f64 v[154:155], v[156:157], v[154:155]
	v_fma_f64 v[156:157], v[156:157], v[152:153], -v[160:161]
	v_fmac_f64_e32 v[154:155], v[158:159], v[152:153]
	v_add_f64 v[2:3], v[2:3], v[156:157]
	v_add_f64 v[4:5], v[4:5], v[154:155]
	s_andn2_b64 exec, exec, s[8:9]
	s_cbranch_execnz .LBB110_428
; %bb.429:
	s_or_b64 exec, exec, s[8:9]
.LBB110_430:
	s_or_b64 exec, exec, s[6:7]
	v_mov_b32_e32 v6, 0
	ds_read_b128 v[150:153], v6 offset:128
	s_waitcnt lgkmcnt(0)
	v_mul_f64 v[6:7], v[4:5], v[152:153]
	v_mul_f64 v[154:155], v[2:3], v[152:153]
	v_fma_f64 v[152:153], v[2:3], v[150:151], -v[6:7]
	v_fmac_f64_e32 v[154:155], v[4:5], v[150:151]
	scratch_store_dwordx4 off, v[152:155], off offset:128
.LBB110_431:
	s_or_b64 exec, exec, s[2:3]
	scratch_load_dwordx4 v[2:5], v141, off
	v_cmp_gt_u32_e32 vcc, 9, v0
	s_waitcnt vmcnt(0)
	ds_write_b128 v9, v[2:5]
	s_waitcnt lgkmcnt(0)
	; wave barrier
	s_waitcnt lgkmcnt(0)
	s_and_saveexec_b64 s[2:3], vcc
	s_cbranch_execz .LBB110_439
; %bb.432:
	ds_read_b128 v[2:5], v9
	s_and_b64 vcc, exec, s[0:1]
	s_cbranch_vccnz .LBB110_434
; %bb.433:
	scratch_load_dwordx4 v[150:153], v8, off
	s_waitcnt vmcnt(0) lgkmcnt(0)
	v_mul_f64 v[6:7], v[4:5], v[152:153]
	v_mul_f64 v[152:153], v[2:3], v[152:153]
	v_fmac_f64_e32 v[152:153], v[4:5], v[150:151]
	v_fma_f64 v[2:3], v[2:3], v[150:151], -v[6:7]
	v_mov_b64_e32 v[4:5], v[152:153]
.LBB110_434:
	v_cmp_ne_u32_e32 vcc, 8, v0
	s_and_saveexec_b64 s[6:7], vcc
	s_cbranch_execz .LBB110_438
; %bb.435:
	v_mov_b32_e32 v7, 0
	v_add_u32_e32 v6, 0x300, v62
	v_add3_u32 v7, v62, v7, 24
	s_mov_b64 s[8:9], 0
	v_mov_b32_e32 v150, v0
.LBB110_436:                            ; =>This Inner Loop Header: Depth=1
	v_add_u32_e32 v151, -8, v7
	scratch_load_dwordx4 v[152:155], v151, off
	ds_read_b128 v[156:159], v6
	v_add_u32_e32 v150, 1, v150
	v_cmp_lt_u32_e32 vcc, 7, v150
	v_add_u32_e32 v6, 16, v6
	v_add_u32_e32 v7, 16, v7
	s_or_b64 s[8:9], vcc, s[8:9]
	s_waitcnt vmcnt(0) lgkmcnt(0)
	v_mul_f64 v[160:161], v[158:159], v[154:155]
	v_mul_f64 v[154:155], v[156:157], v[154:155]
	v_fma_f64 v[156:157], v[156:157], v[152:153], -v[160:161]
	v_fmac_f64_e32 v[154:155], v[158:159], v[152:153]
	v_add_f64 v[2:3], v[2:3], v[156:157]
	v_add_f64 v[4:5], v[4:5], v[154:155]
	s_andn2_b64 exec, exec, s[8:9]
	s_cbranch_execnz .LBB110_436
; %bb.437:
	s_or_b64 exec, exec, s[8:9]
.LBB110_438:
	s_or_b64 exec, exec, s[6:7]
	v_mov_b32_e32 v6, 0
	ds_read_b128 v[150:153], v6 offset:144
	s_waitcnt lgkmcnt(0)
	v_mul_f64 v[6:7], v[4:5], v[152:153]
	v_mul_f64 v[154:155], v[2:3], v[152:153]
	v_fma_f64 v[152:153], v[2:3], v[150:151], -v[6:7]
	v_fmac_f64_e32 v[154:155], v[4:5], v[150:151]
	scratch_store_dwordx4 off, v[152:155], off offset:144
.LBB110_439:
	s_or_b64 exec, exec, s[2:3]
	scratch_load_dwordx4 v[2:5], v140, off
	v_cmp_gt_u32_e32 vcc, 10, v0
	s_waitcnt vmcnt(0)
	ds_write_b128 v9, v[2:5]
	s_waitcnt lgkmcnt(0)
	; wave barrier
	s_waitcnt lgkmcnt(0)
	s_and_saveexec_b64 s[2:3], vcc
	s_cbranch_execz .LBB110_447
; %bb.440:
	ds_read_b128 v[2:5], v9
	s_and_b64 vcc, exec, s[0:1]
	s_cbranch_vccnz .LBB110_442
; %bb.441:
	scratch_load_dwordx4 v[150:153], v8, off
	s_waitcnt vmcnt(0) lgkmcnt(0)
	v_mul_f64 v[6:7], v[4:5], v[152:153]
	v_mul_f64 v[152:153], v[2:3], v[152:153]
	v_fmac_f64_e32 v[152:153], v[4:5], v[150:151]
	v_fma_f64 v[2:3], v[2:3], v[150:151], -v[6:7]
	v_mov_b64_e32 v[4:5], v[152:153]
.LBB110_442:
	v_cmp_ne_u32_e32 vcc, 9, v0
	s_and_saveexec_b64 s[6:7], vcc
	s_cbranch_execz .LBB110_446
; %bb.443:
	v_mov_b32_e32 v7, 0
	v_add_u32_e32 v6, 0x300, v62
	v_add3_u32 v7, v62, v7, 24
	s_mov_b64 s[8:9], 0
	v_mov_b32_e32 v150, v0
.LBB110_444:                            ; =>This Inner Loop Header: Depth=1
	v_add_u32_e32 v151, -8, v7
	scratch_load_dwordx4 v[152:155], v151, off
	ds_read_b128 v[156:159], v6
	v_add_u32_e32 v150, 1, v150
	v_cmp_lt_u32_e32 vcc, 8, v150
	v_add_u32_e32 v6, 16, v6
	v_add_u32_e32 v7, 16, v7
	s_or_b64 s[8:9], vcc, s[8:9]
	s_waitcnt vmcnt(0) lgkmcnt(0)
	v_mul_f64 v[160:161], v[158:159], v[154:155]
	v_mul_f64 v[154:155], v[156:157], v[154:155]
	v_fma_f64 v[156:157], v[156:157], v[152:153], -v[160:161]
	v_fmac_f64_e32 v[154:155], v[158:159], v[152:153]
	v_add_f64 v[2:3], v[2:3], v[156:157]
	v_add_f64 v[4:5], v[4:5], v[154:155]
	s_andn2_b64 exec, exec, s[8:9]
	s_cbranch_execnz .LBB110_444
; %bb.445:
	s_or_b64 exec, exec, s[8:9]
.LBB110_446:
	s_or_b64 exec, exec, s[6:7]
	v_mov_b32_e32 v6, 0
	ds_read_b128 v[150:153], v6 offset:160
	s_waitcnt lgkmcnt(0)
	v_mul_f64 v[6:7], v[4:5], v[152:153]
	v_mul_f64 v[154:155], v[2:3], v[152:153]
	v_fma_f64 v[152:153], v[2:3], v[150:151], -v[6:7]
	v_fmac_f64_e32 v[154:155], v[4:5], v[150:151]
	scratch_store_dwordx4 off, v[152:155], off offset:160
.LBB110_447:
	s_or_b64 exec, exec, s[2:3]
	scratch_load_dwordx4 v[2:5], v139, off
	v_cmp_gt_u32_e32 vcc, 11, v0
	s_waitcnt vmcnt(0)
	ds_write_b128 v9, v[2:5]
	s_waitcnt lgkmcnt(0)
	; wave barrier
	s_waitcnt lgkmcnt(0)
	s_and_saveexec_b64 s[2:3], vcc
	s_cbranch_execz .LBB110_455
; %bb.448:
	ds_read_b128 v[2:5], v9
	s_and_b64 vcc, exec, s[0:1]
	s_cbranch_vccnz .LBB110_450
; %bb.449:
	scratch_load_dwordx4 v[150:153], v8, off
	s_waitcnt vmcnt(0) lgkmcnt(0)
	v_mul_f64 v[6:7], v[4:5], v[152:153]
	v_mul_f64 v[152:153], v[2:3], v[152:153]
	v_fmac_f64_e32 v[152:153], v[4:5], v[150:151]
	v_fma_f64 v[2:3], v[2:3], v[150:151], -v[6:7]
	v_mov_b64_e32 v[4:5], v[152:153]
.LBB110_450:
	v_cmp_ne_u32_e32 vcc, 10, v0
	s_and_saveexec_b64 s[6:7], vcc
	s_cbranch_execz .LBB110_454
; %bb.451:
	v_mov_b32_e32 v7, 0
	v_add_u32_e32 v6, 0x300, v62
	v_add3_u32 v7, v62, v7, 24
	s_mov_b64 s[8:9], 0
	v_mov_b32_e32 v150, v0
.LBB110_452:                            ; =>This Inner Loop Header: Depth=1
	v_add_u32_e32 v151, -8, v7
	scratch_load_dwordx4 v[152:155], v151, off
	ds_read_b128 v[156:159], v6
	v_add_u32_e32 v150, 1, v150
	v_cmp_lt_u32_e32 vcc, 9, v150
	v_add_u32_e32 v6, 16, v6
	v_add_u32_e32 v7, 16, v7
	s_or_b64 s[8:9], vcc, s[8:9]
	s_waitcnt vmcnt(0) lgkmcnt(0)
	v_mul_f64 v[160:161], v[158:159], v[154:155]
	v_mul_f64 v[154:155], v[156:157], v[154:155]
	v_fma_f64 v[156:157], v[156:157], v[152:153], -v[160:161]
	v_fmac_f64_e32 v[154:155], v[158:159], v[152:153]
	v_add_f64 v[2:3], v[2:3], v[156:157]
	v_add_f64 v[4:5], v[4:5], v[154:155]
	s_andn2_b64 exec, exec, s[8:9]
	s_cbranch_execnz .LBB110_452
; %bb.453:
	s_or_b64 exec, exec, s[8:9]
.LBB110_454:
	s_or_b64 exec, exec, s[6:7]
	v_mov_b32_e32 v6, 0
	ds_read_b128 v[150:153], v6 offset:176
	s_waitcnt lgkmcnt(0)
	v_mul_f64 v[6:7], v[4:5], v[152:153]
	v_mul_f64 v[154:155], v[2:3], v[152:153]
	v_fma_f64 v[152:153], v[2:3], v[150:151], -v[6:7]
	v_fmac_f64_e32 v[154:155], v[4:5], v[150:151]
	scratch_store_dwordx4 off, v[152:155], off offset:176
.LBB110_455:
	s_or_b64 exec, exec, s[2:3]
	scratch_load_dwordx4 v[2:5], v138, off
	v_cmp_gt_u32_e32 vcc, 12, v0
	s_waitcnt vmcnt(0)
	ds_write_b128 v9, v[2:5]
	s_waitcnt lgkmcnt(0)
	; wave barrier
	s_waitcnt lgkmcnt(0)
	s_and_saveexec_b64 s[2:3], vcc
	s_cbranch_execz .LBB110_463
; %bb.456:
	ds_read_b128 v[2:5], v9
	s_and_b64 vcc, exec, s[0:1]
	s_cbranch_vccnz .LBB110_458
; %bb.457:
	scratch_load_dwordx4 v[150:153], v8, off
	s_waitcnt vmcnt(0) lgkmcnt(0)
	v_mul_f64 v[6:7], v[4:5], v[152:153]
	v_mul_f64 v[152:153], v[2:3], v[152:153]
	v_fmac_f64_e32 v[152:153], v[4:5], v[150:151]
	v_fma_f64 v[2:3], v[2:3], v[150:151], -v[6:7]
	v_mov_b64_e32 v[4:5], v[152:153]
.LBB110_458:
	v_cmp_ne_u32_e32 vcc, 11, v0
	s_and_saveexec_b64 s[6:7], vcc
	s_cbranch_execz .LBB110_462
; %bb.459:
	v_mov_b32_e32 v7, 0
	v_add_u32_e32 v6, 0x300, v62
	v_add3_u32 v7, v62, v7, 24
	s_mov_b64 s[8:9], 0
	v_mov_b32_e32 v150, v0
.LBB110_460:                            ; =>This Inner Loop Header: Depth=1
	v_add_u32_e32 v151, -8, v7
	scratch_load_dwordx4 v[152:155], v151, off
	ds_read_b128 v[156:159], v6
	v_add_u32_e32 v150, 1, v150
	v_cmp_lt_u32_e32 vcc, 10, v150
	v_add_u32_e32 v6, 16, v6
	v_add_u32_e32 v7, 16, v7
	s_or_b64 s[8:9], vcc, s[8:9]
	s_waitcnt vmcnt(0) lgkmcnt(0)
	v_mul_f64 v[160:161], v[158:159], v[154:155]
	v_mul_f64 v[154:155], v[156:157], v[154:155]
	v_fma_f64 v[156:157], v[156:157], v[152:153], -v[160:161]
	v_fmac_f64_e32 v[154:155], v[158:159], v[152:153]
	v_add_f64 v[2:3], v[2:3], v[156:157]
	v_add_f64 v[4:5], v[4:5], v[154:155]
	s_andn2_b64 exec, exec, s[8:9]
	s_cbranch_execnz .LBB110_460
; %bb.461:
	s_or_b64 exec, exec, s[8:9]
.LBB110_462:
	s_or_b64 exec, exec, s[6:7]
	v_mov_b32_e32 v6, 0
	ds_read_b128 v[150:153], v6 offset:192
	s_waitcnt lgkmcnt(0)
	v_mul_f64 v[6:7], v[4:5], v[152:153]
	v_mul_f64 v[154:155], v[2:3], v[152:153]
	v_fma_f64 v[152:153], v[2:3], v[150:151], -v[6:7]
	v_fmac_f64_e32 v[154:155], v[4:5], v[150:151]
	scratch_store_dwordx4 off, v[152:155], off offset:192
.LBB110_463:
	s_or_b64 exec, exec, s[2:3]
	scratch_load_dwordx4 v[2:5], v137, off
	v_cmp_gt_u32_e32 vcc, 13, v0
	s_waitcnt vmcnt(0)
	ds_write_b128 v9, v[2:5]
	s_waitcnt lgkmcnt(0)
	; wave barrier
	s_waitcnt lgkmcnt(0)
	s_and_saveexec_b64 s[2:3], vcc
	s_cbranch_execz .LBB110_471
; %bb.464:
	ds_read_b128 v[2:5], v9
	s_and_b64 vcc, exec, s[0:1]
	s_cbranch_vccnz .LBB110_466
; %bb.465:
	scratch_load_dwordx4 v[150:153], v8, off
	s_waitcnt vmcnt(0) lgkmcnt(0)
	v_mul_f64 v[6:7], v[4:5], v[152:153]
	v_mul_f64 v[152:153], v[2:3], v[152:153]
	v_fmac_f64_e32 v[152:153], v[4:5], v[150:151]
	v_fma_f64 v[2:3], v[2:3], v[150:151], -v[6:7]
	v_mov_b64_e32 v[4:5], v[152:153]
.LBB110_466:
	v_cmp_ne_u32_e32 vcc, 12, v0
	s_and_saveexec_b64 s[6:7], vcc
	s_cbranch_execz .LBB110_470
; %bb.467:
	v_mov_b32_e32 v7, 0
	v_add_u32_e32 v6, 0x300, v62
	v_add3_u32 v7, v62, v7, 24
	s_mov_b64 s[8:9], 0
	v_mov_b32_e32 v150, v0
.LBB110_468:                            ; =>This Inner Loop Header: Depth=1
	v_add_u32_e32 v151, -8, v7
	scratch_load_dwordx4 v[152:155], v151, off
	ds_read_b128 v[156:159], v6
	v_add_u32_e32 v150, 1, v150
	v_cmp_lt_u32_e32 vcc, 11, v150
	v_add_u32_e32 v6, 16, v6
	v_add_u32_e32 v7, 16, v7
	s_or_b64 s[8:9], vcc, s[8:9]
	s_waitcnt vmcnt(0) lgkmcnt(0)
	v_mul_f64 v[160:161], v[158:159], v[154:155]
	v_mul_f64 v[154:155], v[156:157], v[154:155]
	v_fma_f64 v[156:157], v[156:157], v[152:153], -v[160:161]
	v_fmac_f64_e32 v[154:155], v[158:159], v[152:153]
	v_add_f64 v[2:3], v[2:3], v[156:157]
	v_add_f64 v[4:5], v[4:5], v[154:155]
	s_andn2_b64 exec, exec, s[8:9]
	s_cbranch_execnz .LBB110_468
; %bb.469:
	s_or_b64 exec, exec, s[8:9]
.LBB110_470:
	s_or_b64 exec, exec, s[6:7]
	v_mov_b32_e32 v6, 0
	ds_read_b128 v[150:153], v6 offset:208
	s_waitcnt lgkmcnt(0)
	v_mul_f64 v[6:7], v[4:5], v[152:153]
	v_mul_f64 v[154:155], v[2:3], v[152:153]
	v_fma_f64 v[152:153], v[2:3], v[150:151], -v[6:7]
	v_fmac_f64_e32 v[154:155], v[4:5], v[150:151]
	scratch_store_dwordx4 off, v[152:155], off offset:208
.LBB110_471:
	s_or_b64 exec, exec, s[2:3]
	scratch_load_dwordx4 v[2:5], v136, off
	v_cmp_gt_u32_e32 vcc, 14, v0
	s_waitcnt vmcnt(0)
	ds_write_b128 v9, v[2:5]
	s_waitcnt lgkmcnt(0)
	; wave barrier
	s_waitcnt lgkmcnt(0)
	s_and_saveexec_b64 s[2:3], vcc
	s_cbranch_execz .LBB110_479
; %bb.472:
	ds_read_b128 v[2:5], v9
	s_and_b64 vcc, exec, s[0:1]
	s_cbranch_vccnz .LBB110_474
; %bb.473:
	scratch_load_dwordx4 v[150:153], v8, off
	s_waitcnt vmcnt(0) lgkmcnt(0)
	v_mul_f64 v[6:7], v[4:5], v[152:153]
	v_mul_f64 v[152:153], v[2:3], v[152:153]
	v_fmac_f64_e32 v[152:153], v[4:5], v[150:151]
	v_fma_f64 v[2:3], v[2:3], v[150:151], -v[6:7]
	v_mov_b64_e32 v[4:5], v[152:153]
.LBB110_474:
	v_cmp_ne_u32_e32 vcc, 13, v0
	s_and_saveexec_b64 s[6:7], vcc
	s_cbranch_execz .LBB110_478
; %bb.475:
	v_mov_b32_e32 v7, 0
	v_add_u32_e32 v6, 0x300, v62
	v_add3_u32 v7, v62, v7, 24
	s_mov_b64 s[8:9], 0
	v_mov_b32_e32 v150, v0
.LBB110_476:                            ; =>This Inner Loop Header: Depth=1
	v_add_u32_e32 v151, -8, v7
	scratch_load_dwordx4 v[152:155], v151, off
	ds_read_b128 v[156:159], v6
	v_add_u32_e32 v150, 1, v150
	v_cmp_lt_u32_e32 vcc, 12, v150
	v_add_u32_e32 v6, 16, v6
	v_add_u32_e32 v7, 16, v7
	s_or_b64 s[8:9], vcc, s[8:9]
	s_waitcnt vmcnt(0) lgkmcnt(0)
	v_mul_f64 v[160:161], v[158:159], v[154:155]
	v_mul_f64 v[154:155], v[156:157], v[154:155]
	v_fma_f64 v[156:157], v[156:157], v[152:153], -v[160:161]
	v_fmac_f64_e32 v[154:155], v[158:159], v[152:153]
	v_add_f64 v[2:3], v[2:3], v[156:157]
	v_add_f64 v[4:5], v[4:5], v[154:155]
	s_andn2_b64 exec, exec, s[8:9]
	s_cbranch_execnz .LBB110_476
; %bb.477:
	s_or_b64 exec, exec, s[8:9]
.LBB110_478:
	s_or_b64 exec, exec, s[6:7]
	v_mov_b32_e32 v6, 0
	ds_read_b128 v[150:153], v6 offset:224
	s_waitcnt lgkmcnt(0)
	v_mul_f64 v[6:7], v[4:5], v[152:153]
	v_mul_f64 v[154:155], v[2:3], v[152:153]
	v_fma_f64 v[152:153], v[2:3], v[150:151], -v[6:7]
	v_fmac_f64_e32 v[154:155], v[4:5], v[150:151]
	scratch_store_dwordx4 off, v[152:155], off offset:224
.LBB110_479:
	s_or_b64 exec, exec, s[2:3]
	scratch_load_dwordx4 v[2:5], v135, off
	v_cmp_gt_u32_e32 vcc, 15, v0
	s_waitcnt vmcnt(0)
	ds_write_b128 v9, v[2:5]
	s_waitcnt lgkmcnt(0)
	; wave barrier
	s_waitcnt lgkmcnt(0)
	s_and_saveexec_b64 s[2:3], vcc
	s_cbranch_execz .LBB110_487
; %bb.480:
	ds_read_b128 v[2:5], v9
	s_and_b64 vcc, exec, s[0:1]
	s_cbranch_vccnz .LBB110_482
; %bb.481:
	scratch_load_dwordx4 v[150:153], v8, off
	s_waitcnt vmcnt(0) lgkmcnt(0)
	v_mul_f64 v[6:7], v[4:5], v[152:153]
	v_mul_f64 v[152:153], v[2:3], v[152:153]
	v_fmac_f64_e32 v[152:153], v[4:5], v[150:151]
	v_fma_f64 v[2:3], v[2:3], v[150:151], -v[6:7]
	v_mov_b64_e32 v[4:5], v[152:153]
.LBB110_482:
	v_cmp_ne_u32_e32 vcc, 14, v0
	s_and_saveexec_b64 s[6:7], vcc
	s_cbranch_execz .LBB110_486
; %bb.483:
	v_mov_b32_e32 v7, 0
	v_add_u32_e32 v6, 0x300, v62
	v_add3_u32 v7, v62, v7, 24
	s_mov_b64 s[8:9], 0
	v_mov_b32_e32 v150, v0
.LBB110_484:                            ; =>This Inner Loop Header: Depth=1
	v_add_u32_e32 v151, -8, v7
	scratch_load_dwordx4 v[152:155], v151, off
	ds_read_b128 v[156:159], v6
	v_add_u32_e32 v150, 1, v150
	v_cmp_lt_u32_e32 vcc, 13, v150
	v_add_u32_e32 v6, 16, v6
	v_add_u32_e32 v7, 16, v7
	s_or_b64 s[8:9], vcc, s[8:9]
	s_waitcnt vmcnt(0) lgkmcnt(0)
	v_mul_f64 v[160:161], v[158:159], v[154:155]
	v_mul_f64 v[154:155], v[156:157], v[154:155]
	v_fma_f64 v[156:157], v[156:157], v[152:153], -v[160:161]
	v_fmac_f64_e32 v[154:155], v[158:159], v[152:153]
	v_add_f64 v[2:3], v[2:3], v[156:157]
	v_add_f64 v[4:5], v[4:5], v[154:155]
	s_andn2_b64 exec, exec, s[8:9]
	s_cbranch_execnz .LBB110_484
; %bb.485:
	s_or_b64 exec, exec, s[8:9]
.LBB110_486:
	s_or_b64 exec, exec, s[6:7]
	v_mov_b32_e32 v6, 0
	ds_read_b128 v[150:153], v6 offset:240
	s_waitcnt lgkmcnt(0)
	v_mul_f64 v[6:7], v[4:5], v[152:153]
	v_mul_f64 v[154:155], v[2:3], v[152:153]
	v_fma_f64 v[152:153], v[2:3], v[150:151], -v[6:7]
	v_fmac_f64_e32 v[154:155], v[4:5], v[150:151]
	scratch_store_dwordx4 off, v[152:155], off offset:240
.LBB110_487:
	s_or_b64 exec, exec, s[2:3]
	scratch_load_dwordx4 v[2:5], v134, off
	v_cmp_gt_u32_e32 vcc, 16, v0
	s_waitcnt vmcnt(0)
	ds_write_b128 v9, v[2:5]
	s_waitcnt lgkmcnt(0)
	; wave barrier
	s_waitcnt lgkmcnt(0)
	s_and_saveexec_b64 s[2:3], vcc
	s_cbranch_execz .LBB110_495
; %bb.488:
	ds_read_b128 v[2:5], v9
	s_and_b64 vcc, exec, s[0:1]
	s_cbranch_vccnz .LBB110_490
; %bb.489:
	scratch_load_dwordx4 v[150:153], v8, off
	s_waitcnt vmcnt(0) lgkmcnt(0)
	v_mul_f64 v[6:7], v[4:5], v[152:153]
	v_mul_f64 v[152:153], v[2:3], v[152:153]
	v_fmac_f64_e32 v[152:153], v[4:5], v[150:151]
	v_fma_f64 v[2:3], v[2:3], v[150:151], -v[6:7]
	v_mov_b64_e32 v[4:5], v[152:153]
.LBB110_490:
	v_cmp_ne_u32_e32 vcc, 15, v0
	s_and_saveexec_b64 s[6:7], vcc
	s_cbranch_execz .LBB110_494
; %bb.491:
	v_mov_b32_e32 v7, 0
	v_add_u32_e32 v6, 0x300, v62
	v_add3_u32 v7, v62, v7, 24
	s_mov_b64 s[8:9], 0
	v_mov_b32_e32 v150, v0
.LBB110_492:                            ; =>This Inner Loop Header: Depth=1
	v_add_u32_e32 v151, -8, v7
	scratch_load_dwordx4 v[152:155], v151, off
	ds_read_b128 v[156:159], v6
	v_add_u32_e32 v150, 1, v150
	v_cmp_lt_u32_e32 vcc, 14, v150
	v_add_u32_e32 v6, 16, v6
	v_add_u32_e32 v7, 16, v7
	s_or_b64 s[8:9], vcc, s[8:9]
	s_waitcnt vmcnt(0) lgkmcnt(0)
	v_mul_f64 v[160:161], v[158:159], v[154:155]
	v_mul_f64 v[154:155], v[156:157], v[154:155]
	v_fma_f64 v[156:157], v[156:157], v[152:153], -v[160:161]
	v_fmac_f64_e32 v[154:155], v[158:159], v[152:153]
	v_add_f64 v[2:3], v[2:3], v[156:157]
	v_add_f64 v[4:5], v[4:5], v[154:155]
	s_andn2_b64 exec, exec, s[8:9]
	s_cbranch_execnz .LBB110_492
; %bb.493:
	s_or_b64 exec, exec, s[8:9]
.LBB110_494:
	s_or_b64 exec, exec, s[6:7]
	v_mov_b32_e32 v6, 0
	ds_read_b128 v[150:153], v6 offset:256
	s_waitcnt lgkmcnt(0)
	v_mul_f64 v[6:7], v[4:5], v[152:153]
	v_mul_f64 v[154:155], v[2:3], v[152:153]
	v_fma_f64 v[152:153], v[2:3], v[150:151], -v[6:7]
	v_fmac_f64_e32 v[154:155], v[4:5], v[150:151]
	scratch_store_dwordx4 off, v[152:155], off offset:256
.LBB110_495:
	s_or_b64 exec, exec, s[2:3]
	scratch_load_dwordx4 v[2:5], v133, off
	v_cmp_gt_u32_e32 vcc, 17, v0
	s_waitcnt vmcnt(0)
	ds_write_b128 v9, v[2:5]
	s_waitcnt lgkmcnt(0)
	; wave barrier
	s_waitcnt lgkmcnt(0)
	s_and_saveexec_b64 s[2:3], vcc
	s_cbranch_execz .LBB110_503
; %bb.496:
	ds_read_b128 v[2:5], v9
	s_and_b64 vcc, exec, s[0:1]
	s_cbranch_vccnz .LBB110_498
; %bb.497:
	scratch_load_dwordx4 v[150:153], v8, off
	s_waitcnt vmcnt(0) lgkmcnt(0)
	v_mul_f64 v[6:7], v[4:5], v[152:153]
	v_mul_f64 v[152:153], v[2:3], v[152:153]
	v_fmac_f64_e32 v[152:153], v[4:5], v[150:151]
	v_fma_f64 v[2:3], v[2:3], v[150:151], -v[6:7]
	v_mov_b64_e32 v[4:5], v[152:153]
.LBB110_498:
	v_cmp_ne_u32_e32 vcc, 16, v0
	s_and_saveexec_b64 s[6:7], vcc
	s_cbranch_execz .LBB110_502
; %bb.499:
	v_mov_b32_e32 v7, 0
	v_add_u32_e32 v6, 0x300, v62
	v_add3_u32 v7, v62, v7, 24
	s_mov_b64 s[8:9], 0
	v_mov_b32_e32 v150, v0
.LBB110_500:                            ; =>This Inner Loop Header: Depth=1
	v_add_u32_e32 v151, -8, v7
	scratch_load_dwordx4 v[152:155], v151, off
	ds_read_b128 v[156:159], v6
	v_add_u32_e32 v150, 1, v150
	v_cmp_lt_u32_e32 vcc, 15, v150
	v_add_u32_e32 v6, 16, v6
	v_add_u32_e32 v7, 16, v7
	s_or_b64 s[8:9], vcc, s[8:9]
	s_waitcnt vmcnt(0) lgkmcnt(0)
	v_mul_f64 v[160:161], v[158:159], v[154:155]
	v_mul_f64 v[154:155], v[156:157], v[154:155]
	v_fma_f64 v[156:157], v[156:157], v[152:153], -v[160:161]
	v_fmac_f64_e32 v[154:155], v[158:159], v[152:153]
	v_add_f64 v[2:3], v[2:3], v[156:157]
	v_add_f64 v[4:5], v[4:5], v[154:155]
	s_andn2_b64 exec, exec, s[8:9]
	s_cbranch_execnz .LBB110_500
; %bb.501:
	s_or_b64 exec, exec, s[8:9]
.LBB110_502:
	s_or_b64 exec, exec, s[6:7]
	v_mov_b32_e32 v6, 0
	ds_read_b128 v[150:153], v6 offset:272
	s_waitcnt lgkmcnt(0)
	v_mul_f64 v[6:7], v[4:5], v[152:153]
	v_mul_f64 v[154:155], v[2:3], v[152:153]
	v_fma_f64 v[152:153], v[2:3], v[150:151], -v[6:7]
	v_fmac_f64_e32 v[154:155], v[4:5], v[150:151]
	scratch_store_dwordx4 off, v[152:155], off offset:272
.LBB110_503:
	s_or_b64 exec, exec, s[2:3]
	scratch_load_dwordx4 v[2:5], v132, off
	v_cmp_gt_u32_e32 vcc, 18, v0
	s_waitcnt vmcnt(0)
	ds_write_b128 v9, v[2:5]
	s_waitcnt lgkmcnt(0)
	; wave barrier
	s_waitcnt lgkmcnt(0)
	s_and_saveexec_b64 s[2:3], vcc
	s_cbranch_execz .LBB110_511
; %bb.504:
	ds_read_b128 v[2:5], v9
	s_and_b64 vcc, exec, s[0:1]
	s_cbranch_vccnz .LBB110_506
; %bb.505:
	scratch_load_dwordx4 v[150:153], v8, off
	s_waitcnt vmcnt(0) lgkmcnt(0)
	v_mul_f64 v[6:7], v[4:5], v[152:153]
	v_mul_f64 v[152:153], v[2:3], v[152:153]
	v_fmac_f64_e32 v[152:153], v[4:5], v[150:151]
	v_fma_f64 v[2:3], v[2:3], v[150:151], -v[6:7]
	v_mov_b64_e32 v[4:5], v[152:153]
.LBB110_506:
	v_cmp_ne_u32_e32 vcc, 17, v0
	s_and_saveexec_b64 s[6:7], vcc
	s_cbranch_execz .LBB110_510
; %bb.507:
	v_mov_b32_e32 v7, 0
	v_add_u32_e32 v6, 0x300, v62
	v_add3_u32 v7, v62, v7, 24
	s_mov_b64 s[8:9], 0
	v_mov_b32_e32 v150, v0
.LBB110_508:                            ; =>This Inner Loop Header: Depth=1
	v_add_u32_e32 v151, -8, v7
	scratch_load_dwordx4 v[152:155], v151, off
	ds_read_b128 v[156:159], v6
	v_add_u32_e32 v150, 1, v150
	v_cmp_lt_u32_e32 vcc, 16, v150
	v_add_u32_e32 v6, 16, v6
	v_add_u32_e32 v7, 16, v7
	s_or_b64 s[8:9], vcc, s[8:9]
	s_waitcnt vmcnt(0) lgkmcnt(0)
	v_mul_f64 v[160:161], v[158:159], v[154:155]
	v_mul_f64 v[154:155], v[156:157], v[154:155]
	v_fma_f64 v[156:157], v[156:157], v[152:153], -v[160:161]
	v_fmac_f64_e32 v[154:155], v[158:159], v[152:153]
	v_add_f64 v[2:3], v[2:3], v[156:157]
	v_add_f64 v[4:5], v[4:5], v[154:155]
	s_andn2_b64 exec, exec, s[8:9]
	s_cbranch_execnz .LBB110_508
; %bb.509:
	s_or_b64 exec, exec, s[8:9]
.LBB110_510:
	s_or_b64 exec, exec, s[6:7]
	v_mov_b32_e32 v6, 0
	ds_read_b128 v[150:153], v6 offset:288
	s_waitcnt lgkmcnt(0)
	v_mul_f64 v[6:7], v[4:5], v[152:153]
	v_mul_f64 v[154:155], v[2:3], v[152:153]
	v_fma_f64 v[152:153], v[2:3], v[150:151], -v[6:7]
	v_fmac_f64_e32 v[154:155], v[4:5], v[150:151]
	scratch_store_dwordx4 off, v[152:155], off offset:288
.LBB110_511:
	s_or_b64 exec, exec, s[2:3]
	scratch_load_dwordx4 v[2:5], v131, off
	v_cmp_gt_u32_e32 vcc, 19, v0
	s_waitcnt vmcnt(0)
	ds_write_b128 v9, v[2:5]
	s_waitcnt lgkmcnt(0)
	; wave barrier
	s_waitcnt lgkmcnt(0)
	s_and_saveexec_b64 s[2:3], vcc
	s_cbranch_execz .LBB110_519
; %bb.512:
	ds_read_b128 v[2:5], v9
	s_and_b64 vcc, exec, s[0:1]
	s_cbranch_vccnz .LBB110_514
; %bb.513:
	scratch_load_dwordx4 v[150:153], v8, off
	s_waitcnt vmcnt(0) lgkmcnt(0)
	v_mul_f64 v[6:7], v[4:5], v[152:153]
	v_mul_f64 v[152:153], v[2:3], v[152:153]
	v_fmac_f64_e32 v[152:153], v[4:5], v[150:151]
	v_fma_f64 v[2:3], v[2:3], v[150:151], -v[6:7]
	v_mov_b64_e32 v[4:5], v[152:153]
.LBB110_514:
	v_cmp_ne_u32_e32 vcc, 18, v0
	s_and_saveexec_b64 s[6:7], vcc
	s_cbranch_execz .LBB110_518
; %bb.515:
	v_mov_b32_e32 v7, 0
	v_add_u32_e32 v6, 0x300, v62
	v_add3_u32 v7, v62, v7, 24
	s_mov_b64 s[8:9], 0
	v_mov_b32_e32 v150, v0
.LBB110_516:                            ; =>This Inner Loop Header: Depth=1
	v_add_u32_e32 v151, -8, v7
	scratch_load_dwordx4 v[152:155], v151, off
	ds_read_b128 v[156:159], v6
	v_add_u32_e32 v150, 1, v150
	v_cmp_lt_u32_e32 vcc, 17, v150
	v_add_u32_e32 v6, 16, v6
	v_add_u32_e32 v7, 16, v7
	s_or_b64 s[8:9], vcc, s[8:9]
	s_waitcnt vmcnt(0) lgkmcnt(0)
	v_mul_f64 v[160:161], v[158:159], v[154:155]
	v_mul_f64 v[154:155], v[156:157], v[154:155]
	v_fma_f64 v[156:157], v[156:157], v[152:153], -v[160:161]
	v_fmac_f64_e32 v[154:155], v[158:159], v[152:153]
	v_add_f64 v[2:3], v[2:3], v[156:157]
	v_add_f64 v[4:5], v[4:5], v[154:155]
	s_andn2_b64 exec, exec, s[8:9]
	s_cbranch_execnz .LBB110_516
; %bb.517:
	s_or_b64 exec, exec, s[8:9]
.LBB110_518:
	s_or_b64 exec, exec, s[6:7]
	v_mov_b32_e32 v6, 0
	ds_read_b128 v[150:153], v6 offset:304
	s_waitcnt lgkmcnt(0)
	v_mul_f64 v[6:7], v[4:5], v[152:153]
	v_mul_f64 v[154:155], v[2:3], v[152:153]
	v_fma_f64 v[152:153], v[2:3], v[150:151], -v[6:7]
	v_fmac_f64_e32 v[154:155], v[4:5], v[150:151]
	scratch_store_dwordx4 off, v[152:155], off offset:304
.LBB110_519:
	s_or_b64 exec, exec, s[2:3]
	scratch_load_dwordx4 v[2:5], v130, off
	v_cmp_gt_u32_e32 vcc, 20, v0
	s_waitcnt vmcnt(0)
	ds_write_b128 v9, v[2:5]
	s_waitcnt lgkmcnt(0)
	; wave barrier
	s_waitcnt lgkmcnt(0)
	s_and_saveexec_b64 s[2:3], vcc
	s_cbranch_execz .LBB110_527
; %bb.520:
	ds_read_b128 v[2:5], v9
	s_and_b64 vcc, exec, s[0:1]
	s_cbranch_vccnz .LBB110_522
; %bb.521:
	scratch_load_dwordx4 v[150:153], v8, off
	s_waitcnt vmcnt(0) lgkmcnt(0)
	v_mul_f64 v[6:7], v[4:5], v[152:153]
	v_mul_f64 v[152:153], v[2:3], v[152:153]
	v_fmac_f64_e32 v[152:153], v[4:5], v[150:151]
	v_fma_f64 v[2:3], v[2:3], v[150:151], -v[6:7]
	v_mov_b64_e32 v[4:5], v[152:153]
.LBB110_522:
	v_cmp_ne_u32_e32 vcc, 19, v0
	s_and_saveexec_b64 s[6:7], vcc
	s_cbranch_execz .LBB110_526
; %bb.523:
	v_mov_b32_e32 v7, 0
	v_add_u32_e32 v6, 0x300, v62
	v_add3_u32 v7, v62, v7, 24
	s_mov_b64 s[8:9], 0
	v_mov_b32_e32 v150, v0
.LBB110_524:                            ; =>This Inner Loop Header: Depth=1
	v_add_u32_e32 v151, -8, v7
	scratch_load_dwordx4 v[152:155], v151, off
	ds_read_b128 v[156:159], v6
	v_add_u32_e32 v150, 1, v150
	v_cmp_lt_u32_e32 vcc, 18, v150
	v_add_u32_e32 v6, 16, v6
	v_add_u32_e32 v7, 16, v7
	s_or_b64 s[8:9], vcc, s[8:9]
	s_waitcnt vmcnt(0) lgkmcnt(0)
	v_mul_f64 v[160:161], v[158:159], v[154:155]
	v_mul_f64 v[154:155], v[156:157], v[154:155]
	v_fma_f64 v[156:157], v[156:157], v[152:153], -v[160:161]
	v_fmac_f64_e32 v[154:155], v[158:159], v[152:153]
	v_add_f64 v[2:3], v[2:3], v[156:157]
	v_add_f64 v[4:5], v[4:5], v[154:155]
	s_andn2_b64 exec, exec, s[8:9]
	s_cbranch_execnz .LBB110_524
; %bb.525:
	s_or_b64 exec, exec, s[8:9]
.LBB110_526:
	s_or_b64 exec, exec, s[6:7]
	v_mov_b32_e32 v6, 0
	ds_read_b128 v[150:153], v6 offset:320
	s_waitcnt lgkmcnt(0)
	v_mul_f64 v[6:7], v[4:5], v[152:153]
	v_mul_f64 v[154:155], v[2:3], v[152:153]
	v_fma_f64 v[152:153], v[2:3], v[150:151], -v[6:7]
	v_fmac_f64_e32 v[154:155], v[4:5], v[150:151]
	scratch_store_dwordx4 off, v[152:155], off offset:320
.LBB110_527:
	s_or_b64 exec, exec, s[2:3]
	scratch_load_dwordx4 v[2:5], v129, off
	v_cmp_gt_u32_e32 vcc, 21, v0
	s_waitcnt vmcnt(0)
	ds_write_b128 v9, v[2:5]
	s_waitcnt lgkmcnt(0)
	; wave barrier
	s_waitcnt lgkmcnt(0)
	s_and_saveexec_b64 s[2:3], vcc
	s_cbranch_execz .LBB110_535
; %bb.528:
	ds_read_b128 v[2:5], v9
	s_and_b64 vcc, exec, s[0:1]
	s_cbranch_vccnz .LBB110_530
; %bb.529:
	scratch_load_dwordx4 v[150:153], v8, off
	s_waitcnt vmcnt(0) lgkmcnt(0)
	v_mul_f64 v[6:7], v[4:5], v[152:153]
	v_mul_f64 v[152:153], v[2:3], v[152:153]
	v_fmac_f64_e32 v[152:153], v[4:5], v[150:151]
	v_fma_f64 v[2:3], v[2:3], v[150:151], -v[6:7]
	v_mov_b64_e32 v[4:5], v[152:153]
.LBB110_530:
	v_cmp_ne_u32_e32 vcc, 20, v0
	s_and_saveexec_b64 s[6:7], vcc
	s_cbranch_execz .LBB110_534
; %bb.531:
	v_mov_b32_e32 v7, 0
	v_add_u32_e32 v6, 0x300, v62
	v_add3_u32 v7, v62, v7, 24
	s_mov_b64 s[8:9], 0
	v_mov_b32_e32 v150, v0
.LBB110_532:                            ; =>This Inner Loop Header: Depth=1
	v_add_u32_e32 v151, -8, v7
	scratch_load_dwordx4 v[152:155], v151, off
	ds_read_b128 v[156:159], v6
	v_add_u32_e32 v150, 1, v150
	v_cmp_lt_u32_e32 vcc, 19, v150
	v_add_u32_e32 v6, 16, v6
	v_add_u32_e32 v7, 16, v7
	s_or_b64 s[8:9], vcc, s[8:9]
	s_waitcnt vmcnt(0) lgkmcnt(0)
	v_mul_f64 v[160:161], v[158:159], v[154:155]
	v_mul_f64 v[154:155], v[156:157], v[154:155]
	v_fma_f64 v[156:157], v[156:157], v[152:153], -v[160:161]
	v_fmac_f64_e32 v[154:155], v[158:159], v[152:153]
	v_add_f64 v[2:3], v[2:3], v[156:157]
	v_add_f64 v[4:5], v[4:5], v[154:155]
	s_andn2_b64 exec, exec, s[8:9]
	s_cbranch_execnz .LBB110_532
; %bb.533:
	s_or_b64 exec, exec, s[8:9]
.LBB110_534:
	s_or_b64 exec, exec, s[6:7]
	v_mov_b32_e32 v6, 0
	ds_read_b128 v[150:153], v6 offset:336
	s_waitcnt lgkmcnt(0)
	v_mul_f64 v[6:7], v[4:5], v[152:153]
	v_mul_f64 v[154:155], v[2:3], v[152:153]
	v_fma_f64 v[152:153], v[2:3], v[150:151], -v[6:7]
	v_fmac_f64_e32 v[154:155], v[4:5], v[150:151]
	scratch_store_dwordx4 off, v[152:155], off offset:336
.LBB110_535:
	s_or_b64 exec, exec, s[2:3]
	scratch_load_dwordx4 v[2:5], v128, off
	v_cmp_gt_u32_e32 vcc, 22, v0
	s_waitcnt vmcnt(0)
	ds_write_b128 v9, v[2:5]
	s_waitcnt lgkmcnt(0)
	; wave barrier
	s_waitcnt lgkmcnt(0)
	s_and_saveexec_b64 s[2:3], vcc
	s_cbranch_execz .LBB110_543
; %bb.536:
	ds_read_b128 v[2:5], v9
	s_and_b64 vcc, exec, s[0:1]
	s_cbranch_vccnz .LBB110_538
; %bb.537:
	scratch_load_dwordx4 v[150:153], v8, off
	s_waitcnt vmcnt(0) lgkmcnt(0)
	v_mul_f64 v[6:7], v[4:5], v[152:153]
	v_mul_f64 v[152:153], v[2:3], v[152:153]
	v_fmac_f64_e32 v[152:153], v[4:5], v[150:151]
	v_fma_f64 v[2:3], v[2:3], v[150:151], -v[6:7]
	v_mov_b64_e32 v[4:5], v[152:153]
.LBB110_538:
	v_cmp_ne_u32_e32 vcc, 21, v0
	s_and_saveexec_b64 s[6:7], vcc
	s_cbranch_execz .LBB110_542
; %bb.539:
	v_mov_b32_e32 v7, 0
	v_add_u32_e32 v6, 0x300, v62
	v_add3_u32 v7, v62, v7, 24
	s_mov_b64 s[8:9], 0
	v_mov_b32_e32 v150, v0
.LBB110_540:                            ; =>This Inner Loop Header: Depth=1
	v_add_u32_e32 v151, -8, v7
	scratch_load_dwordx4 v[152:155], v151, off
	ds_read_b128 v[156:159], v6
	v_add_u32_e32 v150, 1, v150
	v_cmp_lt_u32_e32 vcc, 20, v150
	v_add_u32_e32 v6, 16, v6
	v_add_u32_e32 v7, 16, v7
	s_or_b64 s[8:9], vcc, s[8:9]
	s_waitcnt vmcnt(0) lgkmcnt(0)
	v_mul_f64 v[160:161], v[158:159], v[154:155]
	v_mul_f64 v[154:155], v[156:157], v[154:155]
	v_fma_f64 v[156:157], v[156:157], v[152:153], -v[160:161]
	v_fmac_f64_e32 v[154:155], v[158:159], v[152:153]
	v_add_f64 v[2:3], v[2:3], v[156:157]
	v_add_f64 v[4:5], v[4:5], v[154:155]
	s_andn2_b64 exec, exec, s[8:9]
	s_cbranch_execnz .LBB110_540
; %bb.541:
	s_or_b64 exec, exec, s[8:9]
.LBB110_542:
	s_or_b64 exec, exec, s[6:7]
	v_mov_b32_e32 v6, 0
	ds_read_b128 v[150:153], v6 offset:352
	s_waitcnt lgkmcnt(0)
	v_mul_f64 v[6:7], v[4:5], v[152:153]
	v_mul_f64 v[154:155], v[2:3], v[152:153]
	v_fma_f64 v[152:153], v[2:3], v[150:151], -v[6:7]
	v_fmac_f64_e32 v[154:155], v[4:5], v[150:151]
	scratch_store_dwordx4 off, v[152:155], off offset:352
.LBB110_543:
	s_or_b64 exec, exec, s[2:3]
	scratch_load_dwordx4 v[2:5], v127, off
	v_cmp_gt_u32_e32 vcc, 23, v0
	s_waitcnt vmcnt(0)
	ds_write_b128 v9, v[2:5]
	s_waitcnt lgkmcnt(0)
	; wave barrier
	s_waitcnt lgkmcnt(0)
	s_and_saveexec_b64 s[2:3], vcc
	s_cbranch_execz .LBB110_551
; %bb.544:
	ds_read_b128 v[2:5], v9
	s_and_b64 vcc, exec, s[0:1]
	s_cbranch_vccnz .LBB110_546
; %bb.545:
	scratch_load_dwordx4 v[150:153], v8, off
	s_waitcnt vmcnt(0) lgkmcnt(0)
	v_mul_f64 v[6:7], v[4:5], v[152:153]
	v_mul_f64 v[152:153], v[2:3], v[152:153]
	v_fmac_f64_e32 v[152:153], v[4:5], v[150:151]
	v_fma_f64 v[2:3], v[2:3], v[150:151], -v[6:7]
	v_mov_b64_e32 v[4:5], v[152:153]
.LBB110_546:
	v_cmp_ne_u32_e32 vcc, 22, v0
	s_and_saveexec_b64 s[6:7], vcc
	s_cbranch_execz .LBB110_550
; %bb.547:
	v_mov_b32_e32 v7, 0
	v_add_u32_e32 v6, 0x300, v62
	v_add3_u32 v7, v62, v7, 24
	s_mov_b64 s[8:9], 0
	v_mov_b32_e32 v150, v0
.LBB110_548:                            ; =>This Inner Loop Header: Depth=1
	v_add_u32_e32 v151, -8, v7
	scratch_load_dwordx4 v[152:155], v151, off
	ds_read_b128 v[156:159], v6
	v_add_u32_e32 v150, 1, v150
	v_cmp_lt_u32_e32 vcc, 21, v150
	v_add_u32_e32 v6, 16, v6
	v_add_u32_e32 v7, 16, v7
	s_or_b64 s[8:9], vcc, s[8:9]
	s_waitcnt vmcnt(0) lgkmcnt(0)
	v_mul_f64 v[160:161], v[158:159], v[154:155]
	v_mul_f64 v[154:155], v[156:157], v[154:155]
	v_fma_f64 v[156:157], v[156:157], v[152:153], -v[160:161]
	v_fmac_f64_e32 v[154:155], v[158:159], v[152:153]
	v_add_f64 v[2:3], v[2:3], v[156:157]
	v_add_f64 v[4:5], v[4:5], v[154:155]
	s_andn2_b64 exec, exec, s[8:9]
	s_cbranch_execnz .LBB110_548
; %bb.549:
	s_or_b64 exec, exec, s[8:9]
.LBB110_550:
	s_or_b64 exec, exec, s[6:7]
	v_mov_b32_e32 v6, 0
	ds_read_b128 v[150:153], v6 offset:368
	s_waitcnt lgkmcnt(0)
	v_mul_f64 v[6:7], v[4:5], v[152:153]
	v_mul_f64 v[154:155], v[2:3], v[152:153]
	v_fma_f64 v[152:153], v[2:3], v[150:151], -v[6:7]
	v_fmac_f64_e32 v[154:155], v[4:5], v[150:151]
	scratch_store_dwordx4 off, v[152:155], off offset:368
.LBB110_551:
	s_or_b64 exec, exec, s[2:3]
	scratch_load_dwordx4 v[2:5], v126, off
	v_cmp_gt_u32_e32 vcc, 24, v0
	s_waitcnt vmcnt(0)
	ds_write_b128 v9, v[2:5]
	s_waitcnt lgkmcnt(0)
	; wave barrier
	s_waitcnt lgkmcnt(0)
	s_and_saveexec_b64 s[2:3], vcc
	s_cbranch_execz .LBB110_559
; %bb.552:
	ds_read_b128 v[2:5], v9
	s_and_b64 vcc, exec, s[0:1]
	s_cbranch_vccnz .LBB110_554
; %bb.553:
	scratch_load_dwordx4 v[150:153], v8, off
	s_waitcnt vmcnt(0) lgkmcnt(0)
	v_mul_f64 v[6:7], v[4:5], v[152:153]
	v_mul_f64 v[152:153], v[2:3], v[152:153]
	v_fmac_f64_e32 v[152:153], v[4:5], v[150:151]
	v_fma_f64 v[2:3], v[2:3], v[150:151], -v[6:7]
	v_mov_b64_e32 v[4:5], v[152:153]
.LBB110_554:
	v_cmp_ne_u32_e32 vcc, 23, v0
	s_and_saveexec_b64 s[6:7], vcc
	s_cbranch_execz .LBB110_558
; %bb.555:
	v_mov_b32_e32 v7, 0
	v_add_u32_e32 v6, 0x300, v62
	v_add3_u32 v7, v62, v7, 24
	s_mov_b64 s[8:9], 0
	v_mov_b32_e32 v150, v0
.LBB110_556:                            ; =>This Inner Loop Header: Depth=1
	v_add_u32_e32 v151, -8, v7
	scratch_load_dwordx4 v[152:155], v151, off
	ds_read_b128 v[156:159], v6
	v_add_u32_e32 v150, 1, v150
	v_cmp_lt_u32_e32 vcc, 22, v150
	v_add_u32_e32 v6, 16, v6
	v_add_u32_e32 v7, 16, v7
	s_or_b64 s[8:9], vcc, s[8:9]
	s_waitcnt vmcnt(0) lgkmcnt(0)
	v_mul_f64 v[160:161], v[158:159], v[154:155]
	v_mul_f64 v[154:155], v[156:157], v[154:155]
	v_fma_f64 v[156:157], v[156:157], v[152:153], -v[160:161]
	v_fmac_f64_e32 v[154:155], v[158:159], v[152:153]
	v_add_f64 v[2:3], v[2:3], v[156:157]
	v_add_f64 v[4:5], v[4:5], v[154:155]
	s_andn2_b64 exec, exec, s[8:9]
	s_cbranch_execnz .LBB110_556
; %bb.557:
	s_or_b64 exec, exec, s[8:9]
.LBB110_558:
	s_or_b64 exec, exec, s[6:7]
	v_mov_b32_e32 v6, 0
	ds_read_b128 v[150:153], v6 offset:384
	s_waitcnt lgkmcnt(0)
	v_mul_f64 v[6:7], v[4:5], v[152:153]
	v_mul_f64 v[154:155], v[2:3], v[152:153]
	v_fma_f64 v[152:153], v[2:3], v[150:151], -v[6:7]
	v_fmac_f64_e32 v[154:155], v[4:5], v[150:151]
	scratch_store_dwordx4 off, v[152:155], off offset:384
.LBB110_559:
	s_or_b64 exec, exec, s[2:3]
	scratch_load_dwordx4 v[2:5], v125, off
	v_cmp_gt_u32_e32 vcc, 25, v0
	s_waitcnt vmcnt(0)
	ds_write_b128 v9, v[2:5]
	s_waitcnt lgkmcnt(0)
	; wave barrier
	s_waitcnt lgkmcnt(0)
	s_and_saveexec_b64 s[2:3], vcc
	s_cbranch_execz .LBB110_567
; %bb.560:
	ds_read_b128 v[2:5], v9
	s_and_b64 vcc, exec, s[0:1]
	s_cbranch_vccnz .LBB110_562
; %bb.561:
	scratch_load_dwordx4 v[150:153], v8, off
	s_waitcnt vmcnt(0) lgkmcnt(0)
	v_mul_f64 v[6:7], v[4:5], v[152:153]
	v_mul_f64 v[152:153], v[2:3], v[152:153]
	v_fmac_f64_e32 v[152:153], v[4:5], v[150:151]
	v_fma_f64 v[2:3], v[2:3], v[150:151], -v[6:7]
	v_mov_b64_e32 v[4:5], v[152:153]
.LBB110_562:
	v_cmp_ne_u32_e32 vcc, 24, v0
	s_and_saveexec_b64 s[6:7], vcc
	s_cbranch_execz .LBB110_566
; %bb.563:
	v_mov_b32_e32 v7, 0
	v_add_u32_e32 v6, 0x300, v62
	v_add3_u32 v7, v62, v7, 24
	s_mov_b64 s[8:9], 0
	v_mov_b32_e32 v150, v0
.LBB110_564:                            ; =>This Inner Loop Header: Depth=1
	v_add_u32_e32 v151, -8, v7
	scratch_load_dwordx4 v[152:155], v151, off
	ds_read_b128 v[156:159], v6
	v_add_u32_e32 v150, 1, v150
	v_cmp_lt_u32_e32 vcc, 23, v150
	v_add_u32_e32 v6, 16, v6
	v_add_u32_e32 v7, 16, v7
	s_or_b64 s[8:9], vcc, s[8:9]
	s_waitcnt vmcnt(0) lgkmcnt(0)
	v_mul_f64 v[160:161], v[158:159], v[154:155]
	v_mul_f64 v[154:155], v[156:157], v[154:155]
	v_fma_f64 v[156:157], v[156:157], v[152:153], -v[160:161]
	v_fmac_f64_e32 v[154:155], v[158:159], v[152:153]
	v_add_f64 v[2:3], v[2:3], v[156:157]
	v_add_f64 v[4:5], v[4:5], v[154:155]
	s_andn2_b64 exec, exec, s[8:9]
	s_cbranch_execnz .LBB110_564
; %bb.565:
	s_or_b64 exec, exec, s[8:9]
.LBB110_566:
	s_or_b64 exec, exec, s[6:7]
	v_mov_b32_e32 v6, 0
	ds_read_b128 v[150:153], v6 offset:400
	s_waitcnt lgkmcnt(0)
	v_mul_f64 v[6:7], v[4:5], v[152:153]
	v_mul_f64 v[154:155], v[2:3], v[152:153]
	v_fma_f64 v[152:153], v[2:3], v[150:151], -v[6:7]
	v_fmac_f64_e32 v[154:155], v[4:5], v[150:151]
	scratch_store_dwordx4 off, v[152:155], off offset:400
.LBB110_567:
	s_or_b64 exec, exec, s[2:3]
	scratch_load_dwordx4 v[2:5], v124, off
	v_cmp_gt_u32_e32 vcc, 26, v0
	s_waitcnt vmcnt(0)
	ds_write_b128 v9, v[2:5]
	s_waitcnt lgkmcnt(0)
	; wave barrier
	s_waitcnt lgkmcnt(0)
	s_and_saveexec_b64 s[2:3], vcc
	s_cbranch_execz .LBB110_575
; %bb.568:
	ds_read_b128 v[2:5], v9
	s_and_b64 vcc, exec, s[0:1]
	s_cbranch_vccnz .LBB110_570
; %bb.569:
	scratch_load_dwordx4 v[150:153], v8, off
	s_waitcnt vmcnt(0) lgkmcnt(0)
	v_mul_f64 v[6:7], v[4:5], v[152:153]
	v_mul_f64 v[152:153], v[2:3], v[152:153]
	v_fmac_f64_e32 v[152:153], v[4:5], v[150:151]
	v_fma_f64 v[2:3], v[2:3], v[150:151], -v[6:7]
	v_mov_b64_e32 v[4:5], v[152:153]
.LBB110_570:
	v_cmp_ne_u32_e32 vcc, 25, v0
	s_and_saveexec_b64 s[6:7], vcc
	s_cbranch_execz .LBB110_574
; %bb.571:
	v_mov_b32_e32 v7, 0
	v_add_u32_e32 v6, 0x300, v62
	v_add3_u32 v7, v62, v7, 24
	s_mov_b64 s[8:9], 0
	v_mov_b32_e32 v150, v0
.LBB110_572:                            ; =>This Inner Loop Header: Depth=1
	v_add_u32_e32 v151, -8, v7
	scratch_load_dwordx4 v[152:155], v151, off
	ds_read_b128 v[156:159], v6
	v_add_u32_e32 v150, 1, v150
	v_cmp_lt_u32_e32 vcc, 24, v150
	v_add_u32_e32 v6, 16, v6
	v_add_u32_e32 v7, 16, v7
	s_or_b64 s[8:9], vcc, s[8:9]
	s_waitcnt vmcnt(0) lgkmcnt(0)
	v_mul_f64 v[160:161], v[158:159], v[154:155]
	v_mul_f64 v[154:155], v[156:157], v[154:155]
	v_fma_f64 v[156:157], v[156:157], v[152:153], -v[160:161]
	v_fmac_f64_e32 v[154:155], v[158:159], v[152:153]
	v_add_f64 v[2:3], v[2:3], v[156:157]
	v_add_f64 v[4:5], v[4:5], v[154:155]
	s_andn2_b64 exec, exec, s[8:9]
	s_cbranch_execnz .LBB110_572
; %bb.573:
	s_or_b64 exec, exec, s[8:9]
.LBB110_574:
	s_or_b64 exec, exec, s[6:7]
	v_mov_b32_e32 v6, 0
	ds_read_b128 v[150:153], v6 offset:416
	s_waitcnt lgkmcnt(0)
	v_mul_f64 v[6:7], v[4:5], v[152:153]
	v_mul_f64 v[154:155], v[2:3], v[152:153]
	v_fma_f64 v[152:153], v[2:3], v[150:151], -v[6:7]
	v_fmac_f64_e32 v[154:155], v[4:5], v[150:151]
	scratch_store_dwordx4 off, v[152:155], off offset:416
.LBB110_575:
	s_or_b64 exec, exec, s[2:3]
	scratch_load_dwordx4 v[2:5], v123, off
	v_cmp_gt_u32_e32 vcc, 27, v0
	s_waitcnt vmcnt(0)
	ds_write_b128 v9, v[2:5]
	s_waitcnt lgkmcnt(0)
	; wave barrier
	s_waitcnt lgkmcnt(0)
	s_and_saveexec_b64 s[2:3], vcc
	s_cbranch_execz .LBB110_583
; %bb.576:
	ds_read_b128 v[2:5], v9
	s_and_b64 vcc, exec, s[0:1]
	s_cbranch_vccnz .LBB110_578
; %bb.577:
	scratch_load_dwordx4 v[150:153], v8, off
	s_waitcnt vmcnt(0) lgkmcnt(0)
	v_mul_f64 v[6:7], v[4:5], v[152:153]
	v_mul_f64 v[152:153], v[2:3], v[152:153]
	v_fmac_f64_e32 v[152:153], v[4:5], v[150:151]
	v_fma_f64 v[2:3], v[2:3], v[150:151], -v[6:7]
	v_mov_b64_e32 v[4:5], v[152:153]
.LBB110_578:
	v_cmp_ne_u32_e32 vcc, 26, v0
	s_and_saveexec_b64 s[6:7], vcc
	s_cbranch_execz .LBB110_582
; %bb.579:
	v_mov_b32_e32 v7, 0
	v_add_u32_e32 v6, 0x300, v62
	v_add3_u32 v7, v62, v7, 24
	s_mov_b64 s[8:9], 0
	v_mov_b32_e32 v150, v0
.LBB110_580:                            ; =>This Inner Loop Header: Depth=1
	v_add_u32_e32 v151, -8, v7
	scratch_load_dwordx4 v[152:155], v151, off
	ds_read_b128 v[156:159], v6
	v_add_u32_e32 v150, 1, v150
	v_cmp_lt_u32_e32 vcc, 25, v150
	v_add_u32_e32 v6, 16, v6
	v_add_u32_e32 v7, 16, v7
	s_or_b64 s[8:9], vcc, s[8:9]
	s_waitcnt vmcnt(0) lgkmcnt(0)
	v_mul_f64 v[160:161], v[158:159], v[154:155]
	v_mul_f64 v[154:155], v[156:157], v[154:155]
	v_fma_f64 v[156:157], v[156:157], v[152:153], -v[160:161]
	v_fmac_f64_e32 v[154:155], v[158:159], v[152:153]
	v_add_f64 v[2:3], v[2:3], v[156:157]
	v_add_f64 v[4:5], v[4:5], v[154:155]
	s_andn2_b64 exec, exec, s[8:9]
	s_cbranch_execnz .LBB110_580
; %bb.581:
	s_or_b64 exec, exec, s[8:9]
.LBB110_582:
	s_or_b64 exec, exec, s[6:7]
	v_mov_b32_e32 v6, 0
	ds_read_b128 v[150:153], v6 offset:432
	s_waitcnt lgkmcnt(0)
	v_mul_f64 v[6:7], v[4:5], v[152:153]
	v_mul_f64 v[154:155], v[2:3], v[152:153]
	v_fma_f64 v[152:153], v[2:3], v[150:151], -v[6:7]
	v_fmac_f64_e32 v[154:155], v[4:5], v[150:151]
	scratch_store_dwordx4 off, v[152:155], off offset:432
.LBB110_583:
	s_or_b64 exec, exec, s[2:3]
	scratch_load_dwordx4 v[2:5], v122, off
	v_cmp_gt_u32_e32 vcc, 28, v0
	s_waitcnt vmcnt(0)
	ds_write_b128 v9, v[2:5]
	s_waitcnt lgkmcnt(0)
	; wave barrier
	s_waitcnt lgkmcnt(0)
	s_and_saveexec_b64 s[2:3], vcc
	s_cbranch_execz .LBB110_591
; %bb.584:
	ds_read_b128 v[2:5], v9
	s_and_b64 vcc, exec, s[0:1]
	s_cbranch_vccnz .LBB110_586
; %bb.585:
	scratch_load_dwordx4 v[150:153], v8, off
	s_waitcnt vmcnt(0) lgkmcnt(0)
	v_mul_f64 v[6:7], v[4:5], v[152:153]
	v_mul_f64 v[152:153], v[2:3], v[152:153]
	v_fmac_f64_e32 v[152:153], v[4:5], v[150:151]
	v_fma_f64 v[2:3], v[2:3], v[150:151], -v[6:7]
	v_mov_b64_e32 v[4:5], v[152:153]
.LBB110_586:
	v_cmp_ne_u32_e32 vcc, 27, v0
	s_and_saveexec_b64 s[6:7], vcc
	s_cbranch_execz .LBB110_590
; %bb.587:
	v_mov_b32_e32 v7, 0
	v_add_u32_e32 v6, 0x300, v62
	v_add3_u32 v7, v62, v7, 24
	s_mov_b64 s[8:9], 0
	v_mov_b32_e32 v150, v0
.LBB110_588:                            ; =>This Inner Loop Header: Depth=1
	v_add_u32_e32 v151, -8, v7
	scratch_load_dwordx4 v[152:155], v151, off
	ds_read_b128 v[156:159], v6
	v_add_u32_e32 v150, 1, v150
	v_cmp_lt_u32_e32 vcc, 26, v150
	v_add_u32_e32 v6, 16, v6
	v_add_u32_e32 v7, 16, v7
	s_or_b64 s[8:9], vcc, s[8:9]
	s_waitcnt vmcnt(0) lgkmcnt(0)
	v_mul_f64 v[160:161], v[158:159], v[154:155]
	v_mul_f64 v[154:155], v[156:157], v[154:155]
	v_fma_f64 v[156:157], v[156:157], v[152:153], -v[160:161]
	v_fmac_f64_e32 v[154:155], v[158:159], v[152:153]
	v_add_f64 v[2:3], v[2:3], v[156:157]
	v_add_f64 v[4:5], v[4:5], v[154:155]
	s_andn2_b64 exec, exec, s[8:9]
	s_cbranch_execnz .LBB110_588
; %bb.589:
	s_or_b64 exec, exec, s[8:9]
.LBB110_590:
	s_or_b64 exec, exec, s[6:7]
	v_mov_b32_e32 v6, 0
	ds_read_b128 v[150:153], v6 offset:448
	s_waitcnt lgkmcnt(0)
	v_mul_f64 v[6:7], v[4:5], v[152:153]
	v_mul_f64 v[154:155], v[2:3], v[152:153]
	v_fma_f64 v[152:153], v[2:3], v[150:151], -v[6:7]
	v_fmac_f64_e32 v[154:155], v[4:5], v[150:151]
	scratch_store_dwordx4 off, v[152:155], off offset:448
.LBB110_591:
	s_or_b64 exec, exec, s[2:3]
	scratch_load_dwordx4 v[2:5], v121, off
	v_cmp_gt_u32_e32 vcc, 29, v0
	s_waitcnt vmcnt(0)
	ds_write_b128 v9, v[2:5]
	s_waitcnt lgkmcnt(0)
	; wave barrier
	s_waitcnt lgkmcnt(0)
	s_and_saveexec_b64 s[2:3], vcc
	s_cbranch_execz .LBB110_599
; %bb.592:
	ds_read_b128 v[2:5], v9
	s_and_b64 vcc, exec, s[0:1]
	s_cbranch_vccnz .LBB110_594
; %bb.593:
	scratch_load_dwordx4 v[150:153], v8, off
	s_waitcnt vmcnt(0) lgkmcnt(0)
	v_mul_f64 v[6:7], v[4:5], v[152:153]
	v_mul_f64 v[152:153], v[2:3], v[152:153]
	v_fmac_f64_e32 v[152:153], v[4:5], v[150:151]
	v_fma_f64 v[2:3], v[2:3], v[150:151], -v[6:7]
	v_mov_b64_e32 v[4:5], v[152:153]
.LBB110_594:
	v_cmp_ne_u32_e32 vcc, 28, v0
	s_and_saveexec_b64 s[6:7], vcc
	s_cbranch_execz .LBB110_598
; %bb.595:
	v_mov_b32_e32 v7, 0
	v_add_u32_e32 v6, 0x300, v62
	v_add3_u32 v7, v62, v7, 24
	s_mov_b64 s[8:9], 0
	v_mov_b32_e32 v150, v0
.LBB110_596:                            ; =>This Inner Loop Header: Depth=1
	v_add_u32_e32 v151, -8, v7
	scratch_load_dwordx4 v[152:155], v151, off
	ds_read_b128 v[156:159], v6
	v_add_u32_e32 v150, 1, v150
	v_cmp_lt_u32_e32 vcc, 27, v150
	v_add_u32_e32 v6, 16, v6
	v_add_u32_e32 v7, 16, v7
	s_or_b64 s[8:9], vcc, s[8:9]
	s_waitcnt vmcnt(0) lgkmcnt(0)
	v_mul_f64 v[160:161], v[158:159], v[154:155]
	v_mul_f64 v[154:155], v[156:157], v[154:155]
	v_fma_f64 v[156:157], v[156:157], v[152:153], -v[160:161]
	v_fmac_f64_e32 v[154:155], v[158:159], v[152:153]
	v_add_f64 v[2:3], v[2:3], v[156:157]
	v_add_f64 v[4:5], v[4:5], v[154:155]
	s_andn2_b64 exec, exec, s[8:9]
	s_cbranch_execnz .LBB110_596
; %bb.597:
	s_or_b64 exec, exec, s[8:9]
.LBB110_598:
	s_or_b64 exec, exec, s[6:7]
	v_mov_b32_e32 v6, 0
	ds_read_b128 v[150:153], v6 offset:464
	s_waitcnt lgkmcnt(0)
	v_mul_f64 v[6:7], v[4:5], v[152:153]
	v_mul_f64 v[154:155], v[2:3], v[152:153]
	v_fma_f64 v[152:153], v[2:3], v[150:151], -v[6:7]
	v_fmac_f64_e32 v[154:155], v[4:5], v[150:151]
	scratch_store_dwordx4 off, v[152:155], off offset:464
.LBB110_599:
	s_or_b64 exec, exec, s[2:3]
	scratch_load_dwordx4 v[2:5], v120, off
	v_cmp_gt_u32_e32 vcc, 30, v0
	s_waitcnt vmcnt(0)
	ds_write_b128 v9, v[2:5]
	s_waitcnt lgkmcnt(0)
	; wave barrier
	s_waitcnt lgkmcnt(0)
	s_and_saveexec_b64 s[2:3], vcc
	s_cbranch_execz .LBB110_607
; %bb.600:
	ds_read_b128 v[2:5], v9
	s_and_b64 vcc, exec, s[0:1]
	s_cbranch_vccnz .LBB110_602
; %bb.601:
	scratch_load_dwordx4 v[150:153], v8, off
	s_waitcnt vmcnt(0) lgkmcnt(0)
	v_mul_f64 v[6:7], v[4:5], v[152:153]
	v_mul_f64 v[152:153], v[2:3], v[152:153]
	v_fmac_f64_e32 v[152:153], v[4:5], v[150:151]
	v_fma_f64 v[2:3], v[2:3], v[150:151], -v[6:7]
	v_mov_b64_e32 v[4:5], v[152:153]
.LBB110_602:
	v_cmp_ne_u32_e32 vcc, 29, v0
	s_and_saveexec_b64 s[6:7], vcc
	s_cbranch_execz .LBB110_606
; %bb.603:
	v_mov_b32_e32 v7, 0
	v_add_u32_e32 v6, 0x300, v62
	v_add3_u32 v7, v62, v7, 24
	s_mov_b64 s[8:9], 0
	v_mov_b32_e32 v150, v0
.LBB110_604:                            ; =>This Inner Loop Header: Depth=1
	v_add_u32_e32 v151, -8, v7
	scratch_load_dwordx4 v[152:155], v151, off
	ds_read_b128 v[156:159], v6
	v_add_u32_e32 v150, 1, v150
	v_cmp_lt_u32_e32 vcc, 28, v150
	v_add_u32_e32 v6, 16, v6
	v_add_u32_e32 v7, 16, v7
	s_or_b64 s[8:9], vcc, s[8:9]
	s_waitcnt vmcnt(0) lgkmcnt(0)
	v_mul_f64 v[160:161], v[158:159], v[154:155]
	v_mul_f64 v[154:155], v[156:157], v[154:155]
	v_fma_f64 v[156:157], v[156:157], v[152:153], -v[160:161]
	v_fmac_f64_e32 v[154:155], v[158:159], v[152:153]
	v_add_f64 v[2:3], v[2:3], v[156:157]
	v_add_f64 v[4:5], v[4:5], v[154:155]
	s_andn2_b64 exec, exec, s[8:9]
	s_cbranch_execnz .LBB110_604
; %bb.605:
	s_or_b64 exec, exec, s[8:9]
.LBB110_606:
	s_or_b64 exec, exec, s[6:7]
	v_mov_b32_e32 v6, 0
	ds_read_b128 v[150:153], v6 offset:480
	s_waitcnt lgkmcnt(0)
	v_mul_f64 v[6:7], v[4:5], v[152:153]
	v_mul_f64 v[154:155], v[2:3], v[152:153]
	v_fma_f64 v[152:153], v[2:3], v[150:151], -v[6:7]
	v_fmac_f64_e32 v[154:155], v[4:5], v[150:151]
	scratch_store_dwordx4 off, v[152:155], off offset:480
.LBB110_607:
	s_or_b64 exec, exec, s[2:3]
	scratch_load_dwordx4 v[2:5], v119, off
	v_cmp_gt_u32_e32 vcc, 31, v0
	s_waitcnt vmcnt(0)
	ds_write_b128 v9, v[2:5]
	s_waitcnt lgkmcnt(0)
	; wave barrier
	s_waitcnt lgkmcnt(0)
	s_and_saveexec_b64 s[2:3], vcc
	s_cbranch_execz .LBB110_615
; %bb.608:
	ds_read_b128 v[2:5], v9
	s_and_b64 vcc, exec, s[0:1]
	s_cbranch_vccnz .LBB110_610
; %bb.609:
	scratch_load_dwordx4 v[150:153], v8, off
	s_waitcnt vmcnt(0) lgkmcnt(0)
	v_mul_f64 v[6:7], v[4:5], v[152:153]
	v_mul_f64 v[152:153], v[2:3], v[152:153]
	v_fmac_f64_e32 v[152:153], v[4:5], v[150:151]
	v_fma_f64 v[2:3], v[2:3], v[150:151], -v[6:7]
	v_mov_b64_e32 v[4:5], v[152:153]
.LBB110_610:
	v_cmp_ne_u32_e32 vcc, 30, v0
	s_and_saveexec_b64 s[6:7], vcc
	s_cbranch_execz .LBB110_614
; %bb.611:
	v_mov_b32_e32 v7, 0
	v_add_u32_e32 v6, 0x300, v62
	v_add3_u32 v7, v62, v7, 24
	s_mov_b64 s[8:9], 0
	v_mov_b32_e32 v150, v0
.LBB110_612:                            ; =>This Inner Loop Header: Depth=1
	v_add_u32_e32 v151, -8, v7
	scratch_load_dwordx4 v[152:155], v151, off
	ds_read_b128 v[156:159], v6
	v_add_u32_e32 v150, 1, v150
	v_cmp_lt_u32_e32 vcc, 29, v150
	v_add_u32_e32 v6, 16, v6
	v_add_u32_e32 v7, 16, v7
	s_or_b64 s[8:9], vcc, s[8:9]
	s_waitcnt vmcnt(0) lgkmcnt(0)
	v_mul_f64 v[160:161], v[158:159], v[154:155]
	v_mul_f64 v[154:155], v[156:157], v[154:155]
	v_fma_f64 v[156:157], v[156:157], v[152:153], -v[160:161]
	v_fmac_f64_e32 v[154:155], v[158:159], v[152:153]
	v_add_f64 v[2:3], v[2:3], v[156:157]
	v_add_f64 v[4:5], v[4:5], v[154:155]
	s_andn2_b64 exec, exec, s[8:9]
	s_cbranch_execnz .LBB110_612
; %bb.613:
	s_or_b64 exec, exec, s[8:9]
.LBB110_614:
	s_or_b64 exec, exec, s[6:7]
	v_mov_b32_e32 v6, 0
	ds_read_b128 v[150:153], v6 offset:496
	s_waitcnt lgkmcnt(0)
	v_mul_f64 v[6:7], v[4:5], v[152:153]
	v_mul_f64 v[154:155], v[2:3], v[152:153]
	v_fma_f64 v[152:153], v[2:3], v[150:151], -v[6:7]
	v_fmac_f64_e32 v[154:155], v[4:5], v[150:151]
	scratch_store_dwordx4 off, v[152:155], off offset:496
.LBB110_615:
	s_or_b64 exec, exec, s[2:3]
	scratch_load_dwordx4 v[2:5], v118, off
	v_cmp_gt_u32_e32 vcc, 32, v0
	s_waitcnt vmcnt(0)
	ds_write_b128 v9, v[2:5]
	s_waitcnt lgkmcnt(0)
	; wave barrier
	s_waitcnt lgkmcnt(0)
	s_and_saveexec_b64 s[2:3], vcc
	s_cbranch_execz .LBB110_623
; %bb.616:
	ds_read_b128 v[2:5], v9
	s_and_b64 vcc, exec, s[0:1]
	s_cbranch_vccnz .LBB110_618
; %bb.617:
	scratch_load_dwordx4 v[150:153], v8, off
	s_waitcnt vmcnt(0) lgkmcnt(0)
	v_mul_f64 v[6:7], v[4:5], v[152:153]
	v_mul_f64 v[152:153], v[2:3], v[152:153]
	v_fmac_f64_e32 v[152:153], v[4:5], v[150:151]
	v_fma_f64 v[2:3], v[2:3], v[150:151], -v[6:7]
	v_mov_b64_e32 v[4:5], v[152:153]
.LBB110_618:
	v_cmp_ne_u32_e32 vcc, 31, v0
	s_and_saveexec_b64 s[6:7], vcc
	s_cbranch_execz .LBB110_622
; %bb.619:
	v_mov_b32_e32 v7, 0
	v_add_u32_e32 v6, 0x300, v62
	v_add3_u32 v7, v62, v7, 24
	s_mov_b64 s[8:9], 0
	v_mov_b32_e32 v150, v0
.LBB110_620:                            ; =>This Inner Loop Header: Depth=1
	v_add_u32_e32 v151, -8, v7
	scratch_load_dwordx4 v[152:155], v151, off
	ds_read_b128 v[156:159], v6
	v_add_u32_e32 v150, 1, v150
	v_cmp_lt_u32_e32 vcc, 30, v150
	v_add_u32_e32 v6, 16, v6
	v_add_u32_e32 v7, 16, v7
	s_or_b64 s[8:9], vcc, s[8:9]
	s_waitcnt vmcnt(0) lgkmcnt(0)
	v_mul_f64 v[160:161], v[158:159], v[154:155]
	v_mul_f64 v[154:155], v[156:157], v[154:155]
	v_fma_f64 v[156:157], v[156:157], v[152:153], -v[160:161]
	v_fmac_f64_e32 v[154:155], v[158:159], v[152:153]
	v_add_f64 v[2:3], v[2:3], v[156:157]
	v_add_f64 v[4:5], v[4:5], v[154:155]
	s_andn2_b64 exec, exec, s[8:9]
	s_cbranch_execnz .LBB110_620
; %bb.621:
	s_or_b64 exec, exec, s[8:9]
.LBB110_622:
	s_or_b64 exec, exec, s[6:7]
	v_mov_b32_e32 v6, 0
	ds_read_b128 v[150:153], v6 offset:512
	s_waitcnt lgkmcnt(0)
	v_mul_f64 v[6:7], v[4:5], v[152:153]
	v_mul_f64 v[154:155], v[2:3], v[152:153]
	v_fma_f64 v[152:153], v[2:3], v[150:151], -v[6:7]
	v_fmac_f64_e32 v[154:155], v[4:5], v[150:151]
	scratch_store_dwordx4 off, v[152:155], off offset:512
.LBB110_623:
	s_or_b64 exec, exec, s[2:3]
	scratch_load_dwordx4 v[2:5], v117, off
	v_cmp_gt_u32_e32 vcc, 33, v0
	s_waitcnt vmcnt(0)
	ds_write_b128 v9, v[2:5]
	s_waitcnt lgkmcnt(0)
	; wave barrier
	s_waitcnt lgkmcnt(0)
	s_and_saveexec_b64 s[2:3], vcc
	s_cbranch_execz .LBB110_631
; %bb.624:
	ds_read_b128 v[2:5], v9
	s_and_b64 vcc, exec, s[0:1]
	s_cbranch_vccnz .LBB110_626
; %bb.625:
	scratch_load_dwordx4 v[150:153], v8, off
	s_waitcnt vmcnt(0) lgkmcnt(0)
	v_mul_f64 v[6:7], v[4:5], v[152:153]
	v_mul_f64 v[152:153], v[2:3], v[152:153]
	v_fmac_f64_e32 v[152:153], v[4:5], v[150:151]
	v_fma_f64 v[2:3], v[2:3], v[150:151], -v[6:7]
	v_mov_b64_e32 v[4:5], v[152:153]
.LBB110_626:
	v_cmp_ne_u32_e32 vcc, 32, v0
	s_and_saveexec_b64 s[6:7], vcc
	s_cbranch_execz .LBB110_630
; %bb.627:
	v_mov_b32_e32 v7, 0
	v_add_u32_e32 v6, 0x300, v62
	v_add3_u32 v7, v62, v7, 24
	s_mov_b64 s[8:9], 0
	v_mov_b32_e32 v150, v0
.LBB110_628:                            ; =>This Inner Loop Header: Depth=1
	v_add_u32_e32 v151, -8, v7
	scratch_load_dwordx4 v[152:155], v151, off
	ds_read_b128 v[156:159], v6
	v_add_u32_e32 v150, 1, v150
	v_cmp_lt_u32_e32 vcc, 31, v150
	v_add_u32_e32 v6, 16, v6
	v_add_u32_e32 v7, 16, v7
	s_or_b64 s[8:9], vcc, s[8:9]
	s_waitcnt vmcnt(0) lgkmcnt(0)
	v_mul_f64 v[160:161], v[158:159], v[154:155]
	v_mul_f64 v[154:155], v[156:157], v[154:155]
	v_fma_f64 v[156:157], v[156:157], v[152:153], -v[160:161]
	v_fmac_f64_e32 v[154:155], v[158:159], v[152:153]
	v_add_f64 v[2:3], v[2:3], v[156:157]
	v_add_f64 v[4:5], v[4:5], v[154:155]
	s_andn2_b64 exec, exec, s[8:9]
	s_cbranch_execnz .LBB110_628
; %bb.629:
	s_or_b64 exec, exec, s[8:9]
.LBB110_630:
	s_or_b64 exec, exec, s[6:7]
	v_mov_b32_e32 v6, 0
	ds_read_b128 v[150:153], v6 offset:528
	s_waitcnt lgkmcnt(0)
	v_mul_f64 v[6:7], v[4:5], v[152:153]
	v_mul_f64 v[154:155], v[2:3], v[152:153]
	v_fma_f64 v[152:153], v[2:3], v[150:151], -v[6:7]
	v_fmac_f64_e32 v[154:155], v[4:5], v[150:151]
	scratch_store_dwordx4 off, v[152:155], off offset:528
.LBB110_631:
	s_or_b64 exec, exec, s[2:3]
	scratch_load_dwordx4 v[2:5], v116, off
	v_cmp_gt_u32_e32 vcc, 34, v0
	s_waitcnt vmcnt(0)
	ds_write_b128 v9, v[2:5]
	s_waitcnt lgkmcnt(0)
	; wave barrier
	s_waitcnt lgkmcnt(0)
	s_and_saveexec_b64 s[2:3], vcc
	s_cbranch_execz .LBB110_639
; %bb.632:
	ds_read_b128 v[2:5], v9
	s_and_b64 vcc, exec, s[0:1]
	s_cbranch_vccnz .LBB110_634
; %bb.633:
	scratch_load_dwordx4 v[150:153], v8, off
	s_waitcnt vmcnt(0) lgkmcnt(0)
	v_mul_f64 v[6:7], v[4:5], v[152:153]
	v_mul_f64 v[152:153], v[2:3], v[152:153]
	v_fmac_f64_e32 v[152:153], v[4:5], v[150:151]
	v_fma_f64 v[2:3], v[2:3], v[150:151], -v[6:7]
	v_mov_b64_e32 v[4:5], v[152:153]
.LBB110_634:
	v_cmp_ne_u32_e32 vcc, 33, v0
	s_and_saveexec_b64 s[6:7], vcc
	s_cbranch_execz .LBB110_638
; %bb.635:
	v_mov_b32_e32 v7, 0
	v_add_u32_e32 v6, 0x300, v62
	v_add3_u32 v7, v62, v7, 24
	s_mov_b64 s[8:9], 0
	v_mov_b32_e32 v150, v0
.LBB110_636:                            ; =>This Inner Loop Header: Depth=1
	v_add_u32_e32 v151, -8, v7
	scratch_load_dwordx4 v[152:155], v151, off
	ds_read_b128 v[156:159], v6
	v_add_u32_e32 v150, 1, v150
	v_cmp_lt_u32_e32 vcc, 32, v150
	v_add_u32_e32 v6, 16, v6
	v_add_u32_e32 v7, 16, v7
	s_or_b64 s[8:9], vcc, s[8:9]
	s_waitcnt vmcnt(0) lgkmcnt(0)
	v_mul_f64 v[160:161], v[158:159], v[154:155]
	v_mul_f64 v[154:155], v[156:157], v[154:155]
	v_fma_f64 v[156:157], v[156:157], v[152:153], -v[160:161]
	v_fmac_f64_e32 v[154:155], v[158:159], v[152:153]
	v_add_f64 v[2:3], v[2:3], v[156:157]
	v_add_f64 v[4:5], v[4:5], v[154:155]
	s_andn2_b64 exec, exec, s[8:9]
	s_cbranch_execnz .LBB110_636
; %bb.637:
	s_or_b64 exec, exec, s[8:9]
.LBB110_638:
	s_or_b64 exec, exec, s[6:7]
	v_mov_b32_e32 v6, 0
	ds_read_b128 v[150:153], v6 offset:544
	s_waitcnt lgkmcnt(0)
	v_mul_f64 v[6:7], v[4:5], v[152:153]
	v_mul_f64 v[154:155], v[2:3], v[152:153]
	v_fma_f64 v[152:153], v[2:3], v[150:151], -v[6:7]
	v_fmac_f64_e32 v[154:155], v[4:5], v[150:151]
	scratch_store_dwordx4 off, v[152:155], off offset:544
.LBB110_639:
	s_or_b64 exec, exec, s[2:3]
	scratch_load_dwordx4 v[2:5], v115, off
	v_cmp_gt_u32_e32 vcc, 35, v0
	s_waitcnt vmcnt(0)
	ds_write_b128 v9, v[2:5]
	s_waitcnt lgkmcnt(0)
	; wave barrier
	s_waitcnt lgkmcnt(0)
	s_and_saveexec_b64 s[2:3], vcc
	s_cbranch_execz .LBB110_647
; %bb.640:
	ds_read_b128 v[2:5], v9
	s_and_b64 vcc, exec, s[0:1]
	s_cbranch_vccnz .LBB110_642
; %bb.641:
	scratch_load_dwordx4 v[150:153], v8, off
	s_waitcnt vmcnt(0) lgkmcnt(0)
	v_mul_f64 v[6:7], v[4:5], v[152:153]
	v_mul_f64 v[152:153], v[2:3], v[152:153]
	v_fmac_f64_e32 v[152:153], v[4:5], v[150:151]
	v_fma_f64 v[2:3], v[2:3], v[150:151], -v[6:7]
	v_mov_b64_e32 v[4:5], v[152:153]
.LBB110_642:
	v_cmp_ne_u32_e32 vcc, 34, v0
	s_and_saveexec_b64 s[6:7], vcc
	s_cbranch_execz .LBB110_646
; %bb.643:
	v_mov_b32_e32 v7, 0
	v_add_u32_e32 v6, 0x300, v62
	v_add3_u32 v7, v62, v7, 24
	s_mov_b64 s[8:9], 0
	v_mov_b32_e32 v150, v0
.LBB110_644:                            ; =>This Inner Loop Header: Depth=1
	v_add_u32_e32 v151, -8, v7
	scratch_load_dwordx4 v[152:155], v151, off
	ds_read_b128 v[156:159], v6
	v_add_u32_e32 v150, 1, v150
	v_cmp_lt_u32_e32 vcc, 33, v150
	v_add_u32_e32 v6, 16, v6
	v_add_u32_e32 v7, 16, v7
	s_or_b64 s[8:9], vcc, s[8:9]
	s_waitcnt vmcnt(0) lgkmcnt(0)
	v_mul_f64 v[160:161], v[158:159], v[154:155]
	v_mul_f64 v[154:155], v[156:157], v[154:155]
	v_fma_f64 v[156:157], v[156:157], v[152:153], -v[160:161]
	v_fmac_f64_e32 v[154:155], v[158:159], v[152:153]
	v_add_f64 v[2:3], v[2:3], v[156:157]
	v_add_f64 v[4:5], v[4:5], v[154:155]
	s_andn2_b64 exec, exec, s[8:9]
	s_cbranch_execnz .LBB110_644
; %bb.645:
	s_or_b64 exec, exec, s[8:9]
.LBB110_646:
	s_or_b64 exec, exec, s[6:7]
	v_mov_b32_e32 v6, 0
	ds_read_b128 v[150:153], v6 offset:560
	s_waitcnt lgkmcnt(0)
	v_mul_f64 v[6:7], v[4:5], v[152:153]
	v_mul_f64 v[154:155], v[2:3], v[152:153]
	v_fma_f64 v[152:153], v[2:3], v[150:151], -v[6:7]
	v_fmac_f64_e32 v[154:155], v[4:5], v[150:151]
	scratch_store_dwordx4 off, v[152:155], off offset:560
.LBB110_647:
	s_or_b64 exec, exec, s[2:3]
	scratch_load_dwordx4 v[2:5], v114, off
	v_cmp_gt_u32_e32 vcc, 36, v0
	s_waitcnt vmcnt(0)
	ds_write_b128 v9, v[2:5]
	s_waitcnt lgkmcnt(0)
	; wave barrier
	s_waitcnt lgkmcnt(0)
	s_and_saveexec_b64 s[2:3], vcc
	s_cbranch_execz .LBB110_655
; %bb.648:
	ds_read_b128 v[2:5], v9
	s_and_b64 vcc, exec, s[0:1]
	s_cbranch_vccnz .LBB110_650
; %bb.649:
	scratch_load_dwordx4 v[150:153], v8, off
	s_waitcnt vmcnt(0) lgkmcnt(0)
	v_mul_f64 v[6:7], v[4:5], v[152:153]
	v_mul_f64 v[152:153], v[2:3], v[152:153]
	v_fmac_f64_e32 v[152:153], v[4:5], v[150:151]
	v_fma_f64 v[2:3], v[2:3], v[150:151], -v[6:7]
	v_mov_b64_e32 v[4:5], v[152:153]
.LBB110_650:
	v_cmp_ne_u32_e32 vcc, 35, v0
	s_and_saveexec_b64 s[6:7], vcc
	s_cbranch_execz .LBB110_654
; %bb.651:
	v_mov_b32_e32 v7, 0
	v_add_u32_e32 v6, 0x300, v62
	v_add3_u32 v7, v62, v7, 24
	s_mov_b64 s[8:9], 0
	v_mov_b32_e32 v150, v0
.LBB110_652:                            ; =>This Inner Loop Header: Depth=1
	v_add_u32_e32 v151, -8, v7
	scratch_load_dwordx4 v[152:155], v151, off
	ds_read_b128 v[156:159], v6
	v_add_u32_e32 v150, 1, v150
	v_cmp_lt_u32_e32 vcc, 34, v150
	v_add_u32_e32 v6, 16, v6
	v_add_u32_e32 v7, 16, v7
	s_or_b64 s[8:9], vcc, s[8:9]
	s_waitcnt vmcnt(0) lgkmcnt(0)
	v_mul_f64 v[160:161], v[158:159], v[154:155]
	v_mul_f64 v[154:155], v[156:157], v[154:155]
	v_fma_f64 v[156:157], v[156:157], v[152:153], -v[160:161]
	v_fmac_f64_e32 v[154:155], v[158:159], v[152:153]
	v_add_f64 v[2:3], v[2:3], v[156:157]
	v_add_f64 v[4:5], v[4:5], v[154:155]
	s_andn2_b64 exec, exec, s[8:9]
	s_cbranch_execnz .LBB110_652
; %bb.653:
	s_or_b64 exec, exec, s[8:9]
.LBB110_654:
	s_or_b64 exec, exec, s[6:7]
	v_mov_b32_e32 v6, 0
	ds_read_b128 v[150:153], v6 offset:576
	s_waitcnt lgkmcnt(0)
	v_mul_f64 v[6:7], v[4:5], v[152:153]
	v_mul_f64 v[154:155], v[2:3], v[152:153]
	v_fma_f64 v[152:153], v[2:3], v[150:151], -v[6:7]
	v_fmac_f64_e32 v[154:155], v[4:5], v[150:151]
	scratch_store_dwordx4 off, v[152:155], off offset:576
.LBB110_655:
	s_or_b64 exec, exec, s[2:3]
	scratch_load_dwordx4 v[2:5], v113, off
	v_cmp_gt_u32_e32 vcc, 37, v0
	s_waitcnt vmcnt(0)
	ds_write_b128 v9, v[2:5]
	s_waitcnt lgkmcnt(0)
	; wave barrier
	s_waitcnt lgkmcnt(0)
	s_and_saveexec_b64 s[2:3], vcc
	s_cbranch_execz .LBB110_663
; %bb.656:
	ds_read_b128 v[2:5], v9
	s_and_b64 vcc, exec, s[0:1]
	s_cbranch_vccnz .LBB110_658
; %bb.657:
	scratch_load_dwordx4 v[150:153], v8, off
	s_waitcnt vmcnt(0) lgkmcnt(0)
	v_mul_f64 v[6:7], v[4:5], v[152:153]
	v_mul_f64 v[152:153], v[2:3], v[152:153]
	v_fmac_f64_e32 v[152:153], v[4:5], v[150:151]
	v_fma_f64 v[2:3], v[2:3], v[150:151], -v[6:7]
	v_mov_b64_e32 v[4:5], v[152:153]
.LBB110_658:
	v_cmp_ne_u32_e32 vcc, 36, v0
	s_and_saveexec_b64 s[6:7], vcc
	s_cbranch_execz .LBB110_662
; %bb.659:
	v_mov_b32_e32 v7, 0
	v_add_u32_e32 v6, 0x300, v62
	v_add3_u32 v7, v62, v7, 24
	s_mov_b64 s[8:9], 0
	v_mov_b32_e32 v150, v0
.LBB110_660:                            ; =>This Inner Loop Header: Depth=1
	v_add_u32_e32 v151, -8, v7
	scratch_load_dwordx4 v[152:155], v151, off
	ds_read_b128 v[156:159], v6
	v_add_u32_e32 v150, 1, v150
	v_cmp_lt_u32_e32 vcc, 35, v150
	v_add_u32_e32 v6, 16, v6
	v_add_u32_e32 v7, 16, v7
	s_or_b64 s[8:9], vcc, s[8:9]
	s_waitcnt vmcnt(0) lgkmcnt(0)
	v_mul_f64 v[160:161], v[158:159], v[154:155]
	v_mul_f64 v[154:155], v[156:157], v[154:155]
	v_fma_f64 v[156:157], v[156:157], v[152:153], -v[160:161]
	v_fmac_f64_e32 v[154:155], v[158:159], v[152:153]
	v_add_f64 v[2:3], v[2:3], v[156:157]
	v_add_f64 v[4:5], v[4:5], v[154:155]
	s_andn2_b64 exec, exec, s[8:9]
	s_cbranch_execnz .LBB110_660
; %bb.661:
	s_or_b64 exec, exec, s[8:9]
.LBB110_662:
	s_or_b64 exec, exec, s[6:7]
	v_mov_b32_e32 v6, 0
	ds_read_b128 v[150:153], v6 offset:592
	s_waitcnt lgkmcnt(0)
	v_mul_f64 v[6:7], v[4:5], v[152:153]
	v_mul_f64 v[154:155], v[2:3], v[152:153]
	v_fma_f64 v[152:153], v[2:3], v[150:151], -v[6:7]
	v_fmac_f64_e32 v[154:155], v[4:5], v[150:151]
	scratch_store_dwordx4 off, v[152:155], off offset:592
.LBB110_663:
	s_or_b64 exec, exec, s[2:3]
	scratch_load_dwordx4 v[2:5], v112, off
	v_cmp_gt_u32_e32 vcc, 38, v0
	s_waitcnt vmcnt(0)
	ds_write_b128 v9, v[2:5]
	s_waitcnt lgkmcnt(0)
	; wave barrier
	s_waitcnt lgkmcnt(0)
	s_and_saveexec_b64 s[2:3], vcc
	s_cbranch_execz .LBB110_671
; %bb.664:
	ds_read_b128 v[2:5], v9
	s_and_b64 vcc, exec, s[0:1]
	s_cbranch_vccnz .LBB110_666
; %bb.665:
	scratch_load_dwordx4 v[150:153], v8, off
	s_waitcnt vmcnt(0) lgkmcnt(0)
	v_mul_f64 v[6:7], v[4:5], v[152:153]
	v_mul_f64 v[152:153], v[2:3], v[152:153]
	v_fmac_f64_e32 v[152:153], v[4:5], v[150:151]
	v_fma_f64 v[2:3], v[2:3], v[150:151], -v[6:7]
	v_mov_b64_e32 v[4:5], v[152:153]
.LBB110_666:
	v_cmp_ne_u32_e32 vcc, 37, v0
	s_and_saveexec_b64 s[6:7], vcc
	s_cbranch_execz .LBB110_670
; %bb.667:
	v_mov_b32_e32 v7, 0
	v_add_u32_e32 v6, 0x300, v62
	v_add3_u32 v7, v62, v7, 24
	s_mov_b64 s[8:9], 0
	v_mov_b32_e32 v150, v0
.LBB110_668:                            ; =>This Inner Loop Header: Depth=1
	v_add_u32_e32 v151, -8, v7
	scratch_load_dwordx4 v[152:155], v151, off
	ds_read_b128 v[156:159], v6
	v_add_u32_e32 v150, 1, v150
	v_cmp_lt_u32_e32 vcc, 36, v150
	v_add_u32_e32 v6, 16, v6
	v_add_u32_e32 v7, 16, v7
	s_or_b64 s[8:9], vcc, s[8:9]
	s_waitcnt vmcnt(0) lgkmcnt(0)
	v_mul_f64 v[160:161], v[158:159], v[154:155]
	v_mul_f64 v[154:155], v[156:157], v[154:155]
	v_fma_f64 v[156:157], v[156:157], v[152:153], -v[160:161]
	v_fmac_f64_e32 v[154:155], v[158:159], v[152:153]
	v_add_f64 v[2:3], v[2:3], v[156:157]
	v_add_f64 v[4:5], v[4:5], v[154:155]
	s_andn2_b64 exec, exec, s[8:9]
	s_cbranch_execnz .LBB110_668
; %bb.669:
	s_or_b64 exec, exec, s[8:9]
.LBB110_670:
	s_or_b64 exec, exec, s[6:7]
	v_mov_b32_e32 v6, 0
	ds_read_b128 v[150:153], v6 offset:608
	s_waitcnt lgkmcnt(0)
	v_mul_f64 v[6:7], v[4:5], v[152:153]
	v_mul_f64 v[154:155], v[2:3], v[152:153]
	v_fma_f64 v[152:153], v[2:3], v[150:151], -v[6:7]
	v_fmac_f64_e32 v[154:155], v[4:5], v[150:151]
	scratch_store_dwordx4 off, v[152:155], off offset:608
.LBB110_671:
	s_or_b64 exec, exec, s[2:3]
	scratch_load_dwordx4 v[2:5], v111, off
	v_cmp_gt_u32_e32 vcc, 39, v0
	s_waitcnt vmcnt(0)
	ds_write_b128 v9, v[2:5]
	s_waitcnt lgkmcnt(0)
	; wave barrier
	s_waitcnt lgkmcnt(0)
	s_and_saveexec_b64 s[2:3], vcc
	s_cbranch_execz .LBB110_679
; %bb.672:
	ds_read_b128 v[2:5], v9
	s_and_b64 vcc, exec, s[0:1]
	s_cbranch_vccnz .LBB110_674
; %bb.673:
	scratch_load_dwordx4 v[150:153], v8, off
	s_waitcnt vmcnt(0) lgkmcnt(0)
	v_mul_f64 v[6:7], v[4:5], v[152:153]
	v_mul_f64 v[152:153], v[2:3], v[152:153]
	v_fmac_f64_e32 v[152:153], v[4:5], v[150:151]
	v_fma_f64 v[2:3], v[2:3], v[150:151], -v[6:7]
	v_mov_b64_e32 v[4:5], v[152:153]
.LBB110_674:
	v_cmp_ne_u32_e32 vcc, 38, v0
	s_and_saveexec_b64 s[6:7], vcc
	s_cbranch_execz .LBB110_678
; %bb.675:
	v_mov_b32_e32 v7, 0
	v_add_u32_e32 v6, 0x300, v62
	v_add3_u32 v7, v62, v7, 24
	s_mov_b64 s[8:9], 0
	v_mov_b32_e32 v150, v0
.LBB110_676:                            ; =>This Inner Loop Header: Depth=1
	v_add_u32_e32 v151, -8, v7
	scratch_load_dwordx4 v[152:155], v151, off
	ds_read_b128 v[156:159], v6
	v_add_u32_e32 v150, 1, v150
	v_cmp_lt_u32_e32 vcc, 37, v150
	v_add_u32_e32 v6, 16, v6
	v_add_u32_e32 v7, 16, v7
	s_or_b64 s[8:9], vcc, s[8:9]
	s_waitcnt vmcnt(0) lgkmcnt(0)
	v_mul_f64 v[160:161], v[158:159], v[154:155]
	v_mul_f64 v[154:155], v[156:157], v[154:155]
	v_fma_f64 v[156:157], v[156:157], v[152:153], -v[160:161]
	v_fmac_f64_e32 v[154:155], v[158:159], v[152:153]
	v_add_f64 v[2:3], v[2:3], v[156:157]
	v_add_f64 v[4:5], v[4:5], v[154:155]
	s_andn2_b64 exec, exec, s[8:9]
	s_cbranch_execnz .LBB110_676
; %bb.677:
	s_or_b64 exec, exec, s[8:9]
.LBB110_678:
	s_or_b64 exec, exec, s[6:7]
	v_mov_b32_e32 v6, 0
	ds_read_b128 v[150:153], v6 offset:624
	s_waitcnt lgkmcnt(0)
	v_mul_f64 v[6:7], v[4:5], v[152:153]
	v_mul_f64 v[154:155], v[2:3], v[152:153]
	v_fma_f64 v[152:153], v[2:3], v[150:151], -v[6:7]
	v_fmac_f64_e32 v[154:155], v[4:5], v[150:151]
	scratch_store_dwordx4 off, v[152:155], off offset:624
.LBB110_679:
	s_or_b64 exec, exec, s[2:3]
	scratch_load_dwordx4 v[2:5], v110, off
	v_cmp_gt_u32_e32 vcc, 40, v0
	s_waitcnt vmcnt(0)
	ds_write_b128 v9, v[2:5]
	s_waitcnt lgkmcnt(0)
	; wave barrier
	s_waitcnt lgkmcnt(0)
	s_and_saveexec_b64 s[2:3], vcc
	s_cbranch_execz .LBB110_687
; %bb.680:
	ds_read_b128 v[2:5], v9
	s_and_b64 vcc, exec, s[0:1]
	s_cbranch_vccnz .LBB110_682
; %bb.681:
	scratch_load_dwordx4 v[150:153], v8, off
	s_waitcnt vmcnt(0) lgkmcnt(0)
	v_mul_f64 v[6:7], v[4:5], v[152:153]
	v_mul_f64 v[152:153], v[2:3], v[152:153]
	v_fmac_f64_e32 v[152:153], v[4:5], v[150:151]
	v_fma_f64 v[2:3], v[2:3], v[150:151], -v[6:7]
	v_mov_b64_e32 v[4:5], v[152:153]
.LBB110_682:
	v_cmp_ne_u32_e32 vcc, 39, v0
	s_and_saveexec_b64 s[6:7], vcc
	s_cbranch_execz .LBB110_686
; %bb.683:
	v_mov_b32_e32 v7, 0
	v_add_u32_e32 v6, 0x300, v62
	v_add3_u32 v7, v62, v7, 24
	s_mov_b64 s[8:9], 0
	v_mov_b32_e32 v150, v0
.LBB110_684:                            ; =>This Inner Loop Header: Depth=1
	v_add_u32_e32 v151, -8, v7
	scratch_load_dwordx4 v[152:155], v151, off
	ds_read_b128 v[156:159], v6
	v_add_u32_e32 v150, 1, v150
	v_cmp_lt_u32_e32 vcc, 38, v150
	v_add_u32_e32 v6, 16, v6
	v_add_u32_e32 v7, 16, v7
	s_or_b64 s[8:9], vcc, s[8:9]
	s_waitcnt vmcnt(0) lgkmcnt(0)
	v_mul_f64 v[160:161], v[158:159], v[154:155]
	v_mul_f64 v[154:155], v[156:157], v[154:155]
	v_fma_f64 v[156:157], v[156:157], v[152:153], -v[160:161]
	v_fmac_f64_e32 v[154:155], v[158:159], v[152:153]
	v_add_f64 v[2:3], v[2:3], v[156:157]
	v_add_f64 v[4:5], v[4:5], v[154:155]
	s_andn2_b64 exec, exec, s[8:9]
	s_cbranch_execnz .LBB110_684
; %bb.685:
	s_or_b64 exec, exec, s[8:9]
.LBB110_686:
	s_or_b64 exec, exec, s[6:7]
	v_mov_b32_e32 v6, 0
	ds_read_b128 v[150:153], v6 offset:640
	s_waitcnt lgkmcnt(0)
	v_mul_f64 v[6:7], v[4:5], v[152:153]
	v_mul_f64 v[154:155], v[2:3], v[152:153]
	v_fma_f64 v[152:153], v[2:3], v[150:151], -v[6:7]
	v_fmac_f64_e32 v[154:155], v[4:5], v[150:151]
	scratch_store_dwordx4 off, v[152:155], off offset:640
.LBB110_687:
	s_or_b64 exec, exec, s[2:3]
	scratch_load_dwordx4 v[2:5], v109, off
	v_cmp_gt_u32_e32 vcc, 41, v0
	s_waitcnt vmcnt(0)
	ds_write_b128 v9, v[2:5]
	s_waitcnt lgkmcnt(0)
	; wave barrier
	s_waitcnt lgkmcnt(0)
	s_and_saveexec_b64 s[2:3], vcc
	s_cbranch_execz .LBB110_695
; %bb.688:
	ds_read_b128 v[2:5], v9
	s_and_b64 vcc, exec, s[0:1]
	s_cbranch_vccnz .LBB110_690
; %bb.689:
	scratch_load_dwordx4 v[150:153], v8, off
	s_waitcnt vmcnt(0) lgkmcnt(0)
	v_mul_f64 v[6:7], v[4:5], v[152:153]
	v_mul_f64 v[152:153], v[2:3], v[152:153]
	v_fmac_f64_e32 v[152:153], v[4:5], v[150:151]
	v_fma_f64 v[2:3], v[2:3], v[150:151], -v[6:7]
	v_mov_b64_e32 v[4:5], v[152:153]
.LBB110_690:
	v_cmp_ne_u32_e32 vcc, 40, v0
	s_and_saveexec_b64 s[6:7], vcc
	s_cbranch_execz .LBB110_694
; %bb.691:
	v_mov_b32_e32 v7, 0
	v_add_u32_e32 v6, 0x300, v62
	v_add3_u32 v7, v62, v7, 24
	s_mov_b64 s[8:9], 0
	v_mov_b32_e32 v150, v0
.LBB110_692:                            ; =>This Inner Loop Header: Depth=1
	v_add_u32_e32 v151, -8, v7
	scratch_load_dwordx4 v[152:155], v151, off
	ds_read_b128 v[156:159], v6
	v_add_u32_e32 v150, 1, v150
	v_cmp_lt_u32_e32 vcc, 39, v150
	v_add_u32_e32 v6, 16, v6
	v_add_u32_e32 v7, 16, v7
	s_or_b64 s[8:9], vcc, s[8:9]
	s_waitcnt vmcnt(0) lgkmcnt(0)
	v_mul_f64 v[160:161], v[158:159], v[154:155]
	v_mul_f64 v[154:155], v[156:157], v[154:155]
	v_fma_f64 v[156:157], v[156:157], v[152:153], -v[160:161]
	v_fmac_f64_e32 v[154:155], v[158:159], v[152:153]
	v_add_f64 v[2:3], v[2:3], v[156:157]
	v_add_f64 v[4:5], v[4:5], v[154:155]
	s_andn2_b64 exec, exec, s[8:9]
	s_cbranch_execnz .LBB110_692
; %bb.693:
	s_or_b64 exec, exec, s[8:9]
.LBB110_694:
	s_or_b64 exec, exec, s[6:7]
	v_mov_b32_e32 v6, 0
	ds_read_b128 v[150:153], v6 offset:656
	s_waitcnt lgkmcnt(0)
	v_mul_f64 v[6:7], v[4:5], v[152:153]
	v_mul_f64 v[154:155], v[2:3], v[152:153]
	v_fma_f64 v[152:153], v[2:3], v[150:151], -v[6:7]
	v_fmac_f64_e32 v[154:155], v[4:5], v[150:151]
	scratch_store_dwordx4 off, v[152:155], off offset:656
.LBB110_695:
	s_or_b64 exec, exec, s[2:3]
	scratch_load_dwordx4 v[2:5], v108, off
	v_cmp_gt_u32_e32 vcc, 42, v0
	s_waitcnt vmcnt(0)
	ds_write_b128 v9, v[2:5]
	s_waitcnt lgkmcnt(0)
	; wave barrier
	s_waitcnt lgkmcnt(0)
	s_and_saveexec_b64 s[2:3], vcc
	s_cbranch_execz .LBB110_703
; %bb.696:
	ds_read_b128 v[2:5], v9
	s_and_b64 vcc, exec, s[0:1]
	s_cbranch_vccnz .LBB110_698
; %bb.697:
	scratch_load_dwordx4 v[150:153], v8, off
	s_waitcnt vmcnt(0) lgkmcnt(0)
	v_mul_f64 v[6:7], v[4:5], v[152:153]
	v_mul_f64 v[152:153], v[2:3], v[152:153]
	v_fmac_f64_e32 v[152:153], v[4:5], v[150:151]
	v_fma_f64 v[2:3], v[2:3], v[150:151], -v[6:7]
	v_mov_b64_e32 v[4:5], v[152:153]
.LBB110_698:
	v_cmp_ne_u32_e32 vcc, 41, v0
	s_and_saveexec_b64 s[6:7], vcc
	s_cbranch_execz .LBB110_702
; %bb.699:
	v_mov_b32_e32 v7, 0
	v_add_u32_e32 v6, 0x300, v62
	v_add3_u32 v7, v62, v7, 24
	s_mov_b64 s[8:9], 0
	v_mov_b32_e32 v150, v0
.LBB110_700:                            ; =>This Inner Loop Header: Depth=1
	v_add_u32_e32 v151, -8, v7
	scratch_load_dwordx4 v[152:155], v151, off
	ds_read_b128 v[156:159], v6
	v_add_u32_e32 v150, 1, v150
	v_cmp_lt_u32_e32 vcc, 40, v150
	v_add_u32_e32 v6, 16, v6
	v_add_u32_e32 v7, 16, v7
	s_or_b64 s[8:9], vcc, s[8:9]
	s_waitcnt vmcnt(0) lgkmcnt(0)
	v_mul_f64 v[160:161], v[158:159], v[154:155]
	v_mul_f64 v[154:155], v[156:157], v[154:155]
	v_fma_f64 v[156:157], v[156:157], v[152:153], -v[160:161]
	v_fmac_f64_e32 v[154:155], v[158:159], v[152:153]
	v_add_f64 v[2:3], v[2:3], v[156:157]
	v_add_f64 v[4:5], v[4:5], v[154:155]
	s_andn2_b64 exec, exec, s[8:9]
	s_cbranch_execnz .LBB110_700
; %bb.701:
	s_or_b64 exec, exec, s[8:9]
.LBB110_702:
	s_or_b64 exec, exec, s[6:7]
	v_mov_b32_e32 v6, 0
	ds_read_b128 v[150:153], v6 offset:672
	s_waitcnt lgkmcnt(0)
	v_mul_f64 v[6:7], v[4:5], v[152:153]
	v_mul_f64 v[154:155], v[2:3], v[152:153]
	v_fma_f64 v[152:153], v[2:3], v[150:151], -v[6:7]
	v_fmac_f64_e32 v[154:155], v[4:5], v[150:151]
	scratch_store_dwordx4 off, v[152:155], off offset:672
.LBB110_703:
	s_or_b64 exec, exec, s[2:3]
	scratch_load_dwordx4 v[2:5], v63, off
	v_cmp_gt_u32_e32 vcc, 43, v0
	s_waitcnt vmcnt(0)
	ds_write_b128 v9, v[2:5]
	s_waitcnt lgkmcnt(0)
	; wave barrier
	s_waitcnt lgkmcnt(0)
	s_and_saveexec_b64 s[2:3], vcc
	s_cbranch_execz .LBB110_711
; %bb.704:
	ds_read_b128 v[2:5], v9
	s_and_b64 vcc, exec, s[0:1]
	s_cbranch_vccnz .LBB110_706
; %bb.705:
	scratch_load_dwordx4 v[150:153], v8, off
	s_waitcnt vmcnt(0) lgkmcnt(0)
	v_mul_f64 v[6:7], v[4:5], v[152:153]
	v_mul_f64 v[152:153], v[2:3], v[152:153]
	v_fmac_f64_e32 v[152:153], v[4:5], v[150:151]
	v_fma_f64 v[2:3], v[2:3], v[150:151], -v[6:7]
	v_mov_b64_e32 v[4:5], v[152:153]
.LBB110_706:
	v_cmp_ne_u32_e32 vcc, 42, v0
	s_and_saveexec_b64 s[6:7], vcc
	s_cbranch_execz .LBB110_710
; %bb.707:
	v_mov_b32_e32 v7, 0
	v_add_u32_e32 v6, 0x300, v62
	v_add3_u32 v7, v62, v7, 24
	s_mov_b64 s[8:9], 0
	v_mov_b32_e32 v150, v0
.LBB110_708:                            ; =>This Inner Loop Header: Depth=1
	v_add_u32_e32 v151, -8, v7
	scratch_load_dwordx4 v[152:155], v151, off
	ds_read_b128 v[156:159], v6
	v_add_u32_e32 v150, 1, v150
	v_cmp_lt_u32_e32 vcc, 41, v150
	v_add_u32_e32 v6, 16, v6
	v_add_u32_e32 v7, 16, v7
	s_or_b64 s[8:9], vcc, s[8:9]
	s_waitcnt vmcnt(0) lgkmcnt(0)
	v_mul_f64 v[160:161], v[158:159], v[154:155]
	v_mul_f64 v[154:155], v[156:157], v[154:155]
	v_fma_f64 v[156:157], v[156:157], v[152:153], -v[160:161]
	v_fmac_f64_e32 v[154:155], v[158:159], v[152:153]
	v_add_f64 v[2:3], v[2:3], v[156:157]
	v_add_f64 v[4:5], v[4:5], v[154:155]
	s_andn2_b64 exec, exec, s[8:9]
	s_cbranch_execnz .LBB110_708
; %bb.709:
	s_or_b64 exec, exec, s[8:9]
.LBB110_710:
	s_or_b64 exec, exec, s[6:7]
	v_mov_b32_e32 v6, 0
	ds_read_b128 v[150:153], v6 offset:688
	s_waitcnt lgkmcnt(0)
	v_mul_f64 v[6:7], v[4:5], v[152:153]
	v_mul_f64 v[154:155], v[2:3], v[152:153]
	v_fma_f64 v[152:153], v[2:3], v[150:151], -v[6:7]
	v_fmac_f64_e32 v[154:155], v[4:5], v[150:151]
	scratch_store_dwordx4 off, v[152:155], off offset:688
.LBB110_711:
	s_or_b64 exec, exec, s[2:3]
	scratch_load_dwordx4 v[2:5], v11, off
	v_cmp_gt_u32_e32 vcc, 44, v0
	s_waitcnt vmcnt(0)
	ds_write_b128 v9, v[2:5]
	s_waitcnt lgkmcnt(0)
	; wave barrier
	s_waitcnt lgkmcnt(0)
	s_and_saveexec_b64 s[2:3], vcc
	s_cbranch_execz .LBB110_719
; %bb.712:
	ds_read_b128 v[2:5], v9
	s_and_b64 vcc, exec, s[0:1]
	s_cbranch_vccnz .LBB110_714
; %bb.713:
	scratch_load_dwordx4 v[150:153], v8, off
	s_waitcnt vmcnt(0) lgkmcnt(0)
	v_mul_f64 v[6:7], v[4:5], v[152:153]
	v_mul_f64 v[152:153], v[2:3], v[152:153]
	v_fmac_f64_e32 v[152:153], v[4:5], v[150:151]
	v_fma_f64 v[2:3], v[2:3], v[150:151], -v[6:7]
	v_mov_b64_e32 v[4:5], v[152:153]
.LBB110_714:
	v_cmp_ne_u32_e32 vcc, 43, v0
	s_and_saveexec_b64 s[6:7], vcc
	s_cbranch_execz .LBB110_718
; %bb.715:
	v_mov_b32_e32 v7, 0
	v_add_u32_e32 v6, 0x300, v62
	v_add3_u32 v7, v62, v7, 24
	s_mov_b64 s[8:9], 0
	v_mov_b32_e32 v150, v0
.LBB110_716:                            ; =>This Inner Loop Header: Depth=1
	v_add_u32_e32 v151, -8, v7
	scratch_load_dwordx4 v[152:155], v151, off
	ds_read_b128 v[156:159], v6
	v_add_u32_e32 v150, 1, v150
	v_cmp_lt_u32_e32 vcc, 42, v150
	v_add_u32_e32 v6, 16, v6
	v_add_u32_e32 v7, 16, v7
	s_or_b64 s[8:9], vcc, s[8:9]
	s_waitcnt vmcnt(0) lgkmcnt(0)
	v_mul_f64 v[160:161], v[158:159], v[154:155]
	v_mul_f64 v[154:155], v[156:157], v[154:155]
	v_fma_f64 v[156:157], v[156:157], v[152:153], -v[160:161]
	v_fmac_f64_e32 v[154:155], v[158:159], v[152:153]
	v_add_f64 v[2:3], v[2:3], v[156:157]
	v_add_f64 v[4:5], v[4:5], v[154:155]
	s_andn2_b64 exec, exec, s[8:9]
	s_cbranch_execnz .LBB110_716
; %bb.717:
	s_or_b64 exec, exec, s[8:9]
.LBB110_718:
	s_or_b64 exec, exec, s[6:7]
	v_mov_b32_e32 v6, 0
	ds_read_b128 v[150:153], v6 offset:704
	s_waitcnt lgkmcnt(0)
	v_mul_f64 v[6:7], v[4:5], v[152:153]
	v_mul_f64 v[154:155], v[2:3], v[152:153]
	v_fma_f64 v[152:153], v[2:3], v[150:151], -v[6:7]
	v_fmac_f64_e32 v[154:155], v[4:5], v[150:151]
	scratch_store_dwordx4 off, v[152:155], off offset:704
.LBB110_719:
	s_or_b64 exec, exec, s[2:3]
	scratch_load_dwordx4 v[2:5], v10, off
	v_cmp_gt_u32_e64 s[2:3], 45, v0
	s_waitcnt vmcnt(0)
	ds_write_b128 v9, v[2:5]
	s_waitcnt lgkmcnt(0)
	; wave barrier
	s_waitcnt lgkmcnt(0)
	s_and_saveexec_b64 s[6:7], s[2:3]
	s_cbranch_execz .LBB110_727
; %bb.720:
	ds_read_b128 v[2:5], v9
	s_and_b64 vcc, exec, s[0:1]
	s_cbranch_vccnz .LBB110_722
; %bb.721:
	scratch_load_dwordx4 v[150:153], v8, off
	s_waitcnt vmcnt(0) lgkmcnt(0)
	v_mul_f64 v[6:7], v[4:5], v[152:153]
	v_mul_f64 v[152:153], v[2:3], v[152:153]
	v_fmac_f64_e32 v[152:153], v[4:5], v[150:151]
	v_fma_f64 v[2:3], v[2:3], v[150:151], -v[6:7]
	v_mov_b64_e32 v[4:5], v[152:153]
.LBB110_722:
	v_cmp_ne_u32_e32 vcc, 44, v0
	s_and_saveexec_b64 s[8:9], vcc
	s_cbranch_execz .LBB110_726
; %bb.723:
	v_mov_b32_e32 v7, 0
	v_add_u32_e32 v6, 0x300, v62
	v_add3_u32 v7, v62, v7, 24
	s_mov_b64 s[10:11], 0
	v_mov_b32_e32 v150, v0
.LBB110_724:                            ; =>This Inner Loop Header: Depth=1
	v_add_u32_e32 v151, -8, v7
	scratch_load_dwordx4 v[152:155], v151, off
	ds_read_b128 v[156:159], v6
	v_add_u32_e32 v150, 1, v150
	v_cmp_lt_u32_e32 vcc, 43, v150
	v_add_u32_e32 v6, 16, v6
	v_add_u32_e32 v7, 16, v7
	s_or_b64 s[10:11], vcc, s[10:11]
	s_waitcnt vmcnt(0) lgkmcnt(0)
	v_mul_f64 v[160:161], v[158:159], v[154:155]
	v_mul_f64 v[154:155], v[156:157], v[154:155]
	v_fma_f64 v[156:157], v[156:157], v[152:153], -v[160:161]
	v_fmac_f64_e32 v[154:155], v[158:159], v[152:153]
	v_add_f64 v[2:3], v[2:3], v[156:157]
	v_add_f64 v[4:5], v[4:5], v[154:155]
	s_andn2_b64 exec, exec, s[10:11]
	s_cbranch_execnz .LBB110_724
; %bb.725:
	s_or_b64 exec, exec, s[10:11]
.LBB110_726:
	s_or_b64 exec, exec, s[8:9]
	v_mov_b32_e32 v6, 0
	ds_read_b128 v[150:153], v6 offset:720
	s_waitcnt lgkmcnt(0)
	v_mul_f64 v[6:7], v[4:5], v[152:153]
	v_mul_f64 v[154:155], v[2:3], v[152:153]
	v_fma_f64 v[152:153], v[2:3], v[150:151], -v[6:7]
	v_fmac_f64_e32 v[154:155], v[4:5], v[150:151]
	scratch_store_dwordx4 off, v[152:155], off offset:720
.LBB110_727:
	s_or_b64 exec, exec, s[6:7]
	scratch_load_dwordx4 v[2:5], v1, off
	v_cmp_ne_u32_e32 vcc, 46, v0
                                        ; implicit-def: $vgpr6_vgpr7
                                        ; implicit-def: $vgpr150
	s_waitcnt vmcnt(0)
	ds_write_b128 v9, v[2:5]
	s_waitcnt lgkmcnt(0)
	; wave barrier
	s_waitcnt lgkmcnt(0)
	s_and_saveexec_b64 s[6:7], vcc
	s_cbranch_execz .LBB110_735
; %bb.728:
	ds_read_b128 v[2:5], v9
	s_and_b64 vcc, exec, s[0:1]
	s_cbranch_vccnz .LBB110_730
; %bb.729:
	scratch_load_dwordx4 v[6:9], v8, off
	s_waitcnt vmcnt(0) lgkmcnt(0)
	v_mul_f64 v[150:151], v[4:5], v[8:9]
	v_mul_f64 v[8:9], v[2:3], v[8:9]
	v_fmac_f64_e32 v[8:9], v[4:5], v[6:7]
	v_fma_f64 v[2:3], v[2:3], v[6:7], -v[150:151]
	v_mov_b64_e32 v[4:5], v[8:9]
.LBB110_730:
	s_and_saveexec_b64 s[0:1], s[2:3]
	s_cbranch_execz .LBB110_734
; %bb.731:
	v_mov_b32_e32 v7, 0
	v_add_u32_e32 v6, 0x300, v62
	v_add3_u32 v7, v62, v7, 24
	s_mov_b64 s[2:3], 0
.LBB110_732:                            ; =>This Inner Loop Header: Depth=1
	v_add_u32_e32 v8, -8, v7
	scratch_load_dwordx4 v[150:153], v8, off
	ds_read_b128 v[154:157], v6
	v_add_u32_e32 v0, 1, v0
	v_cmp_lt_u32_e32 vcc, 44, v0
	v_add_u32_e32 v6, 16, v6
	v_add_u32_e32 v7, 16, v7
	s_or_b64 s[2:3], vcc, s[2:3]
	s_waitcnt vmcnt(0) lgkmcnt(0)
	v_mul_f64 v[8:9], v[156:157], v[152:153]
	v_mul_f64 v[152:153], v[154:155], v[152:153]
	v_fma_f64 v[8:9], v[154:155], v[150:151], -v[8:9]
	v_fmac_f64_e32 v[152:153], v[156:157], v[150:151]
	v_add_f64 v[2:3], v[2:3], v[8:9]
	v_add_f64 v[4:5], v[4:5], v[152:153]
	s_andn2_b64 exec, exec, s[2:3]
	s_cbranch_execnz .LBB110_732
; %bb.733:
	s_or_b64 exec, exec, s[2:3]
.LBB110_734:
	s_or_b64 exec, exec, s[0:1]
	v_mov_b32_e32 v0, 0
	ds_read_b128 v[152:155], v0 offset:736
	v_mov_b32_e32 v0, 0
	v_add_u32_e32 v150, 0x2e8, v0
	s_or_b64 s[4:5], s[4:5], exec
	s_waitcnt lgkmcnt(0)
	v_mul_f64 v[8:9], v[4:5], v[154:155]
	v_mul_f64 v[6:7], v[2:3], v[154:155]
	v_fma_f64 v[2:3], v[2:3], v[152:153], -v[8:9]
	v_fmac_f64_e32 v[6:7], v[4:5], v[152:153]
	scratch_store_dwordx2 off, v[2:3], off offset:736
.LBB110_735:
	s_or_b64 exec, exec, s[6:7]
.LBB110_736:
	s_and_saveexec_b64 s[0:1], s[4:5]
	s_cbranch_execz .LBB110_738
; %bb.737:
	scratch_store_dwordx2 v150, v[6:7], off
.LBB110_738:
	s_or_b64 exec, exec, s[0:1]
	scratch_load_dwordx4 v[2:5], off, off
	scratch_load_dwordx4 v[6:9], v149, off
	s_nop 0
	scratch_load_dwordx4 v[148:151], v148, off
	s_nop 0
	scratch_load_dwordx4 v[152:155], v147, off
	scratch_load_dwordx4 v[156:159], v146, off
	;; [unrolled: 1-line block ×3, first 2 shown]
	s_nop 0
	scratch_load_dwordx4 v[144:147], v144, off
	s_waitcnt vmcnt(6)
	global_store_dwordx4 v[12:13], v[2:5], off
	scratch_load_dwordx4 v[2:5], v143, off
	s_nop 0
	scratch_load_dwordx4 v[164:167], v142, off
	s_waitcnt vmcnt(8)
	global_store_dwordx4 v[14:15], v[6:9], off
	scratch_load_dwordx4 v[6:9], v141, off
	;; [unrolled: 5-line block ×20, first 2 shown]
	s_nop 0
	scratch_load_dwordx4 v[172:175], v1, off
	s_waitcnt vmcnt(39)
	global_store_dwordx4 v[50:51], v[160:163], off
	s_waitcnt vmcnt(38)
	global_store_dwordx4 v[54:55], v[2:5], off
	;; [unrolled: 2-line block ×27, first 2 shown]
.LBB110_739:
	s_endpgm
	.section	.rodata,"a",@progbits
	.p2align	6, 0x0
	.amdhsa_kernel _ZN9rocsolver6v33100L18trti2_kernel_smallILi47E19rocblas_complex_numIdEPKPS3_EEv13rocblas_fill_17rocblas_diagonal_T1_iil
		.amdhsa_group_segment_fixed_size 1504
		.amdhsa_private_segment_fixed_size 768
		.amdhsa_kernarg_size 32
		.amdhsa_user_sgpr_count 2
		.amdhsa_user_sgpr_dispatch_ptr 0
		.amdhsa_user_sgpr_queue_ptr 0
		.amdhsa_user_sgpr_kernarg_segment_ptr 1
		.amdhsa_user_sgpr_dispatch_id 0
		.amdhsa_user_sgpr_kernarg_preload_length 0
		.amdhsa_user_sgpr_kernarg_preload_offset 0
		.amdhsa_user_sgpr_private_segment_size 0
		.amdhsa_uses_dynamic_stack 0
		.amdhsa_enable_private_segment 1
		.amdhsa_system_sgpr_workgroup_id_x 1
		.amdhsa_system_sgpr_workgroup_id_y 0
		.amdhsa_system_sgpr_workgroup_id_z 0
		.amdhsa_system_sgpr_workgroup_info 0
		.amdhsa_system_vgpr_workitem_id 0
		.amdhsa_next_free_vgpr 176
		.amdhsa_next_free_sgpr 12
		.amdhsa_accum_offset 176
		.amdhsa_reserve_vcc 1
		.amdhsa_float_round_mode_32 0
		.amdhsa_float_round_mode_16_64 0
		.amdhsa_float_denorm_mode_32 3
		.amdhsa_float_denorm_mode_16_64 3
		.amdhsa_dx10_clamp 1
		.amdhsa_ieee_mode 1
		.amdhsa_fp16_overflow 0
		.amdhsa_tg_split 0
		.amdhsa_exception_fp_ieee_invalid_op 0
		.amdhsa_exception_fp_denorm_src 0
		.amdhsa_exception_fp_ieee_div_zero 0
		.amdhsa_exception_fp_ieee_overflow 0
		.amdhsa_exception_fp_ieee_underflow 0
		.amdhsa_exception_fp_ieee_inexact 0
		.amdhsa_exception_int_div_zero 0
	.end_amdhsa_kernel
	.section	.text._ZN9rocsolver6v33100L18trti2_kernel_smallILi47E19rocblas_complex_numIdEPKPS3_EEv13rocblas_fill_17rocblas_diagonal_T1_iil,"axG",@progbits,_ZN9rocsolver6v33100L18trti2_kernel_smallILi47E19rocblas_complex_numIdEPKPS3_EEv13rocblas_fill_17rocblas_diagonal_T1_iil,comdat
.Lfunc_end110:
	.size	_ZN9rocsolver6v33100L18trti2_kernel_smallILi47E19rocblas_complex_numIdEPKPS3_EEv13rocblas_fill_17rocblas_diagonal_T1_iil, .Lfunc_end110-_ZN9rocsolver6v33100L18trti2_kernel_smallILi47E19rocblas_complex_numIdEPKPS3_EEv13rocblas_fill_17rocblas_diagonal_T1_iil
                                        ; -- End function
	.section	.AMDGPU.csdata,"",@progbits
; Kernel info:
; codeLenInByte = 31000
; NumSgprs: 18
; NumVgprs: 176
; NumAgprs: 0
; TotalNumVgprs: 176
; ScratchSize: 768
; MemoryBound: 0
; FloatMode: 240
; IeeeMode: 1
; LDSByteSize: 1504 bytes/workgroup (compile time only)
; SGPRBlocks: 2
; VGPRBlocks: 21
; NumSGPRsForWavesPerEU: 18
; NumVGPRsForWavesPerEU: 176
; AccumOffset: 176
; Occupancy: 2
; WaveLimiterHint : 1
; COMPUTE_PGM_RSRC2:SCRATCH_EN: 1
; COMPUTE_PGM_RSRC2:USER_SGPR: 2
; COMPUTE_PGM_RSRC2:TRAP_HANDLER: 0
; COMPUTE_PGM_RSRC2:TGID_X_EN: 1
; COMPUTE_PGM_RSRC2:TGID_Y_EN: 0
; COMPUTE_PGM_RSRC2:TGID_Z_EN: 0
; COMPUTE_PGM_RSRC2:TIDIG_COMP_CNT: 0
; COMPUTE_PGM_RSRC3_GFX90A:ACCUM_OFFSET: 43
; COMPUTE_PGM_RSRC3_GFX90A:TG_SPLIT: 0
	.section	.text._ZN9rocsolver6v33100L18trti2_kernel_smallILi48E19rocblas_complex_numIdEPKPS3_EEv13rocblas_fill_17rocblas_diagonal_T1_iil,"axG",@progbits,_ZN9rocsolver6v33100L18trti2_kernel_smallILi48E19rocblas_complex_numIdEPKPS3_EEv13rocblas_fill_17rocblas_diagonal_T1_iil,comdat
	.globl	_ZN9rocsolver6v33100L18trti2_kernel_smallILi48E19rocblas_complex_numIdEPKPS3_EEv13rocblas_fill_17rocblas_diagonal_T1_iil ; -- Begin function _ZN9rocsolver6v33100L18trti2_kernel_smallILi48E19rocblas_complex_numIdEPKPS3_EEv13rocblas_fill_17rocblas_diagonal_T1_iil
	.p2align	8
	.type	_ZN9rocsolver6v33100L18trti2_kernel_smallILi48E19rocblas_complex_numIdEPKPS3_EEv13rocblas_fill_17rocblas_diagonal_T1_iil,@function
_ZN9rocsolver6v33100L18trti2_kernel_smallILi48E19rocblas_complex_numIdEPKPS3_EEv13rocblas_fill_17rocblas_diagonal_T1_iil: ; @_ZN9rocsolver6v33100L18trti2_kernel_smallILi48E19rocblas_complex_numIdEPKPS3_EEv13rocblas_fill_17rocblas_diagonal_T1_iil
; %bb.0:
	v_cmp_gt_u32_e32 vcc, 48, v0
	s_and_saveexec_b64 s[4:5], vcc
	s_cbranch_execz .LBB111_755
; %bb.1:
	s_load_dwordx2 s[8:9], s[0:1], 0x10
	s_load_dwordx4 s[4:7], s[0:1], 0x0
	s_ashr_i32 s3, s2, 31
	s_lshl_b64 s[0:1], s[2:3], 3
	v_lshlrev_b32_e32 v92, 4, v0
	s_waitcnt lgkmcnt(0)
	s_ashr_i32 s3, s8, 31
	s_add_u32 s0, s6, s0
	s_addc_u32 s1, s7, s1
	s_load_dwordx2 s[0:1], s[0:1], 0x0
	s_mov_b32 s2, s8
	s_lshl_b64 s[2:3], s[2:3], 4
	v_mov_b32_e32 v93, 0
	s_mov_b32 s6, s9
	s_waitcnt lgkmcnt(0)
	s_add_u32 s0, s0, s2
	s_addc_u32 s1, s1, s3
	global_load_dwordx4 v[2:5], v92, s[0:1]
	s_add_i32 s2, s9, s9
	s_ashr_i32 s7, s9, 31
	v_add_u32_e32 v6, s2, v0
	v_lshl_add_u64 v[24:25], s[0:1], 0, v[92:93]
	v_ashrrev_i32_e32 v7, 31, v6
	v_lshl_add_u64 v[18:19], s[6:7], 4, v[24:25]
	v_add_u32_e32 v10, s9, v6
	v_lshl_add_u64 v[14:15], v[6:7], 4, s[0:1]
	global_load_dwordx4 v[6:9], v[18:19], off
	global_load_dwordx4 v[48:51], v[14:15], off
	v_add_u32_e32 v12, s9, v10
	v_ashrrev_i32_e32 v11, 31, v10
	v_add_u32_e32 v22, s9, v12
	v_lshl_add_u64 v[20:21], v[10:11], 4, s[0:1]
	v_ashrrev_i32_e32 v13, 31, v12
	v_add_u32_e32 v10, s9, v22
	v_lshl_add_u64 v[16:17], v[12:13], 4, s[0:1]
	v_add_u32_e32 v12, s9, v10
	v_ashrrev_i32_e32 v23, 31, v22
	v_ashrrev_i32_e32 v11, 31, v10
	v_add_u32_e32 v28, s9, v12
	v_lshl_add_u64 v[26:27], v[22:23], 4, s[0:1]
	v_lshl_add_u64 v[22:23], v[10:11], 4, s[0:1]
	v_ashrrev_i32_e32 v13, 31, v12
	v_add_u32_e32 v10, s9, v28
	v_lshl_add_u64 v[30:31], v[12:13], 4, s[0:1]
	v_add_u32_e32 v12, s9, v10
	v_ashrrev_i32_e32 v11, 31, v10
	v_add_u32_e32 v36, s9, v12
	v_lshl_add_u64 v[34:35], v[10:11], 4, s[0:1]
	v_add_u32_e32 v10, s9, v36
	v_add_u32_e32 v38, s9, v10
	;; [unrolled: 1-line block ×34, first 2 shown]
	v_ashrrev_i32_e32 v13, 31, v12
	v_add_u32_e32 v168, s9, v166
	v_lshl_add_u64 v[32:33], v[12:13], 4, s[0:1]
	v_add_u32_e32 v12, s9, v168
	v_ashrrev_i32_e32 v29, 31, v28
	v_ashrrev_i32_e32 v13, 31, v12
	;; [unrolled: 1-line block ×4, first 2 shown]
	global_load_dwordx4 v[52:55], v[20:21], off
	global_load_dwordx4 v[56:59], v[16:17], off
	;; [unrolled: 1-line block ×4, first 2 shown]
	v_lshl_add_u64 v[28:29], v[28:29], 4, s[0:1]
	global_load_dwordx4 v[68:71], v[30:31], off
	global_load_dwordx4 v[72:75], v[28:29], off
	v_lshl_add_u64 v[12:13], v[12:13], 4, s[0:1]
	v_lshl_add_u64 v[46:47], v[36:37], 4, s[0:1]
	v_ashrrev_i32_e32 v11, 31, v10
	v_lshl_add_u64 v[44:45], v[38:39], 4, s[0:1]
	s_waitcnt vmcnt(8)
	scratch_store_dwordx4 off, v[2:5], off
	v_ashrrev_i32_e32 v43, 31, v42
	v_ashrrev_i32_e32 v99, 31, v98
	;; [unrolled: 1-line block ×3, first 2 shown]
	global_load_dwordx4 v[110:113], v[12:13], off
	global_load_dwordx4 v[2:5], v[34:35], off
	global_load_dwordx4 v[76:79], v[32:33], off
	v_lshl_add_u64 v[40:41], v[10:11], 4, s[0:1]
	global_load_dwordx4 v[80:83], v[46:47], off
	global_load_dwordx4 v[84:87], v[40:41], off
	v_lshl_add_u64 v[36:37], v[42:43], 4, s[0:1]
	global_load_dwordx4 v[88:91], v[44:45], off
	global_load_dwordx4 v[94:97], v[36:37], off
	v_lshl_add_u64 v[38:39], v[98:99], 4, s[0:1]
	v_lshl_add_u64 v[42:43], v[102:103], 4, s[0:1]
	global_load_dwordx4 v[98:101], v[38:39], off
	v_ashrrev_i32_e32 v105, 31, v104
	s_waitcnt vmcnt(16)
	scratch_store_dwordx4 off, v[6:9], off offset:16
	global_load_dwordx4 v[6:9], v[42:43], off
	v_ashrrev_i32_e32 v109, 31, v108
	v_ashrrev_i32_e32 v117, 31, v116
	;; [unrolled: 1-line block ×29, first 2 shown]
	s_cmpk_lg_i32 s5, 0x84
	s_cselect_b64 s[6:7], -1, 0
	s_cmpk_eq_i32 s5, 0x84
	v_mov_b32_e32 v1, 0
	s_waitcnt vmcnt(17)
	scratch_store_dwordx4 off, v[48:51], off offset:32
	s_waitcnt vmcnt(17)
	scratch_store_dwordx4 off, v[52:55], off offset:48
	;; [unrolled: 2-line block ×14, first 2 shown]
	v_lshl_add_u64 v[58:59], v[104:105], 4, s[0:1]
	v_lshl_add_u64 v[56:57], v[108:109], 4, s[0:1]
	;; [unrolled: 1-line block ×9, first 2 shown]
	global_load_dwordx4 v[2:5], v[58:59], off
	global_load_dwordx4 v[78:81], v[52:53], off
	v_lshl_add_u64 v[48:49], v[114:115], 4, s[0:1]
	global_load_dwordx4 v[82:85], v[56:57], off
	global_load_dwordx4 v[86:89], v[48:49], off
	v_lshl_add_u64 v[54:55], v[118:119], 4, s[0:1]
	;; [unrolled: 3-line block ×7, first 2 shown]
	s_waitcnt vmcnt(28)
	scratch_store_dwordx4 off, v[6:9], off offset:256
	global_load_dwordx4 v[6:9], v[76:77], off
	s_waitcnt vmcnt(15)
	scratch_store_dwordx4 off, v[2:5], off offset:272
	s_waitcnt vmcnt(15)
	scratch_store_dwordx4 off, v[78:81], off offset:288
	;; [unrolled: 2-line block ×14, first 2 shown]
	v_lshl_add_u64 v[78:79], v[140:141], 4, s[0:1]
	v_lshl_add_u64 v[80:81], v[142:143], 4, s[0:1]
	s_waitcnt vmcnt(14)
	scratch_store_dwordx4 off, v[6:9], off offset:496
	v_lshl_add_u64 v[84:85], v[146:147], 4, s[0:1]
	v_lshl_add_u64 v[88:89], v[150:151], 4, s[0:1]
	;; [unrolled: 1-line block ×6, first 2 shown]
	global_load_dwordx4 v[2:5], v[78:79], off
	v_lshl_add_u64 v[82:83], v[144:145], 4, s[0:1]
	global_load_dwordx4 v[6:9], v[80:81], off
	global_load_dwordx4 v[114:117], v[82:83], off
	v_lshl_add_u64 v[86:87], v[148:149], 4, s[0:1]
	global_load_dwordx4 v[118:121], v[84:85], off
	global_load_dwordx4 v[122:125], v[86:87], off
	;; [unrolled: 1-line block ×4, first 2 shown]
	v_lshl_add_u64 v[96:97], v[156:157], 4, s[0:1]
	global_load_dwordx4 v[134:137], v[94:95], off
	global_load_dwordx4 v[138:141], v[96:97], off
	v_lshl_add_u64 v[100:101], v[160:161], 4, s[0:1]
	global_load_dwordx4 v[142:145], v[98:99], off
	global_load_dwordx4 v[146:149], v[100:101], off
	;; [unrolled: 3-line block ×4, first 2 shown]
	s_waitcnt vmcnt(14)
	scratch_store_dwordx4 off, v[2:5], off offset:512
	s_waitcnt vmcnt(14)
	scratch_store_dwordx4 off, v[6:9], off offset:528
	;; [unrolled: 2-line block ×15, first 2 shown]
	scratch_store_dwordx4 off, v[110:113], off offset:752
	s_cbranch_scc1 .LBB111_7
; %bb.2:
	scratch_load_dwordx4 v[8:11], v92, off
                                        ; implicit-def: $vgpr6_vgpr7
	s_waitcnt vmcnt(0)
	v_xor_b32_e32 v3, 0x80000000, v9
	v_cmp_gt_f64_e32 vcc, 0, v[8:9]
	v_xor_b32_e32 v4, 0x80000000, v11
	v_mov_b32_e32 v2, v8
	v_cndmask_b32_e32 v3, v9, v3, vcc
	v_cmp_gt_f64_e32 vcc, 0, v[10:11]
	s_nop 1
	v_cndmask_b32_e32 v5, v11, v4, vcc
	v_mov_b32_e32 v4, v10
	v_cmp_ngt_f64_e32 vcc, v[2:3], v[4:5]
                                        ; implicit-def: $vgpr2_vgpr3
	s_and_saveexec_b64 s[0:1], vcc
	s_xor_b64 s[0:1], exec, s[0:1]
	s_cbranch_execz .LBB111_4
; %bb.3:
	v_div_scale_f64 v[2:3], s[2:3], v[10:11], v[10:11], v[8:9]
	v_rcp_f64_e32 v[4:5], v[2:3]
	v_div_scale_f64 v[6:7], vcc, v[8:9], v[10:11], v[8:9]
	v_fma_f64 v[110:111], -v[2:3], v[4:5], 1.0
	v_fmac_f64_e32 v[4:5], v[4:5], v[110:111]
	v_fma_f64 v[110:111], -v[2:3], v[4:5], 1.0
	v_fmac_f64_e32 v[4:5], v[4:5], v[110:111]
	v_mul_f64 v[110:111], v[6:7], v[4:5]
	v_fma_f64 v[2:3], -v[2:3], v[110:111], v[6:7]
	v_div_fmas_f64 v[2:3], v[2:3], v[4:5], v[110:111]
	v_div_fixup_f64 v[2:3], v[2:3], v[10:11], v[8:9]
	v_fmac_f64_e32 v[10:11], v[8:9], v[2:3]
	v_div_scale_f64 v[4:5], s[2:3], v[10:11], v[10:11], 1.0
	v_rcp_f64_e32 v[6:7], v[4:5]
	s_nop 0
	v_fma_f64 v[8:9], -v[4:5], v[6:7], 1.0
	v_fmac_f64_e32 v[6:7], v[6:7], v[8:9]
	v_fma_f64 v[8:9], -v[4:5], v[6:7], 1.0
	v_fmac_f64_e32 v[6:7], v[6:7], v[8:9]
	v_div_scale_f64 v[8:9], vcc, 1.0, v[10:11], 1.0
	v_mul_f64 v[110:111], v[8:9], v[6:7]
	v_fma_f64 v[4:5], -v[4:5], v[110:111], v[8:9]
                                        ; implicit-def: $vgpr8_vgpr9
	s_nop 1
	v_div_fmas_f64 v[4:5], v[4:5], v[6:7], v[110:111]
	v_div_fixup_f64 v[4:5], v[4:5], v[10:11], 1.0
	v_mul_f64 v[2:3], v[2:3], v[4:5]
	v_xor_b32_e32 v5, 0x80000000, v5
	v_xor_b32_e32 v7, 0x80000000, v3
	v_mov_b32_e32 v6, v2
.LBB111_4:
	s_or_saveexec_b64 s[0:1], s[0:1]
	v_add_u32_e32 v93, 0, v92
	s_xor_b64 exec, exec, s[0:1]
	s_cbranch_execz .LBB111_6
; %bb.5:
	v_div_scale_f64 v[2:3], s[2:3], v[8:9], v[8:9], v[10:11]
	v_rcp_f64_e32 v[4:5], v[2:3]
	v_div_scale_f64 v[6:7], vcc, v[10:11], v[8:9], v[10:11]
	v_fma_f64 v[110:111], -v[2:3], v[4:5], 1.0
	v_fmac_f64_e32 v[4:5], v[4:5], v[110:111]
	v_fma_f64 v[110:111], -v[2:3], v[4:5], 1.0
	v_fmac_f64_e32 v[4:5], v[4:5], v[110:111]
	v_mul_f64 v[110:111], v[6:7], v[4:5]
	v_fma_f64 v[2:3], -v[2:3], v[110:111], v[6:7]
	v_div_fmas_f64 v[2:3], v[2:3], v[4:5], v[110:111]
	v_div_fixup_f64 v[4:5], v[2:3], v[8:9], v[10:11]
	v_fmac_f64_e32 v[8:9], v[10:11], v[4:5]
	v_div_scale_f64 v[2:3], s[2:3], v[8:9], v[8:9], 1.0
	v_rcp_f64_e32 v[6:7], v[2:3]
	s_nop 0
	v_fma_f64 v[10:11], -v[2:3], v[6:7], 1.0
	v_fmac_f64_e32 v[6:7], v[6:7], v[10:11]
	v_fma_f64 v[10:11], -v[2:3], v[6:7], 1.0
	v_fmac_f64_e32 v[6:7], v[6:7], v[10:11]
	v_div_scale_f64 v[10:11], vcc, 1.0, v[8:9], 1.0
	v_mul_f64 v[110:111], v[10:11], v[6:7]
	v_fma_f64 v[2:3], -v[2:3], v[110:111], v[10:11]
	s_nop 1
	v_div_fmas_f64 v[2:3], v[2:3], v[6:7], v[110:111]
	v_div_fixup_f64 v[2:3], v[2:3], v[8:9], 1.0
	v_xor_b32_e32 v7, 0x80000000, v3
	v_mov_b32_e32 v6, v2
	v_mul_f64 v[4:5], v[4:5], -v[2:3]
.LBB111_6:
	s_or_b64 exec, exec, s[0:1]
	scratch_store_dwordx4 v93, v[2:5], off
	s_nop 1
	v_xor_b32_e32 v5, 0x80000000, v5
	s_branch .LBB111_8
.LBB111_7:
	v_mov_b64_e32 v[4:5], 0
	v_mov_b64_e32 v[6:7], -1.0
.LBB111_8:
	v_mov_b32_e32 v8, v4
	v_mov_b32_e32 v9, v5
	v_add_u32_e32 v152, 16, v1
	v_add_u32_e32 v151, 32, v1
	;; [unrolled: 1-line block ×47, first 2 shown]
	ds_write_b128 v92, v[6:9]
	s_cmpk_eq_i32 s4, 0x79
	v_add_u32_e32 v9, 0x300, v92
	v_add_u32_e32 v8, 0, v92
	s_cbranch_scc1 .LBB111_380
; %bb.9:
	scratch_load_dwordx4 v[2:5], v10, off
	v_cmp_eq_u32_e64 s[0:1], 47, v0
	s_waitcnt vmcnt(0)
	ds_write_b128 v9, v[2:5]
	s_waitcnt lgkmcnt(0)
	; wave barrier
	s_waitcnt lgkmcnt(0)
	s_and_saveexec_b64 s[2:3], s[0:1]
	s_cbranch_execz .LBB111_13
; %bb.10:
	ds_read_b128 v[2:5], v9
	s_andn2_b64 vcc, exec, s[6:7]
	s_cbranch_vccnz .LBB111_12
; %bb.11:
	scratch_load_dwordx4 v[154:157], v8, off
	s_waitcnt vmcnt(0) lgkmcnt(0)
	v_mul_f64 v[6:7], v[4:5], v[156:157]
	v_mul_f64 v[156:157], v[2:3], v[156:157]
	v_fmac_f64_e32 v[156:157], v[4:5], v[154:155]
	v_fma_f64 v[2:3], v[2:3], v[154:155], -v[6:7]
	v_mov_b64_e32 v[4:5], v[156:157]
.LBB111_12:
	v_mov_b32_e32 v6, 0
	ds_read_b128 v[154:157], v6 offset:736
	s_waitcnt lgkmcnt(0)
	v_mul_f64 v[6:7], v[4:5], v[156:157]
	v_mul_f64 v[158:159], v[2:3], v[156:157]
	v_fma_f64 v[156:157], v[2:3], v[154:155], -v[6:7]
	v_fmac_f64_e32 v[158:159], v[4:5], v[154:155]
	scratch_store_dwordx4 off, v[156:159], off offset:736
.LBB111_13:
	s_or_b64 exec, exec, s[2:3]
	scratch_load_dwordx4 v[2:5], v11, off
	v_cmp_lt_u32_e64 s[2:3], 45, v0
	s_waitcnt vmcnt(0)
	ds_write_b128 v9, v[2:5]
	s_waitcnt lgkmcnt(0)
	; wave barrier
	s_waitcnt lgkmcnt(0)
	s_and_saveexec_b64 s[4:5], s[2:3]
	s_cbranch_execz .LBB111_19
; %bb.14:
	ds_read_b128 v[2:5], v9
	s_andn2_b64 vcc, exec, s[6:7]
	s_cbranch_vccnz .LBB111_16
; %bb.15:
	scratch_load_dwordx4 v[154:157], v8, off
	s_waitcnt vmcnt(0) lgkmcnt(0)
	v_mul_f64 v[6:7], v[4:5], v[156:157]
	v_mul_f64 v[156:157], v[2:3], v[156:157]
	v_fmac_f64_e32 v[156:157], v[4:5], v[154:155]
	v_fma_f64 v[2:3], v[2:3], v[154:155], -v[6:7]
	v_mov_b64_e32 v[4:5], v[156:157]
.LBB111_16:
	s_and_saveexec_b64 s[8:9], s[0:1]
	s_cbranch_execz .LBB111_18
; %bb.17:
	scratch_load_dwordx4 v[154:157], off, off offset:736
	v_mov_b32_e32 v6, 0
	ds_read_b128 v[158:161], v6 offset:1504
	s_waitcnt vmcnt(0) lgkmcnt(0)
	v_mul_f64 v[6:7], v[158:159], v[156:157]
	v_mul_f64 v[156:157], v[160:161], v[156:157]
	v_fmac_f64_e32 v[6:7], v[160:161], v[154:155]
	v_fma_f64 v[154:155], v[158:159], v[154:155], -v[156:157]
	v_add_f64 v[4:5], v[4:5], v[6:7]
	v_add_f64 v[2:3], v[2:3], v[154:155]
.LBB111_18:
	s_or_b64 exec, exec, s[8:9]
	v_mov_b32_e32 v6, 0
	ds_read_b128 v[154:157], v6 offset:720
	s_waitcnt lgkmcnt(0)
	v_mul_f64 v[6:7], v[4:5], v[156:157]
	v_mul_f64 v[158:159], v[2:3], v[156:157]
	v_fma_f64 v[156:157], v[2:3], v[154:155], -v[6:7]
	v_fmac_f64_e32 v[158:159], v[4:5], v[154:155]
	scratch_store_dwordx4 off, v[156:159], off offset:720
.LBB111_19:
	s_or_b64 exec, exec, s[4:5]
	scratch_load_dwordx4 v[2:5], v93, off
	v_cmp_lt_u32_e64 s[0:1], 44, v0
	s_waitcnt vmcnt(0)
	ds_write_b128 v9, v[2:5]
	s_waitcnt lgkmcnt(0)
	; wave barrier
	s_waitcnt lgkmcnt(0)
	s_and_saveexec_b64 s[4:5], s[0:1]
	s_cbranch_execz .LBB111_27
; %bb.20:
	ds_read_b128 v[2:5], v9
	s_andn2_b64 vcc, exec, s[6:7]
	s_cbranch_vccnz .LBB111_22
; %bb.21:
	scratch_load_dwordx4 v[154:157], v8, off
	s_waitcnt vmcnt(0) lgkmcnt(0)
	v_mul_f64 v[6:7], v[4:5], v[156:157]
	v_mul_f64 v[156:157], v[2:3], v[156:157]
	v_fmac_f64_e32 v[156:157], v[4:5], v[154:155]
	v_fma_f64 v[2:3], v[2:3], v[154:155], -v[6:7]
	v_mov_b64_e32 v[4:5], v[156:157]
.LBB111_22:
	s_and_saveexec_b64 s[8:9], s[2:3]
	s_cbranch_execz .LBB111_26
; %bb.23:
	v_mov_b32_e32 v7, 0
	v_subrev_u32_e32 v6, 45, v0
	v_add_u32_e32 v7, 0x2d8, v7
	s_movk_i32 s10, 0x5d0
	s_mov_b64 s[2:3], 0
.LBB111_24:                             ; =>This Inner Loop Header: Depth=1
	v_add_u32_e32 v153, -8, v7
	scratch_load_dwordx4 v[154:157], v153, off
	v_mov_b32_e32 v153, s10
	ds_read_b128 v[158:161], v153
	v_add_u32_e32 v6, -1, v6
	s_add_i32 s10, s10, 16
	v_cmp_eq_u32_e32 vcc, 0, v6
	v_add_u32_e32 v7, 16, v7
	s_or_b64 s[2:3], vcc, s[2:3]
	s_waitcnt vmcnt(0) lgkmcnt(0)
	v_mul_f64 v[162:163], v[160:161], v[156:157]
	v_mul_f64 v[156:157], v[158:159], v[156:157]
	v_fma_f64 v[158:159], v[158:159], v[154:155], -v[162:163]
	v_fmac_f64_e32 v[156:157], v[160:161], v[154:155]
	v_add_f64 v[2:3], v[2:3], v[158:159]
	v_add_f64 v[4:5], v[4:5], v[156:157]
	s_andn2_b64 exec, exec, s[2:3]
	s_cbranch_execnz .LBB111_24
; %bb.25:
	s_or_b64 exec, exec, s[2:3]
.LBB111_26:
	s_or_b64 exec, exec, s[8:9]
	v_mov_b32_e32 v6, 0
	ds_read_b128 v[154:157], v6 offset:704
	s_waitcnt lgkmcnt(0)
	v_mul_f64 v[6:7], v[4:5], v[156:157]
	v_mul_f64 v[158:159], v[2:3], v[156:157]
	v_fma_f64 v[156:157], v[2:3], v[154:155], -v[6:7]
	v_fmac_f64_e32 v[158:159], v[4:5], v[154:155]
	scratch_store_dwordx4 off, v[156:159], off offset:704
.LBB111_27:
	s_or_b64 exec, exec, s[4:5]
	scratch_load_dwordx4 v[2:5], v110, off
	v_cmp_lt_u32_e64 s[2:3], 43, v0
	s_waitcnt vmcnt(0)
	ds_write_b128 v9, v[2:5]
	s_waitcnt lgkmcnt(0)
	; wave barrier
	s_waitcnt lgkmcnt(0)
	s_and_saveexec_b64 s[4:5], s[2:3]
	s_cbranch_execz .LBB111_35
; %bb.28:
	ds_read_b128 v[2:5], v9
	s_andn2_b64 vcc, exec, s[6:7]
	s_cbranch_vccnz .LBB111_30
; %bb.29:
	scratch_load_dwordx4 v[154:157], v8, off
	s_waitcnt vmcnt(0) lgkmcnt(0)
	v_mul_f64 v[6:7], v[4:5], v[156:157]
	v_mul_f64 v[156:157], v[2:3], v[156:157]
	v_fmac_f64_e32 v[156:157], v[4:5], v[154:155]
	v_fma_f64 v[2:3], v[2:3], v[154:155], -v[6:7]
	v_mov_b64_e32 v[4:5], v[156:157]
.LBB111_30:
	s_and_saveexec_b64 s[8:9], s[0:1]
	s_cbranch_execz .LBB111_34
; %bb.31:
	v_mov_b32_e32 v7, 0
	v_subrev_u32_e32 v6, 44, v0
	v_add_u32_e32 v7, 0x2c8, v7
	s_movk_i32 s10, 0x5c0
	s_mov_b64 s[0:1], 0
.LBB111_32:                             ; =>This Inner Loop Header: Depth=1
	v_add_u32_e32 v153, -8, v7
	scratch_load_dwordx4 v[154:157], v153, off
	v_mov_b32_e32 v153, s10
	ds_read_b128 v[158:161], v153
	v_add_u32_e32 v6, -1, v6
	s_add_i32 s10, s10, 16
	v_cmp_eq_u32_e32 vcc, 0, v6
	v_add_u32_e32 v7, 16, v7
	s_or_b64 s[0:1], vcc, s[0:1]
	s_waitcnt vmcnt(0) lgkmcnt(0)
	v_mul_f64 v[162:163], v[160:161], v[156:157]
	v_mul_f64 v[156:157], v[158:159], v[156:157]
	v_fma_f64 v[158:159], v[158:159], v[154:155], -v[162:163]
	v_fmac_f64_e32 v[156:157], v[160:161], v[154:155]
	v_add_f64 v[2:3], v[2:3], v[158:159]
	v_add_f64 v[4:5], v[4:5], v[156:157]
	s_andn2_b64 exec, exec, s[0:1]
	s_cbranch_execnz .LBB111_32
; %bb.33:
	s_or_b64 exec, exec, s[0:1]
.LBB111_34:
	s_or_b64 exec, exec, s[8:9]
	v_mov_b32_e32 v6, 0
	ds_read_b128 v[154:157], v6 offset:688
	s_waitcnt lgkmcnt(0)
	v_mul_f64 v[6:7], v[4:5], v[156:157]
	v_mul_f64 v[158:159], v[2:3], v[156:157]
	v_fma_f64 v[156:157], v[2:3], v[154:155], -v[6:7]
	v_fmac_f64_e32 v[158:159], v[4:5], v[154:155]
	scratch_store_dwordx4 off, v[156:159], off offset:688
.LBB111_35:
	;; [unrolled: 63-line block ×10, first 2 shown]
	s_or_b64 exec, exec, s[4:5]
	scratch_load_dwordx4 v[2:5], v119, off
	v_cmp_lt_u32_e64 s[0:1], 34, v0
	s_waitcnt vmcnt(0)
	ds_write_b128 v9, v[2:5]
	s_waitcnt lgkmcnt(0)
	; wave barrier
	s_waitcnt lgkmcnt(0)
	s_and_saveexec_b64 s[4:5], s[0:1]
	s_cbranch_execz .LBB111_107
; %bb.100:
	ds_read_b128 v[2:5], v9
	s_andn2_b64 vcc, exec, s[6:7]
	s_cbranch_vccnz .LBB111_102
; %bb.101:
	scratch_load_dwordx4 v[154:157], v8, off
	s_waitcnt vmcnt(0) lgkmcnt(0)
	v_mul_f64 v[6:7], v[4:5], v[156:157]
	v_mul_f64 v[156:157], v[2:3], v[156:157]
	v_fmac_f64_e32 v[156:157], v[4:5], v[154:155]
	v_fma_f64 v[2:3], v[2:3], v[154:155], -v[6:7]
	v_mov_b64_e32 v[4:5], v[156:157]
.LBB111_102:
	s_and_saveexec_b64 s[8:9], s[2:3]
	s_cbranch_execz .LBB111_106
; %bb.103:
	v_mov_b32_e32 v7, 0
	v_subrev_u32_e32 v6, 35, v0
	v_add_u32_e32 v7, 0x238, v7
	s_movk_i32 s10, 0x530
	s_mov_b64 s[2:3], 0
.LBB111_104:                            ; =>This Inner Loop Header: Depth=1
	v_add_u32_e32 v153, -8, v7
	scratch_load_dwordx4 v[154:157], v153, off
	v_mov_b32_e32 v153, s10
	ds_read_b128 v[158:161], v153
	v_add_u32_e32 v6, -1, v6
	s_add_i32 s10, s10, 16
	v_cmp_eq_u32_e32 vcc, 0, v6
	v_add_u32_e32 v7, 16, v7
	s_or_b64 s[2:3], vcc, s[2:3]
	s_waitcnt vmcnt(0) lgkmcnt(0)
	v_mul_f64 v[162:163], v[160:161], v[156:157]
	v_mul_f64 v[156:157], v[158:159], v[156:157]
	v_fma_f64 v[158:159], v[158:159], v[154:155], -v[162:163]
	v_fmac_f64_e32 v[156:157], v[160:161], v[154:155]
	v_add_f64 v[2:3], v[2:3], v[158:159]
	v_add_f64 v[4:5], v[4:5], v[156:157]
	s_andn2_b64 exec, exec, s[2:3]
	s_cbranch_execnz .LBB111_104
; %bb.105:
	s_or_b64 exec, exec, s[2:3]
.LBB111_106:
	s_or_b64 exec, exec, s[8:9]
	v_mov_b32_e32 v6, 0
	ds_read_b128 v[154:157], v6 offset:544
	s_waitcnt lgkmcnt(0)
	v_mul_f64 v[6:7], v[4:5], v[156:157]
	v_mul_f64 v[158:159], v[2:3], v[156:157]
	v_fma_f64 v[156:157], v[2:3], v[154:155], -v[6:7]
	v_fmac_f64_e32 v[158:159], v[4:5], v[154:155]
	scratch_store_dwordx4 off, v[156:159], off offset:544
.LBB111_107:
	s_or_b64 exec, exec, s[4:5]
	scratch_load_dwordx4 v[2:5], v120, off
	v_cmp_lt_u32_e64 s[2:3], 33, v0
	s_waitcnt vmcnt(0)
	ds_write_b128 v9, v[2:5]
	s_waitcnt lgkmcnt(0)
	; wave barrier
	s_waitcnt lgkmcnt(0)
	s_and_saveexec_b64 s[4:5], s[2:3]
	s_cbranch_execz .LBB111_115
; %bb.108:
	ds_read_b128 v[2:5], v9
	s_andn2_b64 vcc, exec, s[6:7]
	s_cbranch_vccnz .LBB111_110
; %bb.109:
	scratch_load_dwordx4 v[154:157], v8, off
	s_waitcnt vmcnt(0) lgkmcnt(0)
	v_mul_f64 v[6:7], v[4:5], v[156:157]
	v_mul_f64 v[156:157], v[2:3], v[156:157]
	v_fmac_f64_e32 v[156:157], v[4:5], v[154:155]
	v_fma_f64 v[2:3], v[2:3], v[154:155], -v[6:7]
	v_mov_b64_e32 v[4:5], v[156:157]
.LBB111_110:
	s_and_saveexec_b64 s[8:9], s[0:1]
	s_cbranch_execz .LBB111_114
; %bb.111:
	v_mov_b32_e32 v7, 0
	v_subrev_u32_e32 v6, 34, v0
	v_add_u32_e32 v7, 0x228, v7
	s_movk_i32 s10, 0x520
	s_mov_b64 s[0:1], 0
.LBB111_112:                            ; =>This Inner Loop Header: Depth=1
	v_add_u32_e32 v153, -8, v7
	scratch_load_dwordx4 v[154:157], v153, off
	v_mov_b32_e32 v153, s10
	ds_read_b128 v[158:161], v153
	v_add_u32_e32 v6, -1, v6
	s_add_i32 s10, s10, 16
	v_cmp_eq_u32_e32 vcc, 0, v6
	v_add_u32_e32 v7, 16, v7
	s_or_b64 s[0:1], vcc, s[0:1]
	s_waitcnt vmcnt(0) lgkmcnt(0)
	v_mul_f64 v[162:163], v[160:161], v[156:157]
	v_mul_f64 v[156:157], v[158:159], v[156:157]
	v_fma_f64 v[158:159], v[158:159], v[154:155], -v[162:163]
	v_fmac_f64_e32 v[156:157], v[160:161], v[154:155]
	v_add_f64 v[2:3], v[2:3], v[158:159]
	v_add_f64 v[4:5], v[4:5], v[156:157]
	s_andn2_b64 exec, exec, s[0:1]
	s_cbranch_execnz .LBB111_112
; %bb.113:
	s_or_b64 exec, exec, s[0:1]
.LBB111_114:
	s_or_b64 exec, exec, s[8:9]
	v_mov_b32_e32 v6, 0
	ds_read_b128 v[154:157], v6 offset:528
	s_waitcnt lgkmcnt(0)
	v_mul_f64 v[6:7], v[4:5], v[156:157]
	v_mul_f64 v[158:159], v[2:3], v[156:157]
	v_fma_f64 v[156:157], v[2:3], v[154:155], -v[6:7]
	v_fmac_f64_e32 v[158:159], v[4:5], v[154:155]
	scratch_store_dwordx4 off, v[156:159], off offset:528
.LBB111_115:
	;; [unrolled: 63-line block ×19, first 2 shown]
	s_or_b64 exec, exec, s[4:5]
	scratch_load_dwordx4 v[2:5], v138, off
	v_cmp_lt_u32_e64 s[2:3], 15, v0
	s_waitcnt vmcnt(0)
	ds_write_b128 v9, v[2:5]
	s_waitcnt lgkmcnt(0)
	; wave barrier
	s_waitcnt lgkmcnt(0)
	s_and_saveexec_b64 s[4:5], s[2:3]
	s_cbranch_execz .LBB111_259
; %bb.252:
	ds_read_b128 v[2:5], v9
	s_andn2_b64 vcc, exec, s[6:7]
	s_cbranch_vccnz .LBB111_254
; %bb.253:
	scratch_load_dwordx4 v[154:157], v8, off
	s_waitcnt vmcnt(0) lgkmcnt(0)
	v_mul_f64 v[6:7], v[4:5], v[156:157]
	v_mul_f64 v[156:157], v[2:3], v[156:157]
	v_fmac_f64_e32 v[156:157], v[4:5], v[154:155]
	v_fma_f64 v[2:3], v[2:3], v[154:155], -v[6:7]
	v_mov_b64_e32 v[4:5], v[156:157]
.LBB111_254:
	s_and_saveexec_b64 s[8:9], s[0:1]
	s_cbranch_execz .LBB111_258
; %bb.255:
	v_mov_b32_e32 v7, 0
	v_add_u32_e32 v6, -16, v0
	v_add_u32_e32 v7, 0x108, v7
	s_movk_i32 s10, 0x400
	s_mov_b64 s[0:1], 0
.LBB111_256:                            ; =>This Inner Loop Header: Depth=1
	v_add_u32_e32 v153, -8, v7
	scratch_load_dwordx4 v[154:157], v153, off
	v_mov_b32_e32 v153, s10
	ds_read_b128 v[158:161], v153
	v_add_u32_e32 v6, -1, v6
	s_add_i32 s10, s10, 16
	v_cmp_eq_u32_e32 vcc, 0, v6
	v_add_u32_e32 v7, 16, v7
	s_or_b64 s[0:1], vcc, s[0:1]
	s_waitcnt vmcnt(0) lgkmcnt(0)
	v_mul_f64 v[162:163], v[160:161], v[156:157]
	v_mul_f64 v[156:157], v[158:159], v[156:157]
	v_fma_f64 v[158:159], v[158:159], v[154:155], -v[162:163]
	v_fmac_f64_e32 v[156:157], v[160:161], v[154:155]
	v_add_f64 v[2:3], v[2:3], v[158:159]
	v_add_f64 v[4:5], v[4:5], v[156:157]
	s_andn2_b64 exec, exec, s[0:1]
	s_cbranch_execnz .LBB111_256
; %bb.257:
	s_or_b64 exec, exec, s[0:1]
.LBB111_258:
	s_or_b64 exec, exec, s[8:9]
	v_mov_b32_e32 v6, 0
	ds_read_b128 v[154:157], v6 offset:240
	s_waitcnt lgkmcnt(0)
	v_mul_f64 v[6:7], v[4:5], v[156:157]
	v_mul_f64 v[158:159], v[2:3], v[156:157]
	v_fma_f64 v[156:157], v[2:3], v[154:155], -v[6:7]
	v_fmac_f64_e32 v[158:159], v[4:5], v[154:155]
	scratch_store_dwordx4 off, v[156:159], off offset:240
.LBB111_259:
	s_or_b64 exec, exec, s[4:5]
	scratch_load_dwordx4 v[2:5], v139, off
	v_cmp_lt_u32_e64 s[0:1], 14, v0
	s_waitcnt vmcnt(0)
	ds_write_b128 v9, v[2:5]
	s_waitcnt lgkmcnt(0)
	; wave barrier
	s_waitcnt lgkmcnt(0)
	s_and_saveexec_b64 s[4:5], s[0:1]
	s_cbranch_execz .LBB111_267
; %bb.260:
	ds_read_b128 v[2:5], v9
	s_andn2_b64 vcc, exec, s[6:7]
	s_cbranch_vccnz .LBB111_262
; %bb.261:
	scratch_load_dwordx4 v[154:157], v8, off
	s_waitcnt vmcnt(0) lgkmcnt(0)
	v_mul_f64 v[6:7], v[4:5], v[156:157]
	v_mul_f64 v[156:157], v[2:3], v[156:157]
	v_fmac_f64_e32 v[156:157], v[4:5], v[154:155]
	v_fma_f64 v[2:3], v[2:3], v[154:155], -v[6:7]
	v_mov_b64_e32 v[4:5], v[156:157]
.LBB111_262:
	s_and_saveexec_b64 s[8:9], s[2:3]
	s_cbranch_execz .LBB111_266
; %bb.263:
	v_mov_b32_e32 v7, 0
	v_add_u32_e32 v6, -15, v0
	v_add_u32_e32 v7, 0xf8, v7
	s_movk_i32 s10, 0x3f0
	s_mov_b64 s[2:3], 0
.LBB111_264:                            ; =>This Inner Loop Header: Depth=1
	v_add_u32_e32 v153, -8, v7
	scratch_load_dwordx4 v[154:157], v153, off
	v_mov_b32_e32 v153, s10
	ds_read_b128 v[158:161], v153
	v_add_u32_e32 v6, -1, v6
	s_add_i32 s10, s10, 16
	v_cmp_eq_u32_e32 vcc, 0, v6
	v_add_u32_e32 v7, 16, v7
	s_or_b64 s[2:3], vcc, s[2:3]
	s_waitcnt vmcnt(0) lgkmcnt(0)
	v_mul_f64 v[162:163], v[160:161], v[156:157]
	v_mul_f64 v[156:157], v[158:159], v[156:157]
	v_fma_f64 v[158:159], v[158:159], v[154:155], -v[162:163]
	v_fmac_f64_e32 v[156:157], v[160:161], v[154:155]
	v_add_f64 v[2:3], v[2:3], v[158:159]
	v_add_f64 v[4:5], v[4:5], v[156:157]
	s_andn2_b64 exec, exec, s[2:3]
	s_cbranch_execnz .LBB111_264
; %bb.265:
	s_or_b64 exec, exec, s[2:3]
.LBB111_266:
	s_or_b64 exec, exec, s[8:9]
	v_mov_b32_e32 v6, 0
	ds_read_b128 v[154:157], v6 offset:224
	s_waitcnt lgkmcnt(0)
	v_mul_f64 v[6:7], v[4:5], v[156:157]
	v_mul_f64 v[158:159], v[2:3], v[156:157]
	v_fma_f64 v[156:157], v[2:3], v[154:155], -v[6:7]
	v_fmac_f64_e32 v[158:159], v[4:5], v[154:155]
	scratch_store_dwordx4 off, v[156:159], off offset:224
.LBB111_267:
	;; [unrolled: 63-line block ×15, first 2 shown]
	s_or_b64 exec, exec, s[2:3]
	scratch_load_dwordx4 v[2:5], off, off
	v_cmp_ne_u32_e32 vcc, 0, v0
	s_mov_b64 s[2:3], 0
	s_mov_b64 s[4:5], 0
                                        ; implicit-def: $vgpr6_vgpr7
                                        ; implicit-def: $vgpr153
	s_waitcnt vmcnt(0)
	ds_write_b128 v9, v[2:5]
	s_waitcnt lgkmcnt(0)
	; wave barrier
	s_waitcnt lgkmcnt(0)
	s_and_saveexec_b64 s[8:9], vcc
	s_cbranch_execz .LBB111_379
; %bb.372:
	ds_read_b128 v[2:5], v9
	s_andn2_b64 vcc, exec, s[6:7]
	s_cbranch_vccnz .LBB111_374
; %bb.373:
	scratch_load_dwordx4 v[154:157], v8, off
	s_waitcnt vmcnt(0) lgkmcnt(0)
	v_mul_f64 v[6:7], v[4:5], v[156:157]
	v_mul_f64 v[156:157], v[2:3], v[156:157]
	v_fmac_f64_e32 v[156:157], v[4:5], v[154:155]
	v_fma_f64 v[2:3], v[2:3], v[154:155], -v[6:7]
	v_mov_b64_e32 v[4:5], v[156:157]
.LBB111_374:
	s_and_saveexec_b64 s[4:5], s[0:1]
	s_cbranch_execz .LBB111_378
; %bb.375:
	v_mov_b32_e32 v7, 0
	v_add_u32_e32 v6, -1, v0
	v_add_u32_e32 v7, 24, v7
	s_movk_i32 s10, 0x310
	s_mov_b64 s[0:1], 0
.LBB111_376:                            ; =>This Inner Loop Header: Depth=1
	v_add_u32_e32 v153, -8, v7
	scratch_load_dwordx4 v[154:157], v153, off
	v_mov_b32_e32 v153, s10
	ds_read_b128 v[158:161], v153
	v_add_u32_e32 v6, -1, v6
	s_add_i32 s10, s10, 16
	v_cmp_eq_u32_e32 vcc, 0, v6
	v_add_u32_e32 v7, 16, v7
	s_or_b64 s[0:1], vcc, s[0:1]
	s_waitcnt vmcnt(0) lgkmcnt(0)
	v_mul_f64 v[162:163], v[160:161], v[156:157]
	v_mul_f64 v[156:157], v[158:159], v[156:157]
	v_fma_f64 v[158:159], v[158:159], v[154:155], -v[162:163]
	v_fmac_f64_e32 v[156:157], v[160:161], v[154:155]
	v_add_f64 v[2:3], v[2:3], v[158:159]
	v_add_f64 v[4:5], v[4:5], v[156:157]
	s_andn2_b64 exec, exec, s[0:1]
	s_cbranch_execnz .LBB111_376
; %bb.377:
	s_or_b64 exec, exec, s[0:1]
.LBB111_378:
	s_or_b64 exec, exec, s[4:5]
	v_mov_b32_e32 v6, 0
	ds_read_b128 v[154:157], v6
	v_mov_b32_e32 v6, 0
	v_or_b32_e32 v153, 8, v6
	s_mov_b64 s[4:5], exec
	s_waitcnt lgkmcnt(0)
	v_mul_f64 v[158:159], v[4:5], v[156:157]
	v_mul_f64 v[6:7], v[2:3], v[156:157]
	v_fma_f64 v[2:3], v[2:3], v[154:155], -v[158:159]
	v_fmac_f64_e32 v[6:7], v[4:5], v[154:155]
	scratch_store_dwordx2 off, v[2:3], off
.LBB111_379:
	s_or_b64 exec, exec, s[8:9]
	s_and_b64 vcc, exec, s[2:3]
	s_cbranch_vccnz .LBB111_381
	s_branch .LBB111_752
.LBB111_380:
	s_mov_b64 s[4:5], 0
                                        ; implicit-def: $vgpr6_vgpr7
                                        ; implicit-def: $vgpr153
	s_cbranch_execz .LBB111_752
.LBB111_381:
	scratch_load_dwordx4 v[2:5], v152, off
	v_cndmask_b32_e64 v6, 0, 1, s[6:7]
	v_cmp_eq_u32_e64 s[2:3], 0, v0
	v_cmp_ne_u32_e64 s[0:1], 1, v6
	s_waitcnt vmcnt(0)
	ds_write_b128 v9, v[2:5]
	s_waitcnt lgkmcnt(0)
	; wave barrier
	s_waitcnt lgkmcnt(0)
	s_and_saveexec_b64 s[6:7], s[2:3]
	s_cbranch_execz .LBB111_385
; %bb.382:
	ds_read_b128 v[2:5], v9
	s_and_b64 vcc, exec, s[0:1]
	s_cbranch_vccnz .LBB111_384
; %bb.383:
	scratch_load_dwordx4 v[154:157], v8, off
	s_waitcnt vmcnt(0) lgkmcnt(0)
	v_mul_f64 v[6:7], v[4:5], v[156:157]
	v_mul_f64 v[156:157], v[2:3], v[156:157]
	v_fmac_f64_e32 v[156:157], v[4:5], v[154:155]
	v_fma_f64 v[2:3], v[2:3], v[154:155], -v[6:7]
	v_mov_b64_e32 v[4:5], v[156:157]
.LBB111_384:
	v_mov_b32_e32 v6, 0
	ds_read_b128 v[154:157], v6 offset:16
	s_waitcnt lgkmcnt(0)
	v_mul_f64 v[6:7], v[4:5], v[156:157]
	v_mul_f64 v[158:159], v[2:3], v[156:157]
	v_fma_f64 v[156:157], v[2:3], v[154:155], -v[6:7]
	v_fmac_f64_e32 v[158:159], v[4:5], v[154:155]
	scratch_store_dwordx4 off, v[156:159], off offset:16
.LBB111_385:
	s_or_b64 exec, exec, s[6:7]
	scratch_load_dwordx4 v[2:5], v151, off
	v_cmp_gt_u32_e32 vcc, 2, v0
	s_waitcnt vmcnt(0)
	ds_write_b128 v9, v[2:5]
	s_waitcnt lgkmcnt(0)
	; wave barrier
	s_waitcnt lgkmcnt(0)
	s_and_saveexec_b64 s[6:7], vcc
	s_cbranch_execz .LBB111_391
; %bb.386:
	ds_read_b128 v[2:5], v9
	s_and_b64 vcc, exec, s[0:1]
	s_cbranch_vccnz .LBB111_388
; %bb.387:
	scratch_load_dwordx4 v[154:157], v8, off
	s_waitcnt vmcnt(0) lgkmcnt(0)
	v_mul_f64 v[6:7], v[4:5], v[156:157]
	v_mul_f64 v[156:157], v[2:3], v[156:157]
	v_fmac_f64_e32 v[156:157], v[4:5], v[154:155]
	v_fma_f64 v[2:3], v[2:3], v[154:155], -v[6:7]
	v_mov_b64_e32 v[4:5], v[156:157]
.LBB111_388:
	s_and_saveexec_b64 s[8:9], s[2:3]
	s_cbranch_execz .LBB111_390
; %bb.389:
	scratch_load_dwordx4 v[154:157], v8, off offset:16
	ds_read_b128 v[158:161], v9 offset:16
	s_waitcnt vmcnt(0) lgkmcnt(0)
	v_mul_f64 v[6:7], v[160:161], v[156:157]
	v_mul_f64 v[156:157], v[158:159], v[156:157]
	v_fma_f64 v[6:7], v[158:159], v[154:155], -v[6:7]
	v_fmac_f64_e32 v[156:157], v[160:161], v[154:155]
	v_add_f64 v[2:3], v[2:3], v[6:7]
	v_add_f64 v[4:5], v[4:5], v[156:157]
.LBB111_390:
	s_or_b64 exec, exec, s[8:9]
	v_mov_b32_e32 v6, 0
	ds_read_b128 v[154:157], v6 offset:32
	s_waitcnt lgkmcnt(0)
	v_mul_f64 v[6:7], v[4:5], v[156:157]
	v_mul_f64 v[158:159], v[2:3], v[156:157]
	v_fma_f64 v[156:157], v[2:3], v[154:155], -v[6:7]
	v_fmac_f64_e32 v[158:159], v[4:5], v[154:155]
	scratch_store_dwordx4 off, v[156:159], off offset:32
.LBB111_391:
	s_or_b64 exec, exec, s[6:7]
	scratch_load_dwordx4 v[2:5], v150, off
	v_cmp_gt_u32_e32 vcc, 3, v0
	s_waitcnt vmcnt(0)
	ds_write_b128 v9, v[2:5]
	s_waitcnt lgkmcnt(0)
	; wave barrier
	s_waitcnt lgkmcnt(0)
	s_and_saveexec_b64 s[6:7], vcc
	s_cbranch_execz .LBB111_399
; %bb.392:
	ds_read_b128 v[2:5], v9
	s_and_b64 vcc, exec, s[0:1]
	s_cbranch_vccnz .LBB111_394
; %bb.393:
	scratch_load_dwordx4 v[154:157], v8, off
	s_waitcnt vmcnt(0) lgkmcnt(0)
	v_mul_f64 v[6:7], v[4:5], v[156:157]
	v_mul_f64 v[156:157], v[2:3], v[156:157]
	v_fmac_f64_e32 v[156:157], v[4:5], v[154:155]
	v_fma_f64 v[2:3], v[2:3], v[154:155], -v[6:7]
	v_mov_b64_e32 v[4:5], v[156:157]
.LBB111_394:
	v_cmp_ne_u32_e32 vcc, 2, v0
	s_and_saveexec_b64 s[8:9], vcc
	s_cbranch_execz .LBB111_398
; %bb.395:
	scratch_load_dwordx4 v[154:157], v8, off offset:16
	ds_read_b128 v[158:161], v9 offset:16
	s_waitcnt vmcnt(0) lgkmcnt(0)
	v_mul_f64 v[6:7], v[160:161], v[156:157]
	v_mul_f64 v[156:157], v[158:159], v[156:157]
	v_fma_f64 v[6:7], v[158:159], v[154:155], -v[6:7]
	v_fmac_f64_e32 v[156:157], v[160:161], v[154:155]
	v_add_f64 v[2:3], v[2:3], v[6:7]
	v_add_f64 v[4:5], v[4:5], v[156:157]
	s_and_saveexec_b64 s[10:11], s[2:3]
	s_cbranch_execz .LBB111_397
; %bb.396:
	scratch_load_dwordx4 v[154:157], off, off offset:32
	v_mov_b32_e32 v6, 0
	ds_read_b128 v[158:161], v6 offset:800
	s_waitcnt vmcnt(0) lgkmcnt(0)
	v_mul_f64 v[6:7], v[158:159], v[156:157]
	v_mul_f64 v[156:157], v[160:161], v[156:157]
	v_fmac_f64_e32 v[6:7], v[160:161], v[154:155]
	v_fma_f64 v[154:155], v[158:159], v[154:155], -v[156:157]
	v_add_f64 v[4:5], v[4:5], v[6:7]
	v_add_f64 v[2:3], v[2:3], v[154:155]
.LBB111_397:
	s_or_b64 exec, exec, s[10:11]
.LBB111_398:
	s_or_b64 exec, exec, s[8:9]
	v_mov_b32_e32 v6, 0
	ds_read_b128 v[154:157], v6 offset:48
	s_waitcnt lgkmcnt(0)
	v_mul_f64 v[6:7], v[4:5], v[156:157]
	v_mul_f64 v[158:159], v[2:3], v[156:157]
	v_fma_f64 v[156:157], v[2:3], v[154:155], -v[6:7]
	v_fmac_f64_e32 v[158:159], v[4:5], v[154:155]
	scratch_store_dwordx4 off, v[156:159], off offset:48
.LBB111_399:
	s_or_b64 exec, exec, s[6:7]
	scratch_load_dwordx4 v[2:5], v149, off
	v_cmp_gt_u32_e32 vcc, 4, v0
	s_waitcnt vmcnt(0)
	ds_write_b128 v9, v[2:5]
	s_waitcnt lgkmcnt(0)
	; wave barrier
	s_waitcnt lgkmcnt(0)
	s_and_saveexec_b64 s[2:3], vcc
	s_cbranch_execz .LBB111_407
; %bb.400:
	ds_read_b128 v[2:5], v9
	s_and_b64 vcc, exec, s[0:1]
	s_cbranch_vccnz .LBB111_402
; %bb.401:
	scratch_load_dwordx4 v[154:157], v8, off
	s_waitcnt vmcnt(0) lgkmcnt(0)
	v_mul_f64 v[6:7], v[4:5], v[156:157]
	v_mul_f64 v[156:157], v[2:3], v[156:157]
	v_fmac_f64_e32 v[156:157], v[4:5], v[154:155]
	v_fma_f64 v[2:3], v[2:3], v[154:155], -v[6:7]
	v_mov_b64_e32 v[4:5], v[156:157]
.LBB111_402:
	v_cmp_ne_u32_e32 vcc, 3, v0
	s_and_saveexec_b64 s[6:7], vcc
	s_cbranch_execz .LBB111_406
; %bb.403:
	v_mov_b32_e32 v7, 0
	v_add_u32_e32 v6, 0x310, v92
	v_add3_u32 v7, v92, v7, 24
	s_mov_b64 s[8:9], 0
	v_mov_b32_e32 v153, v0
.LBB111_404:                            ; =>This Inner Loop Header: Depth=1
	v_add_u32_e32 v154, -8, v7
	scratch_load_dwordx4 v[154:157], v154, off
	ds_read_b128 v[158:161], v6
	v_add_u32_e32 v153, 1, v153
	v_cmp_lt_u32_e32 vcc, 2, v153
	v_add_u32_e32 v6, 16, v6
	v_add_u32_e32 v7, 16, v7
	s_or_b64 s[8:9], vcc, s[8:9]
	s_waitcnt vmcnt(0) lgkmcnt(0)
	v_mul_f64 v[162:163], v[160:161], v[156:157]
	v_mul_f64 v[156:157], v[158:159], v[156:157]
	v_fma_f64 v[158:159], v[158:159], v[154:155], -v[162:163]
	v_fmac_f64_e32 v[156:157], v[160:161], v[154:155]
	v_add_f64 v[2:3], v[2:3], v[158:159]
	v_add_f64 v[4:5], v[4:5], v[156:157]
	s_andn2_b64 exec, exec, s[8:9]
	s_cbranch_execnz .LBB111_404
; %bb.405:
	s_or_b64 exec, exec, s[8:9]
.LBB111_406:
	s_or_b64 exec, exec, s[6:7]
	v_mov_b32_e32 v6, 0
	ds_read_b128 v[154:157], v6 offset:64
	s_waitcnt lgkmcnt(0)
	v_mul_f64 v[6:7], v[4:5], v[156:157]
	v_mul_f64 v[158:159], v[2:3], v[156:157]
	v_fma_f64 v[156:157], v[2:3], v[154:155], -v[6:7]
	v_fmac_f64_e32 v[158:159], v[4:5], v[154:155]
	scratch_store_dwordx4 off, v[156:159], off offset:64
.LBB111_407:
	s_or_b64 exec, exec, s[2:3]
	scratch_load_dwordx4 v[2:5], v148, off
	v_cmp_gt_u32_e32 vcc, 5, v0
	s_waitcnt vmcnt(0)
	ds_write_b128 v9, v[2:5]
	s_waitcnt lgkmcnt(0)
	; wave barrier
	s_waitcnt lgkmcnt(0)
	s_and_saveexec_b64 s[2:3], vcc
	s_cbranch_execz .LBB111_415
; %bb.408:
	ds_read_b128 v[2:5], v9
	s_and_b64 vcc, exec, s[0:1]
	s_cbranch_vccnz .LBB111_410
; %bb.409:
	scratch_load_dwordx4 v[154:157], v8, off
	s_waitcnt vmcnt(0) lgkmcnt(0)
	v_mul_f64 v[6:7], v[4:5], v[156:157]
	v_mul_f64 v[156:157], v[2:3], v[156:157]
	v_fmac_f64_e32 v[156:157], v[4:5], v[154:155]
	v_fma_f64 v[2:3], v[2:3], v[154:155], -v[6:7]
	v_mov_b64_e32 v[4:5], v[156:157]
.LBB111_410:
	v_cmp_ne_u32_e32 vcc, 4, v0
	s_and_saveexec_b64 s[6:7], vcc
	s_cbranch_execz .LBB111_414
; %bb.411:
	v_mov_b32_e32 v7, 0
	v_add_u32_e32 v6, 0x310, v92
	v_add3_u32 v7, v92, v7, 24
	s_mov_b64 s[8:9], 0
	v_mov_b32_e32 v153, v0
.LBB111_412:                            ; =>This Inner Loop Header: Depth=1
	v_add_u32_e32 v154, -8, v7
	scratch_load_dwordx4 v[154:157], v154, off
	ds_read_b128 v[158:161], v6
	v_add_u32_e32 v153, 1, v153
	v_cmp_lt_u32_e32 vcc, 3, v153
	v_add_u32_e32 v6, 16, v6
	v_add_u32_e32 v7, 16, v7
	s_or_b64 s[8:9], vcc, s[8:9]
	s_waitcnt vmcnt(0) lgkmcnt(0)
	v_mul_f64 v[162:163], v[160:161], v[156:157]
	v_mul_f64 v[156:157], v[158:159], v[156:157]
	v_fma_f64 v[158:159], v[158:159], v[154:155], -v[162:163]
	v_fmac_f64_e32 v[156:157], v[160:161], v[154:155]
	v_add_f64 v[2:3], v[2:3], v[158:159]
	v_add_f64 v[4:5], v[4:5], v[156:157]
	s_andn2_b64 exec, exec, s[8:9]
	s_cbranch_execnz .LBB111_412
; %bb.413:
	s_or_b64 exec, exec, s[8:9]
.LBB111_414:
	s_or_b64 exec, exec, s[6:7]
	v_mov_b32_e32 v6, 0
	ds_read_b128 v[154:157], v6 offset:80
	s_waitcnt lgkmcnt(0)
	v_mul_f64 v[6:7], v[4:5], v[156:157]
	v_mul_f64 v[158:159], v[2:3], v[156:157]
	v_fma_f64 v[156:157], v[2:3], v[154:155], -v[6:7]
	v_fmac_f64_e32 v[158:159], v[4:5], v[154:155]
	scratch_store_dwordx4 off, v[156:159], off offset:80
.LBB111_415:
	;; [unrolled: 63-line block ×42, first 2 shown]
	s_or_b64 exec, exec, s[2:3]
	scratch_load_dwordx4 v[2:5], v10, off
	v_cmp_gt_u32_e64 s[2:3], 46, v0
	s_waitcnt vmcnt(0)
	ds_write_b128 v9, v[2:5]
	s_waitcnt lgkmcnt(0)
	; wave barrier
	s_waitcnt lgkmcnt(0)
	s_and_saveexec_b64 s[6:7], s[2:3]
	s_cbranch_execz .LBB111_743
; %bb.736:
	ds_read_b128 v[2:5], v9
	s_and_b64 vcc, exec, s[0:1]
	s_cbranch_vccnz .LBB111_738
; %bb.737:
	scratch_load_dwordx4 v[154:157], v8, off
	s_waitcnt vmcnt(0) lgkmcnt(0)
	v_mul_f64 v[6:7], v[4:5], v[156:157]
	v_mul_f64 v[156:157], v[2:3], v[156:157]
	v_fmac_f64_e32 v[156:157], v[4:5], v[154:155]
	v_fma_f64 v[2:3], v[2:3], v[154:155], -v[6:7]
	v_mov_b64_e32 v[4:5], v[156:157]
.LBB111_738:
	v_cmp_ne_u32_e32 vcc, 45, v0
	s_and_saveexec_b64 s[8:9], vcc
	s_cbranch_execz .LBB111_742
; %bb.739:
	v_mov_b32_e32 v7, 0
	v_add_u32_e32 v6, 0x310, v92
	v_add3_u32 v7, v92, v7, 24
	s_mov_b64 s[10:11], 0
	v_mov_b32_e32 v153, v0
.LBB111_740:                            ; =>This Inner Loop Header: Depth=1
	v_add_u32_e32 v154, -8, v7
	scratch_load_dwordx4 v[154:157], v154, off
	ds_read_b128 v[158:161], v6
	v_add_u32_e32 v153, 1, v153
	v_cmp_lt_u32_e32 vcc, 44, v153
	v_add_u32_e32 v6, 16, v6
	v_add_u32_e32 v7, 16, v7
	s_or_b64 s[10:11], vcc, s[10:11]
	s_waitcnt vmcnt(0) lgkmcnt(0)
	v_mul_f64 v[162:163], v[160:161], v[156:157]
	v_mul_f64 v[156:157], v[158:159], v[156:157]
	v_fma_f64 v[158:159], v[158:159], v[154:155], -v[162:163]
	v_fmac_f64_e32 v[156:157], v[160:161], v[154:155]
	v_add_f64 v[2:3], v[2:3], v[158:159]
	v_add_f64 v[4:5], v[4:5], v[156:157]
	s_andn2_b64 exec, exec, s[10:11]
	s_cbranch_execnz .LBB111_740
; %bb.741:
	s_or_b64 exec, exec, s[10:11]
.LBB111_742:
	s_or_b64 exec, exec, s[8:9]
	v_mov_b32_e32 v6, 0
	ds_read_b128 v[154:157], v6 offset:736
	s_waitcnt lgkmcnt(0)
	v_mul_f64 v[6:7], v[4:5], v[156:157]
	v_mul_f64 v[158:159], v[2:3], v[156:157]
	v_fma_f64 v[156:157], v[2:3], v[154:155], -v[6:7]
	v_fmac_f64_e32 v[158:159], v[4:5], v[154:155]
	scratch_store_dwordx4 off, v[156:159], off offset:736
.LBB111_743:
	s_or_b64 exec, exec, s[6:7]
	scratch_load_dwordx4 v[2:5], v1, off
	v_cmp_ne_u32_e32 vcc, 47, v0
                                        ; implicit-def: $vgpr6_vgpr7
                                        ; implicit-def: $vgpr153
	s_waitcnt vmcnt(0)
	ds_write_b128 v9, v[2:5]
	s_waitcnt lgkmcnt(0)
	; wave barrier
	s_waitcnt lgkmcnt(0)
	s_and_saveexec_b64 s[6:7], vcc
	s_cbranch_execz .LBB111_751
; %bb.744:
	ds_read_b128 v[2:5], v9
	s_and_b64 vcc, exec, s[0:1]
	s_cbranch_vccnz .LBB111_746
; %bb.745:
	scratch_load_dwordx4 v[6:9], v8, off
	s_waitcnt vmcnt(0) lgkmcnt(0)
	v_mul_f64 v[154:155], v[4:5], v[8:9]
	v_mul_f64 v[8:9], v[2:3], v[8:9]
	v_fmac_f64_e32 v[8:9], v[4:5], v[6:7]
	v_fma_f64 v[2:3], v[2:3], v[6:7], -v[154:155]
	v_mov_b64_e32 v[4:5], v[8:9]
.LBB111_746:
	s_and_saveexec_b64 s[0:1], s[2:3]
	s_cbranch_execz .LBB111_750
; %bb.747:
	v_mov_b32_e32 v7, 0
	v_add_u32_e32 v6, 0x310, v92
	v_add3_u32 v7, v92, v7, 24
	s_mov_b64 s[2:3], 0
.LBB111_748:                            ; =>This Inner Loop Header: Depth=1
	v_add_u32_e32 v8, -8, v7
	scratch_load_dwordx4 v[154:157], v8, off
	ds_read_b128 v[158:161], v6
	v_add_u32_e32 v0, 1, v0
	v_cmp_lt_u32_e32 vcc, 45, v0
	v_add_u32_e32 v6, 16, v6
	v_add_u32_e32 v7, 16, v7
	s_or_b64 s[2:3], vcc, s[2:3]
	s_waitcnt vmcnt(0) lgkmcnt(0)
	v_mul_f64 v[8:9], v[160:161], v[156:157]
	v_mul_f64 v[156:157], v[158:159], v[156:157]
	v_fma_f64 v[8:9], v[158:159], v[154:155], -v[8:9]
	v_fmac_f64_e32 v[156:157], v[160:161], v[154:155]
	v_add_f64 v[2:3], v[2:3], v[8:9]
	v_add_f64 v[4:5], v[4:5], v[156:157]
	s_andn2_b64 exec, exec, s[2:3]
	s_cbranch_execnz .LBB111_748
; %bb.749:
	s_or_b64 exec, exec, s[2:3]
.LBB111_750:
	s_or_b64 exec, exec, s[0:1]
	v_mov_b32_e32 v0, 0
	ds_read_b128 v[154:157], v0 offset:752
	v_mov_b32_e32 v0, 0
	v_add_u32_e32 v153, 0x2f8, v0
	s_or_b64 s[4:5], s[4:5], exec
	s_waitcnt lgkmcnt(0)
	v_mul_f64 v[8:9], v[4:5], v[156:157]
	v_mul_f64 v[6:7], v[2:3], v[156:157]
	v_fma_f64 v[2:3], v[2:3], v[154:155], -v[8:9]
	v_fmac_f64_e32 v[6:7], v[4:5], v[154:155]
	scratch_store_dwordx2 off, v[2:3], off offset:752
.LBB111_751:
	s_or_b64 exec, exec, s[6:7]
.LBB111_752:
	s_and_saveexec_b64 s[0:1], s[4:5]
	s_cbranch_execz .LBB111_754
; %bb.753:
	scratch_store_dwordx2 v153, v[6:7], off
.LBB111_754:
	s_or_b64 exec, exec, s[0:1]
	scratch_load_dwordx4 v[2:5], off, off
	scratch_load_dwordx4 v[6:9], v152, off
	s_nop 0
	scratch_load_dwordx4 v[152:155], v151, off
	scratch_load_dwordx4 v[156:159], v150, off
	;; [unrolled: 1-line block ×3, first 2 shown]
	s_nop 0
	scratch_load_dwordx4 v[148:151], v148, off
	s_waitcnt vmcnt(5)
	global_store_dwordx4 v[24:25], v[2:5], off
	scratch_load_dwordx4 v[2:5], v147, off
	s_nop 0
	scratch_load_dwordx4 v[164:167], v146, off
	s_waitcnt vmcnt(7)
	global_store_dwordx4 v[18:19], v[6:9], off
	scratch_load_dwordx4 v[6:9], v145, off
	;; [unrolled: 5-line block ×21, first 2 shown]
	s_nop 0
	scratch_load_dwordx4 v[172:175], v1, off
	s_waitcnt vmcnt(39)
	global_store_dwordx4 v[50:51], v[132:135], off
	s_waitcnt vmcnt(38)
	global_store_dwordx4 v[54:55], v[6:9], off
	;; [unrolled: 2-line block ×27, first 2 shown]
.LBB111_755:
	s_endpgm
	.section	.rodata,"a",@progbits
	.p2align	6, 0x0
	.amdhsa_kernel _ZN9rocsolver6v33100L18trti2_kernel_smallILi48E19rocblas_complex_numIdEPKPS3_EEv13rocblas_fill_17rocblas_diagonal_T1_iil
		.amdhsa_group_segment_fixed_size 1536
		.amdhsa_private_segment_fixed_size 784
		.amdhsa_kernarg_size 32
		.amdhsa_user_sgpr_count 2
		.amdhsa_user_sgpr_dispatch_ptr 0
		.amdhsa_user_sgpr_queue_ptr 0
		.amdhsa_user_sgpr_kernarg_segment_ptr 1
		.amdhsa_user_sgpr_dispatch_id 0
		.amdhsa_user_sgpr_kernarg_preload_length 0
		.amdhsa_user_sgpr_kernarg_preload_offset 0
		.amdhsa_user_sgpr_private_segment_size 0
		.amdhsa_uses_dynamic_stack 0
		.amdhsa_enable_private_segment 1
		.amdhsa_system_sgpr_workgroup_id_x 1
		.amdhsa_system_sgpr_workgroup_id_y 0
		.amdhsa_system_sgpr_workgroup_id_z 0
		.amdhsa_system_sgpr_workgroup_info 0
		.amdhsa_system_vgpr_workitem_id 0
		.amdhsa_next_free_vgpr 176
		.amdhsa_next_free_sgpr 12
		.amdhsa_accum_offset 176
		.amdhsa_reserve_vcc 1
		.amdhsa_float_round_mode_32 0
		.amdhsa_float_round_mode_16_64 0
		.amdhsa_float_denorm_mode_32 3
		.amdhsa_float_denorm_mode_16_64 3
		.amdhsa_dx10_clamp 1
		.amdhsa_ieee_mode 1
		.amdhsa_fp16_overflow 0
		.amdhsa_tg_split 0
		.amdhsa_exception_fp_ieee_invalid_op 0
		.amdhsa_exception_fp_denorm_src 0
		.amdhsa_exception_fp_ieee_div_zero 0
		.amdhsa_exception_fp_ieee_overflow 0
		.amdhsa_exception_fp_ieee_underflow 0
		.amdhsa_exception_fp_ieee_inexact 0
		.amdhsa_exception_int_div_zero 0
	.end_amdhsa_kernel
	.section	.text._ZN9rocsolver6v33100L18trti2_kernel_smallILi48E19rocblas_complex_numIdEPKPS3_EEv13rocblas_fill_17rocblas_diagonal_T1_iil,"axG",@progbits,_ZN9rocsolver6v33100L18trti2_kernel_smallILi48E19rocblas_complex_numIdEPKPS3_EEv13rocblas_fill_17rocblas_diagonal_T1_iil,comdat
.Lfunc_end111:
	.size	_ZN9rocsolver6v33100L18trti2_kernel_smallILi48E19rocblas_complex_numIdEPKPS3_EEv13rocblas_fill_17rocblas_diagonal_T1_iil, .Lfunc_end111-_ZN9rocsolver6v33100L18trti2_kernel_smallILi48E19rocblas_complex_numIdEPKPS3_EEv13rocblas_fill_17rocblas_diagonal_T1_iil
                                        ; -- End function
	.section	.AMDGPU.csdata,"",@progbits
; Kernel info:
; codeLenInByte = 31660
; NumSgprs: 18
; NumVgprs: 176
; NumAgprs: 0
; TotalNumVgprs: 176
; ScratchSize: 784
; MemoryBound: 0
; FloatMode: 240
; IeeeMode: 1
; LDSByteSize: 1536 bytes/workgroup (compile time only)
; SGPRBlocks: 2
; VGPRBlocks: 21
; NumSGPRsForWavesPerEU: 18
; NumVGPRsForWavesPerEU: 176
; AccumOffset: 176
; Occupancy: 2
; WaveLimiterHint : 1
; COMPUTE_PGM_RSRC2:SCRATCH_EN: 1
; COMPUTE_PGM_RSRC2:USER_SGPR: 2
; COMPUTE_PGM_RSRC2:TRAP_HANDLER: 0
; COMPUTE_PGM_RSRC2:TGID_X_EN: 1
; COMPUTE_PGM_RSRC2:TGID_Y_EN: 0
; COMPUTE_PGM_RSRC2:TGID_Z_EN: 0
; COMPUTE_PGM_RSRC2:TIDIG_COMP_CNT: 0
; COMPUTE_PGM_RSRC3_GFX90A:ACCUM_OFFSET: 43
; COMPUTE_PGM_RSRC3_GFX90A:TG_SPLIT: 0
	.section	.text._ZN9rocsolver6v33100L18trti2_kernel_smallILi49E19rocblas_complex_numIdEPKPS3_EEv13rocblas_fill_17rocblas_diagonal_T1_iil,"axG",@progbits,_ZN9rocsolver6v33100L18trti2_kernel_smallILi49E19rocblas_complex_numIdEPKPS3_EEv13rocblas_fill_17rocblas_diagonal_T1_iil,comdat
	.globl	_ZN9rocsolver6v33100L18trti2_kernel_smallILi49E19rocblas_complex_numIdEPKPS3_EEv13rocblas_fill_17rocblas_diagonal_T1_iil ; -- Begin function _ZN9rocsolver6v33100L18trti2_kernel_smallILi49E19rocblas_complex_numIdEPKPS3_EEv13rocblas_fill_17rocblas_diagonal_T1_iil
	.p2align	8
	.type	_ZN9rocsolver6v33100L18trti2_kernel_smallILi49E19rocblas_complex_numIdEPKPS3_EEv13rocblas_fill_17rocblas_diagonal_T1_iil,@function
_ZN9rocsolver6v33100L18trti2_kernel_smallILi49E19rocblas_complex_numIdEPKPS3_EEv13rocblas_fill_17rocblas_diagonal_T1_iil: ; @_ZN9rocsolver6v33100L18trti2_kernel_smallILi49E19rocblas_complex_numIdEPKPS3_EEv13rocblas_fill_17rocblas_diagonal_T1_iil
; %bb.0:
	v_cmp_gt_u32_e32 vcc, 49, v0
	s_and_saveexec_b64 s[4:5], vcc
	s_cbranch_execz .LBB112_771
; %bb.1:
	s_load_dwordx2 s[8:9], s[0:1], 0x10
	s_load_dwordx4 s[4:7], s[0:1], 0x0
	s_ashr_i32 s3, s2, 31
	s_lshl_b64 s[0:1], s[2:3], 3
	v_lshlrev_b32_e32 v72, 4, v0
	s_waitcnt lgkmcnt(0)
	s_ashr_i32 s3, s8, 31
	s_add_u32 s0, s6, s0
	s_addc_u32 s1, s7, s1
	s_load_dwordx2 s[0:1], s[0:1], 0x0
	s_mov_b32 s2, s8
	s_lshl_b64 s[2:3], s[2:3], 4
	v_mov_b32_e32 v73, 0
	v_mov_b32_e32 v1, 0
	s_waitcnt lgkmcnt(0)
	s_add_u32 s0, s0, s2
	s_addc_u32 s1, s1, s3
	v_lshl_add_u64 v[22:23], s[0:1], 0, v[72:73]
	s_ashr_i32 s3, s9, 31
	s_mov_b32 s2, s9
	v_lshl_add_u64 v[24:25], s[2:3], 4, v[22:23]
	s_add_i32 s2, s9, s9
	v_add_u32_e32 v2, s2, v0
	v_ashrrev_i32_e32 v3, 31, v2
	v_lshl_add_u64 v[26:27], v[2:3], 4, s[0:1]
	v_add_u32_e32 v2, s9, v2
	v_ashrrev_i32_e32 v3, 31, v2
	v_lshl_add_u64 v[28:29], v[2:3], 4, s[0:1]
	;; [unrolled: 3-line block ×6, first 2 shown]
	v_add_u32_e32 v2, s9, v2
	v_ashrrev_i32_e32 v3, 31, v2
	v_add_u32_e32 v4, s9, v2
	v_lshl_add_u64 v[6:7], v[2:3], 4, s[0:1]
	v_ashrrev_i32_e32 v5, 31, v4
	v_add_u32_e32 v2, s9, v4
	v_lshl_add_u64 v[40:41], v[4:5], 4, s[0:1]
	v_ashrrev_i32_e32 v3, 31, v2
	global_load_dwordx4 v[64:67], v72, s[0:1]
	global_load_dwordx4 v[68:71], v[24:25], off
	global_load_dwordx4 v[74:77], v[26:27], off
	;; [unrolled: 1-line block ×8, first 2 shown]
	v_lshl_add_u64 v[42:43], v[2:3], 4, s[0:1]
	global_load_dwordx4 v[102:105], v[40:41], off
	global_load_dwordx4 v[106:109], v[42:43], off
	v_add_u32_e32 v4, s9, v2
	v_ashrrev_i32_e32 v5, 31, v4
	v_lshl_add_u64 v[44:45], v[4:5], 4, s[0:1]
	global_load_dwordx4 v[110:113], v[44:45], off
	v_accvgpr_write_b32 a0, v6
	v_add_u32_e32 v2, s9, v4
	v_accvgpr_write_b32 a1, v7
	v_add_u32_e32 v6, s9, v2
	v_add_u32_e32 v8, s9, v6
	;; [unrolled: 1-line block ×5, first 2 shown]
	v_ashrrev_i32_e32 v35, 31, v34
	v_add_u32_e32 v38, s9, v34
	v_lshl_add_u64 v[56:57], v[34:35], 4, s[0:1]
	v_ashrrev_i32_e32 v39, 31, v38
	v_add_u32_e32 v34, s9, v38
	v_lshl_add_u64 v[58:59], v[38:39], 4, s[0:1]
	v_ashrrev_i32_e32 v35, 31, v34
	v_add_u32_e32 v38, s9, v34
	v_ashrrev_i32_e32 v3, 31, v2
	v_ashrrev_i32_e32 v7, 31, v6
	;; [unrolled: 1-line block ×3, first 2 shown]
	v_lshl_add_u64 v[60:61], v[34:35], 4, s[0:1]
	v_add_u32_e32 v34, s9, v38
	v_lshl_add_u64 v[46:47], v[2:3], 4, s[0:1]
	global_load_dwordx4 v[2:5], v[46:47], off
	v_lshl_add_u64 v[48:49], v[6:7], 4, s[0:1]
	v_ashrrev_i32_e32 v9, 31, v8
	v_lshl_add_u64 v[52:53], v[14:15], 4, s[0:1]
	v_ashrrev_i32_e32 v17, 31, v16
	v_ashrrev_i32_e32 v35, 31, v34
	v_lshl_add_u64 v[50:51], v[8:9], 4, s[0:1]
	global_load_dwordx4 v[6:9], v[48:49], off
	global_load_dwordx4 v[10:13], v[50:51], off
	v_lshl_add_u64 v[54:55], v[16:17], 4, s[0:1]
	global_load_dwordx4 v[14:17], v[52:53], off
	global_load_dwordx4 v[18:21], v[54:55], off
	;; [unrolled: 1-line block ×4, first 2 shown]
	v_ashrrev_i32_e32 v39, 31, v38
	v_lshl_add_u64 v[62:63], v[38:39], 4, s[0:1]
	s_cmpk_lg_i32 s5, 0x84
	s_cselect_b64 s[6:7], -1, 0
	s_cmpk_eq_i32 s5, 0x84
	s_waitcnt vmcnt(18)
	scratch_store_dwordx4 off, v[64:67], off
	s_waitcnt vmcnt(18)
	scratch_store_dwordx4 off, v[68:71], off offset:16
	s_waitcnt vmcnt(18)
	scratch_store_dwordx4 off, v[74:77], off offset:32
	;; [unrolled: 2-line block ×11, first 2 shown]
	v_lshl_add_u64 v[64:65], v[34:35], 4, s[0:1]
	v_add_u32_e32 v34, s9, v34
	v_ashrrev_i32_e32 v35, 31, v34
	v_lshl_add_u64 v[66:67], v[34:35], 4, s[0:1]
	v_add_u32_e32 v34, s9, v34
	v_ashrrev_i32_e32 v35, 31, v34
	;; [unrolled: 3-line block ×27, first 2 shown]
	global_load_dwordx4 v[130:133], v[60:61], off
	global_load_dwordx4 v[134:137], v[62:63], off
	;; [unrolled: 1-line block ×28, first 2 shown]
	v_lshl_add_u64 v[120:121], v[34:35], 4, s[0:1]
	global_load_dwordx4 v[242:245], v[118:119], off
	global_load_dwordx4 v[246:249], v[120:121], off
	s_waitcnt vmcnt(48)
	scratch_store_dwordx4 off, v[2:5], off offset:192
	s_waitcnt vmcnt(48)
	scratch_store_dwordx4 off, v[6:9], off offset:208
	;; [unrolled: 2-line block ×37, first 2 shown]
	s_cbranch_scc1 .LBB112_7
; %bb.2:
	scratch_load_dwordx4 v[8:11], v72, off
                                        ; implicit-def: $vgpr6_vgpr7
	s_waitcnt vmcnt(0)
	v_xor_b32_e32 v3, 0x80000000, v9
	v_cmp_gt_f64_e32 vcc, 0, v[8:9]
	v_xor_b32_e32 v4, 0x80000000, v11
	v_mov_b32_e32 v2, v8
	v_cndmask_b32_e32 v3, v9, v3, vcc
	v_cmp_gt_f64_e32 vcc, 0, v[10:11]
	s_nop 1
	v_cndmask_b32_e32 v5, v11, v4, vcc
	v_mov_b32_e32 v4, v10
	v_cmp_ngt_f64_e32 vcc, v[2:3], v[4:5]
                                        ; implicit-def: $vgpr2_vgpr3
	s_and_saveexec_b64 s[0:1], vcc
	s_xor_b64 s[0:1], exec, s[0:1]
	s_cbranch_execz .LBB112_4
; %bb.3:
	v_div_scale_f64 v[2:3], s[2:3], v[10:11], v[10:11], v[8:9]
	v_rcp_f64_e32 v[4:5], v[2:3]
	v_div_scale_f64 v[6:7], vcc, v[8:9], v[10:11], v[8:9]
	v_fma_f64 v[12:13], -v[2:3], v[4:5], 1.0
	v_fmac_f64_e32 v[4:5], v[4:5], v[12:13]
	v_fma_f64 v[12:13], -v[2:3], v[4:5], 1.0
	v_fmac_f64_e32 v[4:5], v[4:5], v[12:13]
	v_mul_f64 v[12:13], v[6:7], v[4:5]
	v_fma_f64 v[2:3], -v[2:3], v[12:13], v[6:7]
	v_div_fmas_f64 v[2:3], v[2:3], v[4:5], v[12:13]
	v_div_fixup_f64 v[2:3], v[2:3], v[10:11], v[8:9]
	v_fmac_f64_e32 v[10:11], v[8:9], v[2:3]
	v_div_scale_f64 v[4:5], s[2:3], v[10:11], v[10:11], 1.0
	v_rcp_f64_e32 v[6:7], v[4:5]
	s_nop 0
	v_fma_f64 v[8:9], -v[4:5], v[6:7], 1.0
	v_fmac_f64_e32 v[6:7], v[6:7], v[8:9]
	v_fma_f64 v[8:9], -v[4:5], v[6:7], 1.0
	v_fmac_f64_e32 v[6:7], v[6:7], v[8:9]
	v_div_scale_f64 v[8:9], vcc, 1.0, v[10:11], 1.0
	v_mul_f64 v[12:13], v[8:9], v[6:7]
	v_fma_f64 v[4:5], -v[4:5], v[12:13], v[8:9]
                                        ; implicit-def: $vgpr8_vgpr9
	s_nop 1
	v_div_fmas_f64 v[4:5], v[4:5], v[6:7], v[12:13]
	v_div_fixup_f64 v[4:5], v[4:5], v[10:11], 1.0
	v_mul_f64 v[2:3], v[2:3], v[4:5]
	v_xor_b32_e32 v5, 0x80000000, v5
	v_xor_b32_e32 v7, 0x80000000, v3
	v_mov_b32_e32 v6, v2
.LBB112_4:
	s_or_saveexec_b64 s[0:1], s[0:1]
	v_add_u32_e32 v12, 0, v72
	s_xor_b64 exec, exec, s[0:1]
	s_cbranch_execz .LBB112_6
; %bb.5:
	v_div_scale_f64 v[2:3], s[2:3], v[8:9], v[8:9], v[10:11]
	v_rcp_f64_e32 v[4:5], v[2:3]
	v_div_scale_f64 v[6:7], vcc, v[10:11], v[8:9], v[10:11]
	v_fma_f64 v[14:15], -v[2:3], v[4:5], 1.0
	v_fmac_f64_e32 v[4:5], v[4:5], v[14:15]
	v_fma_f64 v[14:15], -v[2:3], v[4:5], 1.0
	v_fmac_f64_e32 v[4:5], v[4:5], v[14:15]
	v_mul_f64 v[14:15], v[6:7], v[4:5]
	v_fma_f64 v[2:3], -v[2:3], v[14:15], v[6:7]
	v_div_fmas_f64 v[2:3], v[2:3], v[4:5], v[14:15]
	v_div_fixup_f64 v[4:5], v[2:3], v[8:9], v[10:11]
	v_fmac_f64_e32 v[8:9], v[10:11], v[4:5]
	v_div_scale_f64 v[2:3], s[2:3], v[8:9], v[8:9], 1.0
	v_rcp_f64_e32 v[6:7], v[2:3]
	s_nop 0
	v_fma_f64 v[10:11], -v[2:3], v[6:7], 1.0
	v_fmac_f64_e32 v[6:7], v[6:7], v[10:11]
	v_fma_f64 v[10:11], -v[2:3], v[6:7], 1.0
	v_fmac_f64_e32 v[6:7], v[6:7], v[10:11]
	v_div_scale_f64 v[10:11], vcc, 1.0, v[8:9], 1.0
	v_mul_f64 v[14:15], v[10:11], v[6:7]
	v_fma_f64 v[2:3], -v[2:3], v[14:15], v[10:11]
	s_nop 1
	v_div_fmas_f64 v[2:3], v[2:3], v[6:7], v[14:15]
	v_div_fixup_f64 v[2:3], v[2:3], v[8:9], 1.0
	v_xor_b32_e32 v7, 0x80000000, v3
	v_mov_b32_e32 v6, v2
	v_mul_f64 v[4:5], v[4:5], -v[2:3]
.LBB112_6:
	s_or_b64 exec, exec, s[0:1]
	scratch_store_dwordx4 v12, v[2:5], off
	s_nop 1
	v_xor_b32_e32 v5, 0x80000000, v5
	s_branch .LBB112_8
.LBB112_7:
	v_mov_b64_e32 v[4:5], 0
	v_mov_b64_e32 v[6:7], -1.0
.LBB112_8:
	v_mov_b32_e32 v8, v4
	v_mov_b32_e32 v9, v5
	v_add_u32_e32 v155, 16, v1
	v_add_u32_e32 v154, 32, v1
	;; [unrolled: 1-line block ×48, first 2 shown]
	ds_write_b128 v72, v[6:9]
	s_cmpk_eq_i32 s4, 0x79
	v_add_u32_e32 v9, 0x310, v72
	v_add_u32_e32 v8, 0, v72
	s_cbranch_scc1 .LBB112_388
; %bb.9:
	scratch_load_dwordx4 v[2:5], v38, off
	v_cmp_eq_u32_e64 s[0:1], 48, v0
	s_waitcnt vmcnt(0)
	ds_write_b128 v9, v[2:5]
	s_waitcnt lgkmcnt(0)
	; wave barrier
	s_waitcnt lgkmcnt(0)
	s_and_saveexec_b64 s[2:3], s[0:1]
	s_cbranch_execz .LBB112_13
; %bb.10:
	ds_read_b128 v[2:5], v9
	s_andn2_b64 vcc, exec, s[6:7]
	s_cbranch_vccnz .LBB112_12
; %bb.11:
	scratch_load_dwordx4 v[156:159], v8, off
	s_waitcnt vmcnt(0) lgkmcnt(0)
	v_mul_f64 v[10:11], v[2:3], v[158:159]
	v_mul_f64 v[6:7], v[4:5], v[158:159]
	v_fmac_f64_e32 v[10:11], v[4:5], v[156:157]
	v_fma_f64 v[2:3], v[2:3], v[156:157], -v[6:7]
	v_mov_b64_e32 v[4:5], v[10:11]
.LBB112_12:
	v_mov_b32_e32 v6, 0
	ds_read_b128 v[156:159], v6 offset:752
	s_waitcnt lgkmcnt(0)
	v_mul_f64 v[6:7], v[4:5], v[158:159]
	v_mul_f64 v[160:161], v[2:3], v[158:159]
	v_fma_f64 v[158:159], v[2:3], v[156:157], -v[6:7]
	v_fmac_f64_e32 v[160:161], v[4:5], v[156:157]
	scratch_store_dwordx4 off, v[158:161], off offset:752
.LBB112_13:
	s_or_b64 exec, exec, s[2:3]
	scratch_load_dwordx4 v[2:5], v34, off
	v_cmp_lt_u32_e64 s[2:3], 46, v0
	s_waitcnt vmcnt(0)
	ds_write_b128 v9, v[2:5]
	s_waitcnt lgkmcnt(0)
	; wave barrier
	s_waitcnt lgkmcnt(0)
	s_and_saveexec_b64 s[4:5], s[2:3]
	s_cbranch_execz .LBB112_19
; %bb.14:
	ds_read_b128 v[2:5], v9
	s_andn2_b64 vcc, exec, s[6:7]
	s_cbranch_vccnz .LBB112_16
; %bb.15:
	scratch_load_dwordx4 v[156:159], v8, off
	s_waitcnt vmcnt(0) lgkmcnt(0)
	v_mul_f64 v[10:11], v[2:3], v[158:159]
	v_mul_f64 v[6:7], v[4:5], v[158:159]
	v_fmac_f64_e32 v[10:11], v[4:5], v[156:157]
	v_fma_f64 v[2:3], v[2:3], v[156:157], -v[6:7]
	v_mov_b64_e32 v[4:5], v[10:11]
.LBB112_16:
	s_and_saveexec_b64 s[8:9], s[0:1]
	s_cbranch_execz .LBB112_18
; %bb.17:
	scratch_load_dwordx4 v[156:159], off, off offset:752
	v_mov_b32_e32 v6, 0
	ds_read_b128 v[160:163], v6 offset:1536
	s_waitcnt vmcnt(0) lgkmcnt(0)
	v_mul_f64 v[6:7], v[160:161], v[158:159]
	v_mul_f64 v[10:11], v[162:163], v[158:159]
	v_fmac_f64_e32 v[6:7], v[162:163], v[156:157]
	v_fma_f64 v[10:11], v[160:161], v[156:157], -v[10:11]
	v_add_f64 v[4:5], v[4:5], v[6:7]
	v_add_f64 v[2:3], v[2:3], v[10:11]
.LBB112_18:
	s_or_b64 exec, exec, s[8:9]
	v_mov_b32_e32 v6, 0
	ds_read_b128 v[156:159], v6 offset:736
	s_waitcnt lgkmcnt(0)
	v_mul_f64 v[6:7], v[4:5], v[158:159]
	v_mul_f64 v[160:161], v[2:3], v[158:159]
	v_fma_f64 v[158:159], v[2:3], v[156:157], -v[6:7]
	v_fmac_f64_e32 v[160:161], v[4:5], v[156:157]
	scratch_store_dwordx4 off, v[158:161], off offset:736
.LBB112_19:
	s_or_b64 exec, exec, s[4:5]
	scratch_load_dwordx4 v[2:5], v35, off
	v_cmp_lt_u32_e64 s[0:1], 45, v0
	s_waitcnt vmcnt(0)
	ds_write_b128 v9, v[2:5]
	s_waitcnt lgkmcnt(0)
	; wave barrier
	s_waitcnt lgkmcnt(0)
	s_and_saveexec_b64 s[4:5], s[0:1]
	s_cbranch_execz .LBB112_27
; %bb.20:
	ds_read_b128 v[2:5], v9
	s_andn2_b64 vcc, exec, s[6:7]
	s_cbranch_vccnz .LBB112_22
; %bb.21:
	scratch_load_dwordx4 v[156:159], v8, off
	s_waitcnt vmcnt(0) lgkmcnt(0)
	v_mul_f64 v[10:11], v[2:3], v[158:159]
	v_mul_f64 v[6:7], v[4:5], v[158:159]
	v_fmac_f64_e32 v[10:11], v[4:5], v[156:157]
	v_fma_f64 v[2:3], v[2:3], v[156:157], -v[6:7]
	v_mov_b64_e32 v[4:5], v[10:11]
.LBB112_22:
	s_and_saveexec_b64 s[8:9], s[2:3]
	s_cbranch_execz .LBB112_26
; %bb.23:
	v_mov_b32_e32 v7, 0
	v_subrev_u32_e32 v6, 46, v0
	v_add_u32_e32 v7, 0x2e8, v7
	s_movk_i32 s10, 0x5f0
	s_mov_b64 s[2:3], 0
.LBB112_24:                             ; =>This Inner Loop Header: Depth=1
	v_add_u32_e32 v10, -8, v7
	scratch_load_dwordx4 v[156:159], v10, off
	v_mov_b32_e32 v10, s10
	ds_read_b128 v[160:163], v10
	v_add_u32_e32 v6, -1, v6
	s_add_i32 s10, s10, 16
	v_cmp_eq_u32_e32 vcc, 0, v6
	v_add_u32_e32 v7, 16, v7
	s_or_b64 s[2:3], vcc, s[2:3]
	s_waitcnt vmcnt(0) lgkmcnt(0)
	v_mul_f64 v[10:11], v[162:163], v[158:159]
	v_mul_f64 v[12:13], v[160:161], v[158:159]
	v_fma_f64 v[10:11], v[160:161], v[156:157], -v[10:11]
	v_fmac_f64_e32 v[12:13], v[162:163], v[156:157]
	v_add_f64 v[2:3], v[2:3], v[10:11]
	v_add_f64 v[4:5], v[4:5], v[12:13]
	s_andn2_b64 exec, exec, s[2:3]
	s_cbranch_execnz .LBB112_24
; %bb.25:
	s_or_b64 exec, exec, s[2:3]
.LBB112_26:
	s_or_b64 exec, exec, s[8:9]
	v_mov_b32_e32 v6, 0
	ds_read_b128 v[156:159], v6 offset:720
	s_waitcnt lgkmcnt(0)
	v_mul_f64 v[6:7], v[4:5], v[158:159]
	v_mul_f64 v[160:161], v[2:3], v[158:159]
	v_fma_f64 v[158:159], v[2:3], v[156:157], -v[6:7]
	v_fmac_f64_e32 v[160:161], v[4:5], v[156:157]
	scratch_store_dwordx4 off, v[158:161], off offset:720
.LBB112_27:
	s_or_b64 exec, exec, s[4:5]
	scratch_load_dwordx4 v[2:5], v39, off
	v_cmp_lt_u32_e64 s[2:3], 44, v0
	s_waitcnt vmcnt(0)
	ds_write_b128 v9, v[2:5]
	s_waitcnt lgkmcnt(0)
	; wave barrier
	s_waitcnt lgkmcnt(0)
	s_and_saveexec_b64 s[4:5], s[2:3]
	s_cbranch_execz .LBB112_35
; %bb.28:
	ds_read_b128 v[2:5], v9
	s_andn2_b64 vcc, exec, s[6:7]
	s_cbranch_vccnz .LBB112_30
; %bb.29:
	scratch_load_dwordx4 v[156:159], v8, off
	s_waitcnt vmcnt(0) lgkmcnt(0)
	v_mul_f64 v[10:11], v[2:3], v[158:159]
	v_mul_f64 v[6:7], v[4:5], v[158:159]
	v_fmac_f64_e32 v[10:11], v[4:5], v[156:157]
	v_fma_f64 v[2:3], v[2:3], v[156:157], -v[6:7]
	v_mov_b64_e32 v[4:5], v[10:11]
.LBB112_30:
	s_and_saveexec_b64 s[8:9], s[0:1]
	s_cbranch_execz .LBB112_34
; %bb.31:
	v_mov_b32_e32 v7, 0
	v_subrev_u32_e32 v6, 45, v0
	v_add_u32_e32 v7, 0x2d8, v7
	s_movk_i32 s10, 0x5e0
	s_mov_b64 s[0:1], 0
.LBB112_32:                             ; =>This Inner Loop Header: Depth=1
	v_add_u32_e32 v10, -8, v7
	scratch_load_dwordx4 v[156:159], v10, off
	v_mov_b32_e32 v10, s10
	ds_read_b128 v[160:163], v10
	v_add_u32_e32 v6, -1, v6
	s_add_i32 s10, s10, 16
	v_cmp_eq_u32_e32 vcc, 0, v6
	v_add_u32_e32 v7, 16, v7
	s_or_b64 s[0:1], vcc, s[0:1]
	s_waitcnt vmcnt(0) lgkmcnt(0)
	v_mul_f64 v[10:11], v[162:163], v[158:159]
	v_mul_f64 v[12:13], v[160:161], v[158:159]
	v_fma_f64 v[10:11], v[160:161], v[156:157], -v[10:11]
	v_fmac_f64_e32 v[12:13], v[162:163], v[156:157]
	v_add_f64 v[2:3], v[2:3], v[10:11]
	v_add_f64 v[4:5], v[4:5], v[12:13]
	s_andn2_b64 exec, exec, s[0:1]
	s_cbranch_execnz .LBB112_32
; %bb.33:
	s_or_b64 exec, exec, s[0:1]
.LBB112_34:
	s_or_b64 exec, exec, s[8:9]
	v_mov_b32_e32 v6, 0
	ds_read_b128 v[156:159], v6 offset:704
	s_waitcnt lgkmcnt(0)
	v_mul_f64 v[6:7], v[4:5], v[158:159]
	v_mul_f64 v[160:161], v[2:3], v[158:159]
	v_fma_f64 v[158:159], v[2:3], v[156:157], -v[6:7]
	v_fmac_f64_e32 v[160:161], v[4:5], v[156:157]
	scratch_store_dwordx4 off, v[158:161], off offset:704
.LBB112_35:
	;; [unrolled: 63-line block ×10, first 2 shown]
	s_or_b64 exec, exec, s[4:5]
	scratch_load_dwordx4 v[2:5], v73, off
	v_cmp_lt_u32_e64 s[0:1], 35, v0
	s_waitcnt vmcnt(0)
	ds_write_b128 v9, v[2:5]
	s_waitcnt lgkmcnt(0)
	; wave barrier
	s_waitcnt lgkmcnt(0)
	s_and_saveexec_b64 s[4:5], s[0:1]
	s_cbranch_execz .LBB112_107
; %bb.100:
	ds_read_b128 v[2:5], v9
	s_andn2_b64 vcc, exec, s[6:7]
	s_cbranch_vccnz .LBB112_102
; %bb.101:
	scratch_load_dwordx4 v[156:159], v8, off
	s_waitcnt vmcnt(0) lgkmcnt(0)
	v_mul_f64 v[10:11], v[2:3], v[158:159]
	v_mul_f64 v[6:7], v[4:5], v[158:159]
	v_fmac_f64_e32 v[10:11], v[4:5], v[156:157]
	v_fma_f64 v[2:3], v[2:3], v[156:157], -v[6:7]
	v_mov_b64_e32 v[4:5], v[10:11]
.LBB112_102:
	s_and_saveexec_b64 s[8:9], s[2:3]
	s_cbranch_execz .LBB112_106
; %bb.103:
	v_mov_b32_e32 v7, 0
	v_subrev_u32_e32 v6, 36, v0
	v_add_u32_e32 v7, 0x248, v7
	s_movk_i32 s10, 0x550
	s_mov_b64 s[2:3], 0
.LBB112_104:                            ; =>This Inner Loop Header: Depth=1
	v_add_u32_e32 v10, -8, v7
	scratch_load_dwordx4 v[156:159], v10, off
	v_mov_b32_e32 v10, s10
	ds_read_b128 v[160:163], v10
	v_add_u32_e32 v6, -1, v6
	s_add_i32 s10, s10, 16
	v_cmp_eq_u32_e32 vcc, 0, v6
	v_add_u32_e32 v7, 16, v7
	s_or_b64 s[2:3], vcc, s[2:3]
	s_waitcnt vmcnt(0) lgkmcnt(0)
	v_mul_f64 v[10:11], v[162:163], v[158:159]
	v_mul_f64 v[12:13], v[160:161], v[158:159]
	v_fma_f64 v[10:11], v[160:161], v[156:157], -v[10:11]
	v_fmac_f64_e32 v[12:13], v[162:163], v[156:157]
	v_add_f64 v[2:3], v[2:3], v[10:11]
	v_add_f64 v[4:5], v[4:5], v[12:13]
	s_andn2_b64 exec, exec, s[2:3]
	s_cbranch_execnz .LBB112_104
; %bb.105:
	s_or_b64 exec, exec, s[2:3]
.LBB112_106:
	s_or_b64 exec, exec, s[8:9]
	v_mov_b32_e32 v6, 0
	ds_read_b128 v[156:159], v6 offset:560
	s_waitcnt lgkmcnt(0)
	v_mul_f64 v[6:7], v[4:5], v[158:159]
	v_mul_f64 v[160:161], v[2:3], v[158:159]
	v_fma_f64 v[158:159], v[2:3], v[156:157], -v[6:7]
	v_fmac_f64_e32 v[160:161], v[4:5], v[156:157]
	scratch_store_dwordx4 off, v[158:161], off offset:560
.LBB112_107:
	s_or_b64 exec, exec, s[4:5]
	scratch_load_dwordx4 v[2:5], v122, off
	v_cmp_lt_u32_e64 s[2:3], 34, v0
	s_waitcnt vmcnt(0)
	ds_write_b128 v9, v[2:5]
	s_waitcnt lgkmcnt(0)
	; wave barrier
	s_waitcnt lgkmcnt(0)
	s_and_saveexec_b64 s[4:5], s[2:3]
	s_cbranch_execz .LBB112_115
; %bb.108:
	ds_read_b128 v[2:5], v9
	s_andn2_b64 vcc, exec, s[6:7]
	s_cbranch_vccnz .LBB112_110
; %bb.109:
	scratch_load_dwordx4 v[156:159], v8, off
	s_waitcnt vmcnt(0) lgkmcnt(0)
	v_mul_f64 v[10:11], v[2:3], v[158:159]
	v_mul_f64 v[6:7], v[4:5], v[158:159]
	v_fmac_f64_e32 v[10:11], v[4:5], v[156:157]
	v_fma_f64 v[2:3], v[2:3], v[156:157], -v[6:7]
	v_mov_b64_e32 v[4:5], v[10:11]
.LBB112_110:
	s_and_saveexec_b64 s[8:9], s[0:1]
	s_cbranch_execz .LBB112_114
; %bb.111:
	v_mov_b32_e32 v7, 0
	v_subrev_u32_e32 v6, 35, v0
	v_add_u32_e32 v7, 0x238, v7
	s_movk_i32 s10, 0x540
	s_mov_b64 s[0:1], 0
.LBB112_112:                            ; =>This Inner Loop Header: Depth=1
	v_add_u32_e32 v10, -8, v7
	scratch_load_dwordx4 v[156:159], v10, off
	v_mov_b32_e32 v10, s10
	ds_read_b128 v[160:163], v10
	v_add_u32_e32 v6, -1, v6
	s_add_i32 s10, s10, 16
	v_cmp_eq_u32_e32 vcc, 0, v6
	v_add_u32_e32 v7, 16, v7
	s_or_b64 s[0:1], vcc, s[0:1]
	s_waitcnt vmcnt(0) lgkmcnt(0)
	v_mul_f64 v[10:11], v[162:163], v[158:159]
	v_mul_f64 v[12:13], v[160:161], v[158:159]
	v_fma_f64 v[10:11], v[160:161], v[156:157], -v[10:11]
	v_fmac_f64_e32 v[12:13], v[162:163], v[156:157]
	v_add_f64 v[2:3], v[2:3], v[10:11]
	v_add_f64 v[4:5], v[4:5], v[12:13]
	s_andn2_b64 exec, exec, s[0:1]
	s_cbranch_execnz .LBB112_112
; %bb.113:
	s_or_b64 exec, exec, s[0:1]
.LBB112_114:
	s_or_b64 exec, exec, s[8:9]
	v_mov_b32_e32 v6, 0
	ds_read_b128 v[156:159], v6 offset:544
	s_waitcnt lgkmcnt(0)
	v_mul_f64 v[6:7], v[4:5], v[158:159]
	v_mul_f64 v[160:161], v[2:3], v[158:159]
	v_fma_f64 v[158:159], v[2:3], v[156:157], -v[6:7]
	v_fmac_f64_e32 v[160:161], v[4:5], v[156:157]
	scratch_store_dwordx4 off, v[158:161], off offset:544
.LBB112_115:
	;; [unrolled: 63-line block ×20, first 2 shown]
	s_or_b64 exec, exec, s[4:5]
	scratch_load_dwordx4 v[2:5], v141, off
	v_cmp_lt_u32_e64 s[0:1], 15, v0
	s_waitcnt vmcnt(0)
	ds_write_b128 v9, v[2:5]
	s_waitcnt lgkmcnt(0)
	; wave barrier
	s_waitcnt lgkmcnt(0)
	s_and_saveexec_b64 s[4:5], s[0:1]
	s_cbranch_execz .LBB112_267
; %bb.260:
	ds_read_b128 v[2:5], v9
	s_andn2_b64 vcc, exec, s[6:7]
	s_cbranch_vccnz .LBB112_262
; %bb.261:
	scratch_load_dwordx4 v[156:159], v8, off
	s_waitcnt vmcnt(0) lgkmcnt(0)
	v_mul_f64 v[10:11], v[2:3], v[158:159]
	v_mul_f64 v[6:7], v[4:5], v[158:159]
	v_fmac_f64_e32 v[10:11], v[4:5], v[156:157]
	v_fma_f64 v[2:3], v[2:3], v[156:157], -v[6:7]
	v_mov_b64_e32 v[4:5], v[10:11]
.LBB112_262:
	s_and_saveexec_b64 s[8:9], s[2:3]
	s_cbranch_execz .LBB112_266
; %bb.263:
	v_mov_b32_e32 v7, 0
	v_add_u32_e32 v6, -16, v0
	v_add_u32_e32 v7, 0x108, v7
	s_movk_i32 s10, 0x410
	s_mov_b64 s[2:3], 0
.LBB112_264:                            ; =>This Inner Loop Header: Depth=1
	v_add_u32_e32 v10, -8, v7
	scratch_load_dwordx4 v[156:159], v10, off
	v_mov_b32_e32 v10, s10
	ds_read_b128 v[160:163], v10
	v_add_u32_e32 v6, -1, v6
	s_add_i32 s10, s10, 16
	v_cmp_eq_u32_e32 vcc, 0, v6
	v_add_u32_e32 v7, 16, v7
	s_or_b64 s[2:3], vcc, s[2:3]
	s_waitcnt vmcnt(0) lgkmcnt(0)
	v_mul_f64 v[10:11], v[162:163], v[158:159]
	v_mul_f64 v[12:13], v[160:161], v[158:159]
	v_fma_f64 v[10:11], v[160:161], v[156:157], -v[10:11]
	v_fmac_f64_e32 v[12:13], v[162:163], v[156:157]
	v_add_f64 v[2:3], v[2:3], v[10:11]
	v_add_f64 v[4:5], v[4:5], v[12:13]
	s_andn2_b64 exec, exec, s[2:3]
	s_cbranch_execnz .LBB112_264
; %bb.265:
	s_or_b64 exec, exec, s[2:3]
.LBB112_266:
	s_or_b64 exec, exec, s[8:9]
	v_mov_b32_e32 v6, 0
	ds_read_b128 v[156:159], v6 offset:240
	s_waitcnt lgkmcnt(0)
	v_mul_f64 v[6:7], v[4:5], v[158:159]
	v_mul_f64 v[160:161], v[2:3], v[158:159]
	v_fma_f64 v[158:159], v[2:3], v[156:157], -v[6:7]
	v_fmac_f64_e32 v[160:161], v[4:5], v[156:157]
	scratch_store_dwordx4 off, v[158:161], off offset:240
.LBB112_267:
	s_or_b64 exec, exec, s[4:5]
	scratch_load_dwordx4 v[2:5], v142, off
	v_cmp_lt_u32_e64 s[2:3], 14, v0
	s_waitcnt vmcnt(0)
	ds_write_b128 v9, v[2:5]
	s_waitcnt lgkmcnt(0)
	; wave barrier
	s_waitcnt lgkmcnt(0)
	s_and_saveexec_b64 s[4:5], s[2:3]
	s_cbranch_execz .LBB112_275
; %bb.268:
	ds_read_b128 v[2:5], v9
	s_andn2_b64 vcc, exec, s[6:7]
	s_cbranch_vccnz .LBB112_270
; %bb.269:
	scratch_load_dwordx4 v[156:159], v8, off
	s_waitcnt vmcnt(0) lgkmcnt(0)
	v_mul_f64 v[10:11], v[2:3], v[158:159]
	v_mul_f64 v[6:7], v[4:5], v[158:159]
	v_fmac_f64_e32 v[10:11], v[4:5], v[156:157]
	v_fma_f64 v[2:3], v[2:3], v[156:157], -v[6:7]
	v_mov_b64_e32 v[4:5], v[10:11]
.LBB112_270:
	s_and_saveexec_b64 s[8:9], s[0:1]
	s_cbranch_execz .LBB112_274
; %bb.271:
	v_mov_b32_e32 v7, 0
	v_add_u32_e32 v6, -15, v0
	v_add_u32_e32 v7, 0xf8, v7
	s_movk_i32 s10, 0x400
	s_mov_b64 s[0:1], 0
.LBB112_272:                            ; =>This Inner Loop Header: Depth=1
	v_add_u32_e32 v10, -8, v7
	scratch_load_dwordx4 v[156:159], v10, off
	v_mov_b32_e32 v10, s10
	ds_read_b128 v[160:163], v10
	v_add_u32_e32 v6, -1, v6
	s_add_i32 s10, s10, 16
	v_cmp_eq_u32_e32 vcc, 0, v6
	v_add_u32_e32 v7, 16, v7
	s_or_b64 s[0:1], vcc, s[0:1]
	s_waitcnt vmcnt(0) lgkmcnt(0)
	v_mul_f64 v[10:11], v[162:163], v[158:159]
	v_mul_f64 v[12:13], v[160:161], v[158:159]
	v_fma_f64 v[10:11], v[160:161], v[156:157], -v[10:11]
	v_fmac_f64_e32 v[12:13], v[162:163], v[156:157]
	v_add_f64 v[2:3], v[2:3], v[10:11]
	v_add_f64 v[4:5], v[4:5], v[12:13]
	s_andn2_b64 exec, exec, s[0:1]
	s_cbranch_execnz .LBB112_272
; %bb.273:
	s_or_b64 exec, exec, s[0:1]
.LBB112_274:
	s_or_b64 exec, exec, s[8:9]
	v_mov_b32_e32 v6, 0
	ds_read_b128 v[156:159], v6 offset:224
	s_waitcnt lgkmcnt(0)
	v_mul_f64 v[6:7], v[4:5], v[158:159]
	v_mul_f64 v[160:161], v[2:3], v[158:159]
	v_fma_f64 v[158:159], v[2:3], v[156:157], -v[6:7]
	v_fmac_f64_e32 v[160:161], v[4:5], v[156:157]
	scratch_store_dwordx4 off, v[158:161], off offset:224
.LBB112_275:
	s_or_b64 exec, exec, s[4:5]
	scratch_load_dwordx4 v[2:5], v143, off
	v_cmp_lt_u32_e64 s[0:1], 13, v0
	s_waitcnt vmcnt(0)
	ds_write_b128 v9, v[2:5]
	s_waitcnt lgkmcnt(0)
	; wave barrier
	s_waitcnt lgkmcnt(0)
	s_and_saveexec_b64 s[4:5], s[0:1]
	s_cbranch_execz .LBB112_283
; %bb.276:
	ds_read_b128 v[2:5], v9
	s_andn2_b64 vcc, exec, s[6:7]
	s_cbranch_vccnz .LBB112_278
; %bb.277:
	scratch_load_dwordx4 v[156:159], v8, off
	s_waitcnt vmcnt(0) lgkmcnt(0)
	v_mul_f64 v[10:11], v[2:3], v[158:159]
	v_mul_f64 v[6:7], v[4:5], v[158:159]
	v_fmac_f64_e32 v[10:11], v[4:5], v[156:157]
	v_fma_f64 v[2:3], v[2:3], v[156:157], -v[6:7]
	v_mov_b64_e32 v[4:5], v[10:11]
.LBB112_278:
	s_and_saveexec_b64 s[8:9], s[2:3]
	s_cbranch_execz .LBB112_282
; %bb.279:
	v_mov_b32_e32 v7, 0
	v_add_u32_e32 v6, -14, v0
	v_add_u32_e32 v7, 0xe8, v7
	s_movk_i32 s10, 0x3f0
	s_mov_b64 s[2:3], 0
.LBB112_280:                            ; =>This Inner Loop Header: Depth=1
	v_add_u32_e32 v10, -8, v7
	scratch_load_dwordx4 v[156:159], v10, off
	v_mov_b32_e32 v10, s10
	ds_read_b128 v[160:163], v10
	v_add_u32_e32 v6, -1, v6
	s_add_i32 s10, s10, 16
	v_cmp_eq_u32_e32 vcc, 0, v6
	v_add_u32_e32 v7, 16, v7
	s_or_b64 s[2:3], vcc, s[2:3]
	s_waitcnt vmcnt(0) lgkmcnt(0)
	v_mul_f64 v[10:11], v[162:163], v[158:159]
	v_mul_f64 v[12:13], v[160:161], v[158:159]
	v_fma_f64 v[10:11], v[160:161], v[156:157], -v[10:11]
	v_fmac_f64_e32 v[12:13], v[162:163], v[156:157]
	v_add_f64 v[2:3], v[2:3], v[10:11]
	v_add_f64 v[4:5], v[4:5], v[12:13]
	s_andn2_b64 exec, exec, s[2:3]
	s_cbranch_execnz .LBB112_280
; %bb.281:
	s_or_b64 exec, exec, s[2:3]
.LBB112_282:
	s_or_b64 exec, exec, s[8:9]
	v_mov_b32_e32 v6, 0
	ds_read_b128 v[156:159], v6 offset:208
	s_waitcnt lgkmcnt(0)
	v_mul_f64 v[6:7], v[4:5], v[158:159]
	v_mul_f64 v[160:161], v[2:3], v[158:159]
	v_fma_f64 v[158:159], v[2:3], v[156:157], -v[6:7]
	v_fmac_f64_e32 v[160:161], v[4:5], v[156:157]
	scratch_store_dwordx4 off, v[158:161], off offset:208
.LBB112_283:
	s_or_b64 exec, exec, s[4:5]
	scratch_load_dwordx4 v[2:5], v144, off
	v_cmp_lt_u32_e64 s[2:3], 12, v0
	s_waitcnt vmcnt(0)
	ds_write_b128 v9, v[2:5]
	s_waitcnt lgkmcnt(0)
	; wave barrier
	s_waitcnt lgkmcnt(0)
	s_and_saveexec_b64 s[4:5], s[2:3]
	s_cbranch_execz .LBB112_291
; %bb.284:
	ds_read_b128 v[2:5], v9
	s_andn2_b64 vcc, exec, s[6:7]
	s_cbranch_vccnz .LBB112_286
; %bb.285:
	scratch_load_dwordx4 v[156:159], v8, off
	s_waitcnt vmcnt(0) lgkmcnt(0)
	v_mul_f64 v[10:11], v[2:3], v[158:159]
	v_mul_f64 v[6:7], v[4:5], v[158:159]
	v_fmac_f64_e32 v[10:11], v[4:5], v[156:157]
	v_fma_f64 v[2:3], v[2:3], v[156:157], -v[6:7]
	v_mov_b64_e32 v[4:5], v[10:11]
.LBB112_286:
	s_and_saveexec_b64 s[8:9], s[0:1]
	s_cbranch_execz .LBB112_290
; %bb.287:
	v_mov_b32_e32 v7, 0
	v_add_u32_e32 v6, -13, v0
	v_add_u32_e32 v7, 0xd8, v7
	s_movk_i32 s10, 0x3e0
	s_mov_b64 s[0:1], 0
.LBB112_288:                            ; =>This Inner Loop Header: Depth=1
	v_add_u32_e32 v10, -8, v7
	scratch_load_dwordx4 v[156:159], v10, off
	v_mov_b32_e32 v10, s10
	ds_read_b128 v[160:163], v10
	v_add_u32_e32 v6, -1, v6
	s_add_i32 s10, s10, 16
	v_cmp_eq_u32_e32 vcc, 0, v6
	v_add_u32_e32 v7, 16, v7
	s_or_b64 s[0:1], vcc, s[0:1]
	s_waitcnt vmcnt(0) lgkmcnt(0)
	v_mul_f64 v[10:11], v[162:163], v[158:159]
	v_mul_f64 v[12:13], v[160:161], v[158:159]
	v_fma_f64 v[10:11], v[160:161], v[156:157], -v[10:11]
	v_fmac_f64_e32 v[12:13], v[162:163], v[156:157]
	v_add_f64 v[2:3], v[2:3], v[10:11]
	v_add_f64 v[4:5], v[4:5], v[12:13]
	s_andn2_b64 exec, exec, s[0:1]
	s_cbranch_execnz .LBB112_288
; %bb.289:
	s_or_b64 exec, exec, s[0:1]
.LBB112_290:
	s_or_b64 exec, exec, s[8:9]
	v_mov_b32_e32 v6, 0
	ds_read_b128 v[156:159], v6 offset:192
	s_waitcnt lgkmcnt(0)
	v_mul_f64 v[6:7], v[4:5], v[158:159]
	v_mul_f64 v[160:161], v[2:3], v[158:159]
	v_fma_f64 v[158:159], v[2:3], v[156:157], -v[6:7]
	v_fmac_f64_e32 v[160:161], v[4:5], v[156:157]
	scratch_store_dwordx4 off, v[158:161], off offset:192
.LBB112_291:
	s_or_b64 exec, exec, s[4:5]
	scratch_load_dwordx4 v[2:5], v145, off
	v_cmp_lt_u32_e64 s[0:1], 11, v0
	s_waitcnt vmcnt(0)
	ds_write_b128 v9, v[2:5]
	s_waitcnt lgkmcnt(0)
	; wave barrier
	s_waitcnt lgkmcnt(0)
	s_and_saveexec_b64 s[4:5], s[0:1]
	s_cbranch_execz .LBB112_299
; %bb.292:
	ds_read_b128 v[2:5], v9
	s_andn2_b64 vcc, exec, s[6:7]
	s_cbranch_vccnz .LBB112_294
; %bb.293:
	scratch_load_dwordx4 v[156:159], v8, off
	s_waitcnt vmcnt(0) lgkmcnt(0)
	v_mul_f64 v[10:11], v[2:3], v[158:159]
	v_mul_f64 v[6:7], v[4:5], v[158:159]
	v_fmac_f64_e32 v[10:11], v[4:5], v[156:157]
	v_fma_f64 v[2:3], v[2:3], v[156:157], -v[6:7]
	v_mov_b64_e32 v[4:5], v[10:11]
.LBB112_294:
	s_and_saveexec_b64 s[8:9], s[2:3]
	s_cbranch_execz .LBB112_298
; %bb.295:
	v_mov_b32_e32 v7, 0
	v_add_u32_e32 v6, -12, v0
	v_add_u32_e32 v7, 0xc8, v7
	s_movk_i32 s10, 0x3d0
	s_mov_b64 s[2:3], 0
.LBB112_296:                            ; =>This Inner Loop Header: Depth=1
	v_add_u32_e32 v10, -8, v7
	scratch_load_dwordx4 v[156:159], v10, off
	v_mov_b32_e32 v10, s10
	ds_read_b128 v[160:163], v10
	v_add_u32_e32 v6, -1, v6
	s_add_i32 s10, s10, 16
	v_cmp_eq_u32_e32 vcc, 0, v6
	v_add_u32_e32 v7, 16, v7
	s_or_b64 s[2:3], vcc, s[2:3]
	s_waitcnt vmcnt(0) lgkmcnt(0)
	v_mul_f64 v[10:11], v[162:163], v[158:159]
	v_mul_f64 v[12:13], v[160:161], v[158:159]
	v_fma_f64 v[10:11], v[160:161], v[156:157], -v[10:11]
	v_fmac_f64_e32 v[12:13], v[162:163], v[156:157]
	v_add_f64 v[2:3], v[2:3], v[10:11]
	v_add_f64 v[4:5], v[4:5], v[12:13]
	s_andn2_b64 exec, exec, s[2:3]
	s_cbranch_execnz .LBB112_296
; %bb.297:
	s_or_b64 exec, exec, s[2:3]
.LBB112_298:
	s_or_b64 exec, exec, s[8:9]
	v_mov_b32_e32 v6, 0
	ds_read_b128 v[156:159], v6 offset:176
	s_waitcnt lgkmcnt(0)
	v_mul_f64 v[6:7], v[4:5], v[158:159]
	v_mul_f64 v[160:161], v[2:3], v[158:159]
	v_fma_f64 v[158:159], v[2:3], v[156:157], -v[6:7]
	v_fmac_f64_e32 v[160:161], v[4:5], v[156:157]
	scratch_store_dwordx4 off, v[158:161], off offset:176
.LBB112_299:
	s_or_b64 exec, exec, s[4:5]
	scratch_load_dwordx4 v[2:5], v146, off
	v_cmp_lt_u32_e64 s[2:3], 10, v0
	s_waitcnt vmcnt(0)
	ds_write_b128 v9, v[2:5]
	s_waitcnt lgkmcnt(0)
	; wave barrier
	s_waitcnt lgkmcnt(0)
	s_and_saveexec_b64 s[4:5], s[2:3]
	s_cbranch_execz .LBB112_307
; %bb.300:
	ds_read_b128 v[2:5], v9
	s_andn2_b64 vcc, exec, s[6:7]
	s_cbranch_vccnz .LBB112_302
; %bb.301:
	scratch_load_dwordx4 v[156:159], v8, off
	s_waitcnt vmcnt(0) lgkmcnt(0)
	v_mul_f64 v[10:11], v[2:3], v[158:159]
	v_mul_f64 v[6:7], v[4:5], v[158:159]
	v_fmac_f64_e32 v[10:11], v[4:5], v[156:157]
	v_fma_f64 v[2:3], v[2:3], v[156:157], -v[6:7]
	v_mov_b64_e32 v[4:5], v[10:11]
.LBB112_302:
	s_and_saveexec_b64 s[8:9], s[0:1]
	s_cbranch_execz .LBB112_306
; %bb.303:
	v_mov_b32_e32 v7, 0
	v_add_u32_e32 v6, -11, v0
	v_add_u32_e32 v7, 0xb8, v7
	s_movk_i32 s10, 0x3c0
	s_mov_b64 s[0:1], 0
.LBB112_304:                            ; =>This Inner Loop Header: Depth=1
	v_add_u32_e32 v10, -8, v7
	scratch_load_dwordx4 v[156:159], v10, off
	v_mov_b32_e32 v10, s10
	ds_read_b128 v[160:163], v10
	v_add_u32_e32 v6, -1, v6
	s_add_i32 s10, s10, 16
	v_cmp_eq_u32_e32 vcc, 0, v6
	v_add_u32_e32 v7, 16, v7
	s_or_b64 s[0:1], vcc, s[0:1]
	s_waitcnt vmcnt(0) lgkmcnt(0)
	v_mul_f64 v[10:11], v[162:163], v[158:159]
	v_mul_f64 v[12:13], v[160:161], v[158:159]
	v_fma_f64 v[10:11], v[160:161], v[156:157], -v[10:11]
	v_fmac_f64_e32 v[12:13], v[162:163], v[156:157]
	v_add_f64 v[2:3], v[2:3], v[10:11]
	v_add_f64 v[4:5], v[4:5], v[12:13]
	s_andn2_b64 exec, exec, s[0:1]
	s_cbranch_execnz .LBB112_304
; %bb.305:
	s_or_b64 exec, exec, s[0:1]
.LBB112_306:
	s_or_b64 exec, exec, s[8:9]
	v_mov_b32_e32 v6, 0
	ds_read_b128 v[156:159], v6 offset:160
	s_waitcnt lgkmcnt(0)
	v_mul_f64 v[6:7], v[4:5], v[158:159]
	v_mul_f64 v[160:161], v[2:3], v[158:159]
	v_fma_f64 v[158:159], v[2:3], v[156:157], -v[6:7]
	v_fmac_f64_e32 v[160:161], v[4:5], v[156:157]
	scratch_store_dwordx4 off, v[158:161], off offset:160
.LBB112_307:
	s_or_b64 exec, exec, s[4:5]
	scratch_load_dwordx4 v[2:5], v147, off
	v_cmp_lt_u32_e64 s[0:1], 9, v0
	s_waitcnt vmcnt(0)
	ds_write_b128 v9, v[2:5]
	s_waitcnt lgkmcnt(0)
	; wave barrier
	s_waitcnt lgkmcnt(0)
	s_and_saveexec_b64 s[4:5], s[0:1]
	s_cbranch_execz .LBB112_315
; %bb.308:
	ds_read_b128 v[2:5], v9
	s_andn2_b64 vcc, exec, s[6:7]
	s_cbranch_vccnz .LBB112_310
; %bb.309:
	scratch_load_dwordx4 v[156:159], v8, off
	s_waitcnt vmcnt(0) lgkmcnt(0)
	v_mul_f64 v[10:11], v[2:3], v[158:159]
	v_mul_f64 v[6:7], v[4:5], v[158:159]
	v_fmac_f64_e32 v[10:11], v[4:5], v[156:157]
	v_fma_f64 v[2:3], v[2:3], v[156:157], -v[6:7]
	v_mov_b64_e32 v[4:5], v[10:11]
.LBB112_310:
	s_and_saveexec_b64 s[8:9], s[2:3]
	s_cbranch_execz .LBB112_314
; %bb.311:
	v_mov_b32_e32 v7, 0
	v_add_u32_e32 v6, -10, v0
	v_add_u32_e32 v7, 0xa8, v7
	s_movk_i32 s10, 0x3b0
	s_mov_b64 s[2:3], 0
.LBB112_312:                            ; =>This Inner Loop Header: Depth=1
	v_add_u32_e32 v10, -8, v7
	scratch_load_dwordx4 v[156:159], v10, off
	v_mov_b32_e32 v10, s10
	ds_read_b128 v[160:163], v10
	v_add_u32_e32 v6, -1, v6
	s_add_i32 s10, s10, 16
	v_cmp_eq_u32_e32 vcc, 0, v6
	v_add_u32_e32 v7, 16, v7
	s_or_b64 s[2:3], vcc, s[2:3]
	s_waitcnt vmcnt(0) lgkmcnt(0)
	v_mul_f64 v[10:11], v[162:163], v[158:159]
	v_mul_f64 v[12:13], v[160:161], v[158:159]
	v_fma_f64 v[10:11], v[160:161], v[156:157], -v[10:11]
	v_fmac_f64_e32 v[12:13], v[162:163], v[156:157]
	v_add_f64 v[2:3], v[2:3], v[10:11]
	v_add_f64 v[4:5], v[4:5], v[12:13]
	s_andn2_b64 exec, exec, s[2:3]
	s_cbranch_execnz .LBB112_312
; %bb.313:
	s_or_b64 exec, exec, s[2:3]
.LBB112_314:
	s_or_b64 exec, exec, s[8:9]
	v_mov_b32_e32 v6, 0
	ds_read_b128 v[156:159], v6 offset:144
	s_waitcnt lgkmcnt(0)
	v_mul_f64 v[6:7], v[4:5], v[158:159]
	v_mul_f64 v[160:161], v[2:3], v[158:159]
	v_fma_f64 v[158:159], v[2:3], v[156:157], -v[6:7]
	v_fmac_f64_e32 v[160:161], v[4:5], v[156:157]
	scratch_store_dwordx4 off, v[158:161], off offset:144
.LBB112_315:
	s_or_b64 exec, exec, s[4:5]
	scratch_load_dwordx4 v[2:5], v148, off
	v_cmp_lt_u32_e64 s[2:3], 8, v0
	s_waitcnt vmcnt(0)
	ds_write_b128 v9, v[2:5]
	s_waitcnt lgkmcnt(0)
	; wave barrier
	s_waitcnt lgkmcnt(0)
	s_and_saveexec_b64 s[4:5], s[2:3]
	s_cbranch_execz .LBB112_323
; %bb.316:
	ds_read_b128 v[2:5], v9
	s_andn2_b64 vcc, exec, s[6:7]
	s_cbranch_vccnz .LBB112_318
; %bb.317:
	scratch_load_dwordx4 v[156:159], v8, off
	s_waitcnt vmcnt(0) lgkmcnt(0)
	v_mul_f64 v[10:11], v[2:3], v[158:159]
	v_mul_f64 v[6:7], v[4:5], v[158:159]
	v_fmac_f64_e32 v[10:11], v[4:5], v[156:157]
	v_fma_f64 v[2:3], v[2:3], v[156:157], -v[6:7]
	v_mov_b64_e32 v[4:5], v[10:11]
.LBB112_318:
	s_and_saveexec_b64 s[8:9], s[0:1]
	s_cbranch_execz .LBB112_322
; %bb.319:
	v_mov_b32_e32 v7, 0
	v_add_u32_e32 v6, -9, v0
	v_add_u32_e32 v7, 0x98, v7
	s_movk_i32 s10, 0x3a0
	s_mov_b64 s[0:1], 0
.LBB112_320:                            ; =>This Inner Loop Header: Depth=1
	v_add_u32_e32 v10, -8, v7
	scratch_load_dwordx4 v[156:159], v10, off
	v_mov_b32_e32 v10, s10
	ds_read_b128 v[160:163], v10
	v_add_u32_e32 v6, -1, v6
	s_add_i32 s10, s10, 16
	v_cmp_eq_u32_e32 vcc, 0, v6
	v_add_u32_e32 v7, 16, v7
	s_or_b64 s[0:1], vcc, s[0:1]
	s_waitcnt vmcnt(0) lgkmcnt(0)
	v_mul_f64 v[10:11], v[162:163], v[158:159]
	v_mul_f64 v[12:13], v[160:161], v[158:159]
	v_fma_f64 v[10:11], v[160:161], v[156:157], -v[10:11]
	v_fmac_f64_e32 v[12:13], v[162:163], v[156:157]
	v_add_f64 v[2:3], v[2:3], v[10:11]
	v_add_f64 v[4:5], v[4:5], v[12:13]
	s_andn2_b64 exec, exec, s[0:1]
	s_cbranch_execnz .LBB112_320
; %bb.321:
	s_or_b64 exec, exec, s[0:1]
.LBB112_322:
	s_or_b64 exec, exec, s[8:9]
	v_mov_b32_e32 v6, 0
	ds_read_b128 v[156:159], v6 offset:128
	s_waitcnt lgkmcnt(0)
	v_mul_f64 v[6:7], v[4:5], v[158:159]
	v_mul_f64 v[160:161], v[2:3], v[158:159]
	v_fma_f64 v[158:159], v[2:3], v[156:157], -v[6:7]
	v_fmac_f64_e32 v[160:161], v[4:5], v[156:157]
	scratch_store_dwordx4 off, v[158:161], off offset:128
.LBB112_323:
	s_or_b64 exec, exec, s[4:5]
	scratch_load_dwordx4 v[2:5], v149, off
	v_cmp_lt_u32_e64 s[0:1], 7, v0
	s_waitcnt vmcnt(0)
	ds_write_b128 v9, v[2:5]
	s_waitcnt lgkmcnt(0)
	; wave barrier
	s_waitcnt lgkmcnt(0)
	s_and_saveexec_b64 s[4:5], s[0:1]
	s_cbranch_execz .LBB112_331
; %bb.324:
	ds_read_b128 v[2:5], v9
	s_andn2_b64 vcc, exec, s[6:7]
	s_cbranch_vccnz .LBB112_326
; %bb.325:
	scratch_load_dwordx4 v[156:159], v8, off
	s_waitcnt vmcnt(0) lgkmcnt(0)
	v_mul_f64 v[10:11], v[2:3], v[158:159]
	v_mul_f64 v[6:7], v[4:5], v[158:159]
	v_fmac_f64_e32 v[10:11], v[4:5], v[156:157]
	v_fma_f64 v[2:3], v[2:3], v[156:157], -v[6:7]
	v_mov_b64_e32 v[4:5], v[10:11]
.LBB112_326:
	s_and_saveexec_b64 s[8:9], s[2:3]
	s_cbranch_execz .LBB112_330
; %bb.327:
	v_mov_b32_e32 v7, 0
	v_add_u32_e32 v6, -8, v0
	v_add_u32_e32 v7, 0x88, v7
	s_movk_i32 s10, 0x390
	s_mov_b64 s[2:3], 0
.LBB112_328:                            ; =>This Inner Loop Header: Depth=1
	v_add_u32_e32 v10, -8, v7
	scratch_load_dwordx4 v[156:159], v10, off
	v_mov_b32_e32 v10, s10
	ds_read_b128 v[160:163], v10
	v_add_u32_e32 v6, -1, v6
	s_add_i32 s10, s10, 16
	v_cmp_eq_u32_e32 vcc, 0, v6
	v_add_u32_e32 v7, 16, v7
	s_or_b64 s[2:3], vcc, s[2:3]
	s_waitcnt vmcnt(0) lgkmcnt(0)
	v_mul_f64 v[10:11], v[162:163], v[158:159]
	v_mul_f64 v[12:13], v[160:161], v[158:159]
	v_fma_f64 v[10:11], v[160:161], v[156:157], -v[10:11]
	v_fmac_f64_e32 v[12:13], v[162:163], v[156:157]
	v_add_f64 v[2:3], v[2:3], v[10:11]
	v_add_f64 v[4:5], v[4:5], v[12:13]
	s_andn2_b64 exec, exec, s[2:3]
	s_cbranch_execnz .LBB112_328
; %bb.329:
	s_or_b64 exec, exec, s[2:3]
.LBB112_330:
	s_or_b64 exec, exec, s[8:9]
	v_mov_b32_e32 v6, 0
	ds_read_b128 v[156:159], v6 offset:112
	s_waitcnt lgkmcnt(0)
	v_mul_f64 v[6:7], v[4:5], v[158:159]
	v_mul_f64 v[160:161], v[2:3], v[158:159]
	v_fma_f64 v[158:159], v[2:3], v[156:157], -v[6:7]
	v_fmac_f64_e32 v[160:161], v[4:5], v[156:157]
	scratch_store_dwordx4 off, v[158:161], off offset:112
.LBB112_331:
	s_or_b64 exec, exec, s[4:5]
	scratch_load_dwordx4 v[2:5], v150, off
	v_cmp_lt_u32_e64 s[2:3], 6, v0
	s_waitcnt vmcnt(0)
	ds_write_b128 v9, v[2:5]
	s_waitcnt lgkmcnt(0)
	; wave barrier
	s_waitcnt lgkmcnt(0)
	s_and_saveexec_b64 s[4:5], s[2:3]
	s_cbranch_execz .LBB112_339
; %bb.332:
	ds_read_b128 v[2:5], v9
	s_andn2_b64 vcc, exec, s[6:7]
	s_cbranch_vccnz .LBB112_334
; %bb.333:
	scratch_load_dwordx4 v[156:159], v8, off
	s_waitcnt vmcnt(0) lgkmcnt(0)
	v_mul_f64 v[10:11], v[2:3], v[158:159]
	v_mul_f64 v[6:7], v[4:5], v[158:159]
	v_fmac_f64_e32 v[10:11], v[4:5], v[156:157]
	v_fma_f64 v[2:3], v[2:3], v[156:157], -v[6:7]
	v_mov_b64_e32 v[4:5], v[10:11]
.LBB112_334:
	s_and_saveexec_b64 s[8:9], s[0:1]
	s_cbranch_execz .LBB112_338
; %bb.335:
	v_mov_b32_e32 v7, 0
	v_add_u32_e32 v6, -7, v0
	v_add_u32_e32 v7, 0x78, v7
	s_movk_i32 s10, 0x380
	s_mov_b64 s[0:1], 0
.LBB112_336:                            ; =>This Inner Loop Header: Depth=1
	v_add_u32_e32 v10, -8, v7
	scratch_load_dwordx4 v[156:159], v10, off
	v_mov_b32_e32 v10, s10
	ds_read_b128 v[160:163], v10
	v_add_u32_e32 v6, -1, v6
	s_add_i32 s10, s10, 16
	v_cmp_eq_u32_e32 vcc, 0, v6
	v_add_u32_e32 v7, 16, v7
	s_or_b64 s[0:1], vcc, s[0:1]
	s_waitcnt vmcnt(0) lgkmcnt(0)
	v_mul_f64 v[10:11], v[162:163], v[158:159]
	v_mul_f64 v[12:13], v[160:161], v[158:159]
	v_fma_f64 v[10:11], v[160:161], v[156:157], -v[10:11]
	v_fmac_f64_e32 v[12:13], v[162:163], v[156:157]
	v_add_f64 v[2:3], v[2:3], v[10:11]
	v_add_f64 v[4:5], v[4:5], v[12:13]
	s_andn2_b64 exec, exec, s[0:1]
	s_cbranch_execnz .LBB112_336
; %bb.337:
	s_or_b64 exec, exec, s[0:1]
.LBB112_338:
	s_or_b64 exec, exec, s[8:9]
	v_mov_b32_e32 v6, 0
	ds_read_b128 v[156:159], v6 offset:96
	s_waitcnt lgkmcnt(0)
	v_mul_f64 v[6:7], v[4:5], v[158:159]
	v_mul_f64 v[160:161], v[2:3], v[158:159]
	v_fma_f64 v[158:159], v[2:3], v[156:157], -v[6:7]
	v_fmac_f64_e32 v[160:161], v[4:5], v[156:157]
	scratch_store_dwordx4 off, v[158:161], off offset:96
.LBB112_339:
	s_or_b64 exec, exec, s[4:5]
	scratch_load_dwordx4 v[2:5], v151, off
	v_cmp_lt_u32_e64 s[0:1], 5, v0
	s_waitcnt vmcnt(0)
	ds_write_b128 v9, v[2:5]
	s_waitcnt lgkmcnt(0)
	; wave barrier
	s_waitcnt lgkmcnt(0)
	s_and_saveexec_b64 s[4:5], s[0:1]
	s_cbranch_execz .LBB112_347
; %bb.340:
	ds_read_b128 v[2:5], v9
	s_andn2_b64 vcc, exec, s[6:7]
	s_cbranch_vccnz .LBB112_342
; %bb.341:
	scratch_load_dwordx4 v[156:159], v8, off
	s_waitcnt vmcnt(0) lgkmcnt(0)
	v_mul_f64 v[10:11], v[2:3], v[158:159]
	v_mul_f64 v[6:7], v[4:5], v[158:159]
	v_fmac_f64_e32 v[10:11], v[4:5], v[156:157]
	v_fma_f64 v[2:3], v[2:3], v[156:157], -v[6:7]
	v_mov_b64_e32 v[4:5], v[10:11]
.LBB112_342:
	s_and_saveexec_b64 s[8:9], s[2:3]
	s_cbranch_execz .LBB112_346
; %bb.343:
	v_mov_b32_e32 v7, 0
	v_add_u32_e32 v6, -6, v0
	v_add_u32_e32 v7, 0x68, v7
	s_movk_i32 s10, 0x370
	s_mov_b64 s[2:3], 0
.LBB112_344:                            ; =>This Inner Loop Header: Depth=1
	v_add_u32_e32 v10, -8, v7
	scratch_load_dwordx4 v[156:159], v10, off
	v_mov_b32_e32 v10, s10
	ds_read_b128 v[160:163], v10
	v_add_u32_e32 v6, -1, v6
	s_add_i32 s10, s10, 16
	v_cmp_eq_u32_e32 vcc, 0, v6
	v_add_u32_e32 v7, 16, v7
	s_or_b64 s[2:3], vcc, s[2:3]
	s_waitcnt vmcnt(0) lgkmcnt(0)
	v_mul_f64 v[10:11], v[162:163], v[158:159]
	v_mul_f64 v[12:13], v[160:161], v[158:159]
	v_fma_f64 v[10:11], v[160:161], v[156:157], -v[10:11]
	v_fmac_f64_e32 v[12:13], v[162:163], v[156:157]
	v_add_f64 v[2:3], v[2:3], v[10:11]
	v_add_f64 v[4:5], v[4:5], v[12:13]
	s_andn2_b64 exec, exec, s[2:3]
	s_cbranch_execnz .LBB112_344
; %bb.345:
	s_or_b64 exec, exec, s[2:3]
.LBB112_346:
	s_or_b64 exec, exec, s[8:9]
	v_mov_b32_e32 v6, 0
	ds_read_b128 v[156:159], v6 offset:80
	s_waitcnt lgkmcnt(0)
	v_mul_f64 v[6:7], v[4:5], v[158:159]
	v_mul_f64 v[160:161], v[2:3], v[158:159]
	v_fma_f64 v[158:159], v[2:3], v[156:157], -v[6:7]
	v_fmac_f64_e32 v[160:161], v[4:5], v[156:157]
	scratch_store_dwordx4 off, v[158:161], off offset:80
.LBB112_347:
	s_or_b64 exec, exec, s[4:5]
	scratch_load_dwordx4 v[2:5], v152, off
	v_cmp_lt_u32_e64 s[2:3], 4, v0
	s_waitcnt vmcnt(0)
	ds_write_b128 v9, v[2:5]
	s_waitcnt lgkmcnt(0)
	; wave barrier
	s_waitcnt lgkmcnt(0)
	s_and_saveexec_b64 s[4:5], s[2:3]
	s_cbranch_execz .LBB112_355
; %bb.348:
	ds_read_b128 v[2:5], v9
	s_andn2_b64 vcc, exec, s[6:7]
	s_cbranch_vccnz .LBB112_350
; %bb.349:
	scratch_load_dwordx4 v[156:159], v8, off
	s_waitcnt vmcnt(0) lgkmcnt(0)
	v_mul_f64 v[10:11], v[2:3], v[158:159]
	v_mul_f64 v[6:7], v[4:5], v[158:159]
	v_fmac_f64_e32 v[10:11], v[4:5], v[156:157]
	v_fma_f64 v[2:3], v[2:3], v[156:157], -v[6:7]
	v_mov_b64_e32 v[4:5], v[10:11]
.LBB112_350:
	s_and_saveexec_b64 s[8:9], s[0:1]
	s_cbranch_execz .LBB112_354
; %bb.351:
	v_mov_b32_e32 v7, 0
	v_add_u32_e32 v6, -5, v0
	v_add_u32_e32 v7, 0x58, v7
	s_movk_i32 s10, 0x360
	s_mov_b64 s[0:1], 0
.LBB112_352:                            ; =>This Inner Loop Header: Depth=1
	v_add_u32_e32 v10, -8, v7
	scratch_load_dwordx4 v[156:159], v10, off
	v_mov_b32_e32 v10, s10
	ds_read_b128 v[160:163], v10
	v_add_u32_e32 v6, -1, v6
	s_add_i32 s10, s10, 16
	v_cmp_eq_u32_e32 vcc, 0, v6
	v_add_u32_e32 v7, 16, v7
	s_or_b64 s[0:1], vcc, s[0:1]
	s_waitcnt vmcnt(0) lgkmcnt(0)
	v_mul_f64 v[10:11], v[162:163], v[158:159]
	v_mul_f64 v[12:13], v[160:161], v[158:159]
	v_fma_f64 v[10:11], v[160:161], v[156:157], -v[10:11]
	v_fmac_f64_e32 v[12:13], v[162:163], v[156:157]
	v_add_f64 v[2:3], v[2:3], v[10:11]
	v_add_f64 v[4:5], v[4:5], v[12:13]
	s_andn2_b64 exec, exec, s[0:1]
	s_cbranch_execnz .LBB112_352
; %bb.353:
	s_or_b64 exec, exec, s[0:1]
.LBB112_354:
	s_or_b64 exec, exec, s[8:9]
	v_mov_b32_e32 v6, 0
	ds_read_b128 v[156:159], v6 offset:64
	s_waitcnt lgkmcnt(0)
	v_mul_f64 v[6:7], v[4:5], v[158:159]
	v_mul_f64 v[160:161], v[2:3], v[158:159]
	v_fma_f64 v[158:159], v[2:3], v[156:157], -v[6:7]
	v_fmac_f64_e32 v[160:161], v[4:5], v[156:157]
	scratch_store_dwordx4 off, v[158:161], off offset:64
.LBB112_355:
	s_or_b64 exec, exec, s[4:5]
	scratch_load_dwordx4 v[2:5], v153, off
	v_cmp_lt_u32_e64 s[0:1], 3, v0
	s_waitcnt vmcnt(0)
	ds_write_b128 v9, v[2:5]
	s_waitcnt lgkmcnt(0)
	; wave barrier
	s_waitcnt lgkmcnt(0)
	s_and_saveexec_b64 s[4:5], s[0:1]
	s_cbranch_execz .LBB112_363
; %bb.356:
	ds_read_b128 v[2:5], v9
	s_andn2_b64 vcc, exec, s[6:7]
	s_cbranch_vccnz .LBB112_358
; %bb.357:
	scratch_load_dwordx4 v[156:159], v8, off
	s_waitcnt vmcnt(0) lgkmcnt(0)
	v_mul_f64 v[10:11], v[2:3], v[158:159]
	v_mul_f64 v[6:7], v[4:5], v[158:159]
	v_fmac_f64_e32 v[10:11], v[4:5], v[156:157]
	v_fma_f64 v[2:3], v[2:3], v[156:157], -v[6:7]
	v_mov_b64_e32 v[4:5], v[10:11]
.LBB112_358:
	s_and_saveexec_b64 s[8:9], s[2:3]
	s_cbranch_execz .LBB112_362
; %bb.359:
	v_mov_b32_e32 v7, 0
	v_add_u32_e32 v6, -4, v0
	v_add_u32_e32 v7, 0x48, v7
	s_movk_i32 s10, 0x350
	s_mov_b64 s[2:3], 0
.LBB112_360:                            ; =>This Inner Loop Header: Depth=1
	v_add_u32_e32 v10, -8, v7
	scratch_load_dwordx4 v[156:159], v10, off
	v_mov_b32_e32 v10, s10
	ds_read_b128 v[160:163], v10
	v_add_u32_e32 v6, -1, v6
	s_add_i32 s10, s10, 16
	v_cmp_eq_u32_e32 vcc, 0, v6
	v_add_u32_e32 v7, 16, v7
	s_or_b64 s[2:3], vcc, s[2:3]
	s_waitcnt vmcnt(0) lgkmcnt(0)
	v_mul_f64 v[10:11], v[162:163], v[158:159]
	v_mul_f64 v[12:13], v[160:161], v[158:159]
	v_fma_f64 v[10:11], v[160:161], v[156:157], -v[10:11]
	v_fmac_f64_e32 v[12:13], v[162:163], v[156:157]
	v_add_f64 v[2:3], v[2:3], v[10:11]
	v_add_f64 v[4:5], v[4:5], v[12:13]
	s_andn2_b64 exec, exec, s[2:3]
	s_cbranch_execnz .LBB112_360
; %bb.361:
	s_or_b64 exec, exec, s[2:3]
.LBB112_362:
	s_or_b64 exec, exec, s[8:9]
	v_mov_b32_e32 v6, 0
	ds_read_b128 v[156:159], v6 offset:48
	s_waitcnt lgkmcnt(0)
	v_mul_f64 v[6:7], v[4:5], v[158:159]
	v_mul_f64 v[160:161], v[2:3], v[158:159]
	v_fma_f64 v[158:159], v[2:3], v[156:157], -v[6:7]
	v_fmac_f64_e32 v[160:161], v[4:5], v[156:157]
	scratch_store_dwordx4 off, v[158:161], off offset:48
.LBB112_363:
	s_or_b64 exec, exec, s[4:5]
	scratch_load_dwordx4 v[2:5], v154, off
	v_cmp_lt_u32_e64 s[2:3], 2, v0
	s_waitcnt vmcnt(0)
	ds_write_b128 v9, v[2:5]
	s_waitcnt lgkmcnt(0)
	; wave barrier
	s_waitcnt lgkmcnt(0)
	s_and_saveexec_b64 s[4:5], s[2:3]
	s_cbranch_execz .LBB112_371
; %bb.364:
	ds_read_b128 v[2:5], v9
	s_andn2_b64 vcc, exec, s[6:7]
	s_cbranch_vccnz .LBB112_366
; %bb.365:
	scratch_load_dwordx4 v[156:159], v8, off
	s_waitcnt vmcnt(0) lgkmcnt(0)
	v_mul_f64 v[10:11], v[2:3], v[158:159]
	v_mul_f64 v[6:7], v[4:5], v[158:159]
	v_fmac_f64_e32 v[10:11], v[4:5], v[156:157]
	v_fma_f64 v[2:3], v[2:3], v[156:157], -v[6:7]
	v_mov_b64_e32 v[4:5], v[10:11]
.LBB112_366:
	s_and_saveexec_b64 s[8:9], s[0:1]
	s_cbranch_execz .LBB112_370
; %bb.367:
	v_mov_b32_e32 v7, 0
	v_add_u32_e32 v6, -3, v0
	v_add_u32_e32 v7, 56, v7
	s_movk_i32 s10, 0x340
	s_mov_b64 s[0:1], 0
.LBB112_368:                            ; =>This Inner Loop Header: Depth=1
	v_add_u32_e32 v10, -8, v7
	scratch_load_dwordx4 v[156:159], v10, off
	v_mov_b32_e32 v10, s10
	ds_read_b128 v[160:163], v10
	v_add_u32_e32 v6, -1, v6
	s_add_i32 s10, s10, 16
	v_cmp_eq_u32_e32 vcc, 0, v6
	v_add_u32_e32 v7, 16, v7
	s_or_b64 s[0:1], vcc, s[0:1]
	s_waitcnt vmcnt(0) lgkmcnt(0)
	v_mul_f64 v[10:11], v[162:163], v[158:159]
	v_mul_f64 v[12:13], v[160:161], v[158:159]
	v_fma_f64 v[10:11], v[160:161], v[156:157], -v[10:11]
	v_fmac_f64_e32 v[12:13], v[162:163], v[156:157]
	v_add_f64 v[2:3], v[2:3], v[10:11]
	v_add_f64 v[4:5], v[4:5], v[12:13]
	s_andn2_b64 exec, exec, s[0:1]
	s_cbranch_execnz .LBB112_368
; %bb.369:
	s_or_b64 exec, exec, s[0:1]
.LBB112_370:
	s_or_b64 exec, exec, s[8:9]
	v_mov_b32_e32 v6, 0
	ds_read_b128 v[156:159], v6 offset:32
	s_waitcnt lgkmcnt(0)
	v_mul_f64 v[6:7], v[4:5], v[158:159]
	v_mul_f64 v[160:161], v[2:3], v[158:159]
	v_fma_f64 v[158:159], v[2:3], v[156:157], -v[6:7]
	v_fmac_f64_e32 v[160:161], v[4:5], v[156:157]
	scratch_store_dwordx4 off, v[158:161], off offset:32
.LBB112_371:
	s_or_b64 exec, exec, s[4:5]
	scratch_load_dwordx4 v[2:5], v155, off
	v_cmp_lt_u32_e64 s[0:1], 1, v0
	s_waitcnt vmcnt(0)
	ds_write_b128 v9, v[2:5]
	s_waitcnt lgkmcnt(0)
	; wave barrier
	s_waitcnt lgkmcnt(0)
	s_and_saveexec_b64 s[4:5], s[0:1]
	s_cbranch_execz .LBB112_379
; %bb.372:
	ds_read_b128 v[2:5], v9
	s_andn2_b64 vcc, exec, s[6:7]
	s_cbranch_vccnz .LBB112_374
; %bb.373:
	scratch_load_dwordx4 v[156:159], v8, off
	s_waitcnt vmcnt(0) lgkmcnt(0)
	v_mul_f64 v[10:11], v[2:3], v[158:159]
	v_mul_f64 v[6:7], v[4:5], v[158:159]
	v_fmac_f64_e32 v[10:11], v[4:5], v[156:157]
	v_fma_f64 v[2:3], v[2:3], v[156:157], -v[6:7]
	v_mov_b64_e32 v[4:5], v[10:11]
.LBB112_374:
	s_and_saveexec_b64 s[8:9], s[2:3]
	s_cbranch_execz .LBB112_378
; %bb.375:
	v_mov_b32_e32 v7, 0
	v_add_u32_e32 v6, -2, v0
	v_add_u32_e32 v7, 40, v7
	s_movk_i32 s10, 0x330
	s_mov_b64 s[2:3], 0
.LBB112_376:                            ; =>This Inner Loop Header: Depth=1
	v_add_u32_e32 v10, -8, v7
	scratch_load_dwordx4 v[156:159], v10, off
	v_mov_b32_e32 v10, s10
	ds_read_b128 v[160:163], v10
	v_add_u32_e32 v6, -1, v6
	s_add_i32 s10, s10, 16
	v_cmp_eq_u32_e32 vcc, 0, v6
	v_add_u32_e32 v7, 16, v7
	s_or_b64 s[2:3], vcc, s[2:3]
	s_waitcnt vmcnt(0) lgkmcnt(0)
	v_mul_f64 v[10:11], v[162:163], v[158:159]
	v_mul_f64 v[12:13], v[160:161], v[158:159]
	v_fma_f64 v[10:11], v[160:161], v[156:157], -v[10:11]
	v_fmac_f64_e32 v[12:13], v[162:163], v[156:157]
	v_add_f64 v[2:3], v[2:3], v[10:11]
	v_add_f64 v[4:5], v[4:5], v[12:13]
	s_andn2_b64 exec, exec, s[2:3]
	s_cbranch_execnz .LBB112_376
; %bb.377:
	s_or_b64 exec, exec, s[2:3]
.LBB112_378:
	s_or_b64 exec, exec, s[8:9]
	v_mov_b32_e32 v6, 0
	ds_read_b128 v[156:159], v6 offset:16
	s_waitcnt lgkmcnt(0)
	v_mul_f64 v[6:7], v[4:5], v[158:159]
	v_mul_f64 v[160:161], v[2:3], v[158:159]
	v_fma_f64 v[158:159], v[2:3], v[156:157], -v[6:7]
	v_fmac_f64_e32 v[160:161], v[4:5], v[156:157]
	scratch_store_dwordx4 off, v[158:161], off offset:16
.LBB112_379:
	s_or_b64 exec, exec, s[4:5]
	scratch_load_dwordx4 v[2:5], off, off
	v_cmp_ne_u32_e32 vcc, 0, v0
	s_mov_b64 s[2:3], 0
	s_mov_b64 s[4:5], 0
                                        ; implicit-def: $vgpr6_vgpr7
                                        ; implicit-def: $vgpr156
	s_waitcnt vmcnt(0)
	ds_write_b128 v9, v[2:5]
	s_waitcnt lgkmcnt(0)
	; wave barrier
	s_waitcnt lgkmcnt(0)
	s_and_saveexec_b64 s[8:9], vcc
	s_cbranch_execz .LBB112_387
; %bb.380:
	ds_read_b128 v[2:5], v9
	s_andn2_b64 vcc, exec, s[6:7]
	s_cbranch_vccnz .LBB112_382
; %bb.381:
	scratch_load_dwordx4 v[156:159], v8, off
	s_waitcnt vmcnt(0) lgkmcnt(0)
	v_mul_f64 v[10:11], v[2:3], v[158:159]
	v_mul_f64 v[6:7], v[4:5], v[158:159]
	v_fmac_f64_e32 v[10:11], v[4:5], v[156:157]
	v_fma_f64 v[2:3], v[2:3], v[156:157], -v[6:7]
	v_mov_b64_e32 v[4:5], v[10:11]
.LBB112_382:
	s_and_saveexec_b64 s[4:5], s[0:1]
	s_cbranch_execz .LBB112_386
; %bb.383:
	v_mov_b32_e32 v7, 0
	v_add_u32_e32 v6, -1, v0
	v_add_u32_e32 v7, 24, v7
	s_movk_i32 s10, 0x320
	s_mov_b64 s[0:1], 0
.LBB112_384:                            ; =>This Inner Loop Header: Depth=1
	v_add_u32_e32 v10, -8, v7
	scratch_load_dwordx4 v[156:159], v10, off
	v_mov_b32_e32 v10, s10
	ds_read_b128 v[160:163], v10
	v_add_u32_e32 v6, -1, v6
	s_add_i32 s10, s10, 16
	v_cmp_eq_u32_e32 vcc, 0, v6
	v_add_u32_e32 v7, 16, v7
	s_or_b64 s[0:1], vcc, s[0:1]
	s_waitcnt vmcnt(0) lgkmcnt(0)
	v_mul_f64 v[10:11], v[162:163], v[158:159]
	v_mul_f64 v[12:13], v[160:161], v[158:159]
	v_fma_f64 v[10:11], v[160:161], v[156:157], -v[10:11]
	v_fmac_f64_e32 v[12:13], v[162:163], v[156:157]
	v_add_f64 v[2:3], v[2:3], v[10:11]
	v_add_f64 v[4:5], v[4:5], v[12:13]
	s_andn2_b64 exec, exec, s[0:1]
	s_cbranch_execnz .LBB112_384
; %bb.385:
	s_or_b64 exec, exec, s[0:1]
.LBB112_386:
	s_or_b64 exec, exec, s[4:5]
	v_mov_b32_e32 v6, 0
	ds_read_b128 v[158:161], v6
	v_mov_b32_e32 v6, 0
	v_or_b32_e32 v156, 8, v6
	s_mov_b64 s[4:5], exec
	s_waitcnt lgkmcnt(0)
	v_mul_f64 v[10:11], v[4:5], v[160:161]
	v_mul_f64 v[6:7], v[2:3], v[160:161]
	v_fma_f64 v[2:3], v[2:3], v[158:159], -v[10:11]
	v_fmac_f64_e32 v[6:7], v[4:5], v[158:159]
	scratch_store_dwordx2 off, v[2:3], off
.LBB112_387:
	s_or_b64 exec, exec, s[8:9]
	s_and_b64 vcc, exec, s[2:3]
	s_cbranch_vccnz .LBB112_389
	s_branch .LBB112_768
.LBB112_388:
	s_mov_b64 s[4:5], 0
                                        ; implicit-def: $vgpr6_vgpr7
                                        ; implicit-def: $vgpr156
	s_cbranch_execz .LBB112_768
.LBB112_389:
	scratch_load_dwordx4 v[2:5], v155, off
	v_cndmask_b32_e64 v6, 0, 1, s[6:7]
	v_cmp_eq_u32_e64 s[2:3], 0, v0
	v_cmp_ne_u32_e64 s[0:1], 1, v6
	s_waitcnt vmcnt(0)
	ds_write_b128 v9, v[2:5]
	s_waitcnt lgkmcnt(0)
	; wave barrier
	s_waitcnt lgkmcnt(0)
	s_and_saveexec_b64 s[6:7], s[2:3]
	s_cbranch_execz .LBB112_393
; %bb.390:
	ds_read_b128 v[2:5], v9
	s_and_b64 vcc, exec, s[0:1]
	s_cbranch_vccnz .LBB112_392
; %bb.391:
	scratch_load_dwordx4 v[156:159], v8, off
	s_waitcnt vmcnt(0) lgkmcnt(0)
	v_mul_f64 v[10:11], v[2:3], v[158:159]
	v_mul_f64 v[6:7], v[4:5], v[158:159]
	v_fmac_f64_e32 v[10:11], v[4:5], v[156:157]
	v_fma_f64 v[2:3], v[2:3], v[156:157], -v[6:7]
	v_mov_b64_e32 v[4:5], v[10:11]
.LBB112_392:
	v_mov_b32_e32 v6, 0
	ds_read_b128 v[156:159], v6 offset:16
	s_waitcnt lgkmcnt(0)
	v_mul_f64 v[6:7], v[4:5], v[158:159]
	v_mul_f64 v[160:161], v[2:3], v[158:159]
	v_fma_f64 v[158:159], v[2:3], v[156:157], -v[6:7]
	v_fmac_f64_e32 v[160:161], v[4:5], v[156:157]
	scratch_store_dwordx4 off, v[158:161], off offset:16
.LBB112_393:
	s_or_b64 exec, exec, s[6:7]
	scratch_load_dwordx4 v[2:5], v154, off
	v_cmp_gt_u32_e32 vcc, 2, v0
	s_waitcnt vmcnt(0)
	ds_write_b128 v9, v[2:5]
	s_waitcnt lgkmcnt(0)
	; wave barrier
	s_waitcnt lgkmcnt(0)
	s_and_saveexec_b64 s[6:7], vcc
	s_cbranch_execz .LBB112_399
; %bb.394:
	ds_read_b128 v[2:5], v9
	s_and_b64 vcc, exec, s[0:1]
	s_cbranch_vccnz .LBB112_396
; %bb.395:
	scratch_load_dwordx4 v[156:159], v8, off
	s_waitcnt vmcnt(0) lgkmcnt(0)
	v_mul_f64 v[10:11], v[2:3], v[158:159]
	v_mul_f64 v[6:7], v[4:5], v[158:159]
	v_fmac_f64_e32 v[10:11], v[4:5], v[156:157]
	v_fma_f64 v[2:3], v[2:3], v[156:157], -v[6:7]
	v_mov_b64_e32 v[4:5], v[10:11]
.LBB112_396:
	s_and_saveexec_b64 s[8:9], s[2:3]
	s_cbranch_execz .LBB112_398
; %bb.397:
	scratch_load_dwordx4 v[156:159], v8, off offset:16
	ds_read_b128 v[160:163], v9 offset:16
	s_waitcnt vmcnt(0) lgkmcnt(0)
	v_mul_f64 v[6:7], v[162:163], v[158:159]
	v_mul_f64 v[10:11], v[160:161], v[158:159]
	v_fma_f64 v[6:7], v[160:161], v[156:157], -v[6:7]
	v_fmac_f64_e32 v[10:11], v[162:163], v[156:157]
	v_add_f64 v[2:3], v[2:3], v[6:7]
	v_add_f64 v[4:5], v[4:5], v[10:11]
.LBB112_398:
	s_or_b64 exec, exec, s[8:9]
	v_mov_b32_e32 v6, 0
	ds_read_b128 v[156:159], v6 offset:32
	s_waitcnt lgkmcnt(0)
	v_mul_f64 v[6:7], v[4:5], v[158:159]
	v_mul_f64 v[160:161], v[2:3], v[158:159]
	v_fma_f64 v[158:159], v[2:3], v[156:157], -v[6:7]
	v_fmac_f64_e32 v[160:161], v[4:5], v[156:157]
	scratch_store_dwordx4 off, v[158:161], off offset:32
.LBB112_399:
	s_or_b64 exec, exec, s[6:7]
	scratch_load_dwordx4 v[2:5], v153, off
	v_cmp_gt_u32_e32 vcc, 3, v0
	s_waitcnt vmcnt(0)
	ds_write_b128 v9, v[2:5]
	s_waitcnt lgkmcnt(0)
	; wave barrier
	s_waitcnt lgkmcnt(0)
	s_and_saveexec_b64 s[6:7], vcc
	s_cbranch_execz .LBB112_407
; %bb.400:
	ds_read_b128 v[2:5], v9
	s_and_b64 vcc, exec, s[0:1]
	s_cbranch_vccnz .LBB112_402
; %bb.401:
	scratch_load_dwordx4 v[156:159], v8, off
	s_waitcnt vmcnt(0) lgkmcnt(0)
	v_mul_f64 v[10:11], v[2:3], v[158:159]
	v_mul_f64 v[6:7], v[4:5], v[158:159]
	v_fmac_f64_e32 v[10:11], v[4:5], v[156:157]
	v_fma_f64 v[2:3], v[2:3], v[156:157], -v[6:7]
	v_mov_b64_e32 v[4:5], v[10:11]
.LBB112_402:
	v_cmp_ne_u32_e32 vcc, 2, v0
	s_and_saveexec_b64 s[8:9], vcc
	s_cbranch_execz .LBB112_406
; %bb.403:
	scratch_load_dwordx4 v[156:159], v8, off offset:16
	ds_read_b128 v[160:163], v9 offset:16
	s_waitcnt vmcnt(0) lgkmcnt(0)
	v_mul_f64 v[6:7], v[162:163], v[158:159]
	v_mul_f64 v[10:11], v[160:161], v[158:159]
	v_fma_f64 v[6:7], v[160:161], v[156:157], -v[6:7]
	v_fmac_f64_e32 v[10:11], v[162:163], v[156:157]
	v_add_f64 v[2:3], v[2:3], v[6:7]
	v_add_f64 v[4:5], v[4:5], v[10:11]
	s_and_saveexec_b64 s[10:11], s[2:3]
	s_cbranch_execz .LBB112_405
; %bb.404:
	scratch_load_dwordx4 v[156:159], off, off offset:32
	v_mov_b32_e32 v6, 0
	ds_read_b128 v[160:163], v6 offset:816
	s_waitcnt vmcnt(0) lgkmcnt(0)
	v_mul_f64 v[6:7], v[160:161], v[158:159]
	v_mul_f64 v[10:11], v[162:163], v[158:159]
	v_fmac_f64_e32 v[6:7], v[162:163], v[156:157]
	v_fma_f64 v[10:11], v[160:161], v[156:157], -v[10:11]
	v_add_f64 v[4:5], v[4:5], v[6:7]
	v_add_f64 v[2:3], v[2:3], v[10:11]
.LBB112_405:
	s_or_b64 exec, exec, s[10:11]
.LBB112_406:
	s_or_b64 exec, exec, s[8:9]
	v_mov_b32_e32 v6, 0
	ds_read_b128 v[156:159], v6 offset:48
	s_waitcnt lgkmcnt(0)
	v_mul_f64 v[6:7], v[4:5], v[158:159]
	v_mul_f64 v[160:161], v[2:3], v[158:159]
	v_fma_f64 v[158:159], v[2:3], v[156:157], -v[6:7]
	v_fmac_f64_e32 v[160:161], v[4:5], v[156:157]
	scratch_store_dwordx4 off, v[158:161], off offset:48
.LBB112_407:
	s_or_b64 exec, exec, s[6:7]
	scratch_load_dwordx4 v[2:5], v152, off
	v_cmp_gt_u32_e32 vcc, 4, v0
	s_waitcnt vmcnt(0)
	ds_write_b128 v9, v[2:5]
	s_waitcnt lgkmcnt(0)
	; wave barrier
	s_waitcnt lgkmcnt(0)
	s_and_saveexec_b64 s[2:3], vcc
	s_cbranch_execz .LBB112_415
; %bb.408:
	ds_read_b128 v[2:5], v9
	s_and_b64 vcc, exec, s[0:1]
	s_cbranch_vccnz .LBB112_410
; %bb.409:
	scratch_load_dwordx4 v[156:159], v8, off
	s_waitcnt vmcnt(0) lgkmcnt(0)
	v_mul_f64 v[10:11], v[2:3], v[158:159]
	v_mul_f64 v[6:7], v[4:5], v[158:159]
	v_fmac_f64_e32 v[10:11], v[4:5], v[156:157]
	v_fma_f64 v[2:3], v[2:3], v[156:157], -v[6:7]
	v_mov_b64_e32 v[4:5], v[10:11]
.LBB112_410:
	v_cmp_ne_u32_e32 vcc, 3, v0
	s_and_saveexec_b64 s[6:7], vcc
	s_cbranch_execz .LBB112_414
; %bb.411:
	v_mov_b32_e32 v7, 0
	v_add_u32_e32 v6, 0x320, v72
	v_add3_u32 v7, v72, v7, 24
	s_mov_b64 s[8:9], 0
	v_mov_b32_e32 v156, v0
.LBB112_412:                            ; =>This Inner Loop Header: Depth=1
	v_add_u32_e32 v10, -8, v7
	scratch_load_dwordx4 v[158:161], v10, off
	ds_read_b128 v[162:165], v6
	v_add_u32_e32 v156, 1, v156
	v_cmp_lt_u32_e32 vcc, 2, v156
	v_add_u32_e32 v6, 16, v6
	v_add_u32_e32 v7, 16, v7
	s_or_b64 s[8:9], vcc, s[8:9]
	s_waitcnt vmcnt(0) lgkmcnt(0)
	v_mul_f64 v[10:11], v[164:165], v[160:161]
	v_mul_f64 v[12:13], v[162:163], v[160:161]
	v_fma_f64 v[10:11], v[162:163], v[158:159], -v[10:11]
	v_fmac_f64_e32 v[12:13], v[164:165], v[158:159]
	v_add_f64 v[2:3], v[2:3], v[10:11]
	v_add_f64 v[4:5], v[4:5], v[12:13]
	s_andn2_b64 exec, exec, s[8:9]
	s_cbranch_execnz .LBB112_412
; %bb.413:
	s_or_b64 exec, exec, s[8:9]
.LBB112_414:
	s_or_b64 exec, exec, s[6:7]
	v_mov_b32_e32 v6, 0
	ds_read_b128 v[156:159], v6 offset:64
	s_waitcnt lgkmcnt(0)
	v_mul_f64 v[6:7], v[4:5], v[158:159]
	v_mul_f64 v[160:161], v[2:3], v[158:159]
	v_fma_f64 v[158:159], v[2:3], v[156:157], -v[6:7]
	v_fmac_f64_e32 v[160:161], v[4:5], v[156:157]
	scratch_store_dwordx4 off, v[158:161], off offset:64
.LBB112_415:
	s_or_b64 exec, exec, s[2:3]
	scratch_load_dwordx4 v[2:5], v151, off
	v_cmp_gt_u32_e32 vcc, 5, v0
	s_waitcnt vmcnt(0)
	ds_write_b128 v9, v[2:5]
	s_waitcnt lgkmcnt(0)
	; wave barrier
	s_waitcnt lgkmcnt(0)
	s_and_saveexec_b64 s[2:3], vcc
	s_cbranch_execz .LBB112_423
; %bb.416:
	ds_read_b128 v[2:5], v9
	s_and_b64 vcc, exec, s[0:1]
	s_cbranch_vccnz .LBB112_418
; %bb.417:
	scratch_load_dwordx4 v[156:159], v8, off
	s_waitcnt vmcnt(0) lgkmcnt(0)
	v_mul_f64 v[10:11], v[2:3], v[158:159]
	v_mul_f64 v[6:7], v[4:5], v[158:159]
	v_fmac_f64_e32 v[10:11], v[4:5], v[156:157]
	v_fma_f64 v[2:3], v[2:3], v[156:157], -v[6:7]
	v_mov_b64_e32 v[4:5], v[10:11]
.LBB112_418:
	v_cmp_ne_u32_e32 vcc, 4, v0
	s_and_saveexec_b64 s[6:7], vcc
	s_cbranch_execz .LBB112_422
; %bb.419:
	v_mov_b32_e32 v7, 0
	v_add_u32_e32 v6, 0x320, v72
	v_add3_u32 v7, v72, v7, 24
	s_mov_b64 s[8:9], 0
	v_mov_b32_e32 v156, v0
.LBB112_420:                            ; =>This Inner Loop Header: Depth=1
	v_add_u32_e32 v10, -8, v7
	scratch_load_dwordx4 v[158:161], v10, off
	ds_read_b128 v[162:165], v6
	v_add_u32_e32 v156, 1, v156
	v_cmp_lt_u32_e32 vcc, 3, v156
	v_add_u32_e32 v6, 16, v6
	v_add_u32_e32 v7, 16, v7
	s_or_b64 s[8:9], vcc, s[8:9]
	s_waitcnt vmcnt(0) lgkmcnt(0)
	v_mul_f64 v[10:11], v[164:165], v[160:161]
	v_mul_f64 v[12:13], v[162:163], v[160:161]
	v_fma_f64 v[10:11], v[162:163], v[158:159], -v[10:11]
	v_fmac_f64_e32 v[12:13], v[164:165], v[158:159]
	v_add_f64 v[2:3], v[2:3], v[10:11]
	v_add_f64 v[4:5], v[4:5], v[12:13]
	s_andn2_b64 exec, exec, s[8:9]
	s_cbranch_execnz .LBB112_420
; %bb.421:
	s_or_b64 exec, exec, s[8:9]
.LBB112_422:
	s_or_b64 exec, exec, s[6:7]
	v_mov_b32_e32 v6, 0
	ds_read_b128 v[156:159], v6 offset:80
	s_waitcnt lgkmcnt(0)
	v_mul_f64 v[6:7], v[4:5], v[158:159]
	v_mul_f64 v[160:161], v[2:3], v[158:159]
	v_fma_f64 v[158:159], v[2:3], v[156:157], -v[6:7]
	v_fmac_f64_e32 v[160:161], v[4:5], v[156:157]
	scratch_store_dwordx4 off, v[158:161], off offset:80
.LBB112_423:
	;; [unrolled: 63-line block ×43, first 2 shown]
	s_or_b64 exec, exec, s[2:3]
	scratch_load_dwordx4 v[2:5], v38, off
	v_cmp_gt_u32_e64 s[2:3], 47, v0
	s_waitcnt vmcnt(0)
	ds_write_b128 v9, v[2:5]
	s_waitcnt lgkmcnt(0)
	; wave barrier
	s_waitcnt lgkmcnt(0)
	s_and_saveexec_b64 s[6:7], s[2:3]
	s_cbranch_execz .LBB112_759
; %bb.752:
	ds_read_b128 v[2:5], v9
	s_and_b64 vcc, exec, s[0:1]
	s_cbranch_vccnz .LBB112_754
; %bb.753:
	scratch_load_dwordx4 v[156:159], v8, off
	s_waitcnt vmcnt(0) lgkmcnt(0)
	v_mul_f64 v[10:11], v[2:3], v[158:159]
	v_mul_f64 v[6:7], v[4:5], v[158:159]
	v_fmac_f64_e32 v[10:11], v[4:5], v[156:157]
	v_fma_f64 v[2:3], v[2:3], v[156:157], -v[6:7]
	v_mov_b64_e32 v[4:5], v[10:11]
.LBB112_754:
	v_cmp_ne_u32_e32 vcc, 46, v0
	s_and_saveexec_b64 s[8:9], vcc
	s_cbranch_execz .LBB112_758
; %bb.755:
	v_mov_b32_e32 v7, 0
	v_add_u32_e32 v6, 0x320, v72
	v_add3_u32 v7, v72, v7, 24
	s_mov_b64 s[10:11], 0
	v_mov_b32_e32 v156, v0
.LBB112_756:                            ; =>This Inner Loop Header: Depth=1
	v_add_u32_e32 v10, -8, v7
	scratch_load_dwordx4 v[158:161], v10, off
	ds_read_b128 v[162:165], v6
	v_add_u32_e32 v156, 1, v156
	v_cmp_lt_u32_e32 vcc, 45, v156
	v_add_u32_e32 v6, 16, v6
	v_add_u32_e32 v7, 16, v7
	s_or_b64 s[10:11], vcc, s[10:11]
	s_waitcnt vmcnt(0) lgkmcnt(0)
	v_mul_f64 v[10:11], v[164:165], v[160:161]
	v_mul_f64 v[12:13], v[162:163], v[160:161]
	v_fma_f64 v[10:11], v[162:163], v[158:159], -v[10:11]
	v_fmac_f64_e32 v[12:13], v[164:165], v[158:159]
	v_add_f64 v[2:3], v[2:3], v[10:11]
	v_add_f64 v[4:5], v[4:5], v[12:13]
	s_andn2_b64 exec, exec, s[10:11]
	s_cbranch_execnz .LBB112_756
; %bb.757:
	s_or_b64 exec, exec, s[10:11]
.LBB112_758:
	s_or_b64 exec, exec, s[8:9]
	v_mov_b32_e32 v6, 0
	ds_read_b128 v[156:159], v6 offset:752
	s_waitcnt lgkmcnt(0)
	v_mul_f64 v[6:7], v[4:5], v[158:159]
	v_mul_f64 v[160:161], v[2:3], v[158:159]
	v_fma_f64 v[158:159], v[2:3], v[156:157], -v[6:7]
	v_fmac_f64_e32 v[160:161], v[4:5], v[156:157]
	scratch_store_dwordx4 off, v[158:161], off offset:752
.LBB112_759:
	s_or_b64 exec, exec, s[6:7]
	scratch_load_dwordx4 v[2:5], v1, off
	v_cmp_ne_u32_e32 vcc, 48, v0
                                        ; implicit-def: $vgpr6_vgpr7
                                        ; implicit-def: $vgpr156
	s_waitcnt vmcnt(0)
	ds_write_b128 v9, v[2:5]
	s_waitcnt lgkmcnt(0)
	; wave barrier
	s_waitcnt lgkmcnt(0)
	s_and_saveexec_b64 s[6:7], vcc
	s_cbranch_execz .LBB112_767
; %bb.760:
	ds_read_b128 v[2:5], v9
	s_and_b64 vcc, exec, s[0:1]
	s_cbranch_vccnz .LBB112_762
; %bb.761:
	scratch_load_dwordx4 v[6:9], v8, off
	s_waitcnt vmcnt(0) lgkmcnt(0)
	v_mul_f64 v[10:11], v[4:5], v[8:9]
	v_mul_f64 v[8:9], v[2:3], v[8:9]
	v_fmac_f64_e32 v[8:9], v[4:5], v[6:7]
	v_fma_f64 v[2:3], v[2:3], v[6:7], -v[10:11]
	v_mov_b64_e32 v[4:5], v[8:9]
.LBB112_762:
	s_and_saveexec_b64 s[0:1], s[2:3]
	s_cbranch_execz .LBB112_766
; %bb.763:
	v_mov_b32_e32 v7, 0
	v_add_u32_e32 v6, 0x320, v72
	v_add3_u32 v7, v72, v7, 24
	s_mov_b64 s[2:3], 0
.LBB112_764:                            ; =>This Inner Loop Header: Depth=1
	v_add_u32_e32 v8, -8, v7
	scratch_load_dwordx4 v[156:159], v8, off
	ds_read_b128 v[160:163], v6
	v_add_u32_e32 v0, 1, v0
	v_cmp_lt_u32_e32 vcc, 46, v0
	v_add_u32_e32 v6, 16, v6
	v_add_u32_e32 v7, 16, v7
	s_or_b64 s[2:3], vcc, s[2:3]
	s_waitcnt vmcnt(0) lgkmcnt(0)
	v_mul_f64 v[8:9], v[162:163], v[158:159]
	v_mul_f64 v[10:11], v[160:161], v[158:159]
	v_fma_f64 v[8:9], v[160:161], v[156:157], -v[8:9]
	v_fmac_f64_e32 v[10:11], v[162:163], v[156:157]
	v_add_f64 v[2:3], v[2:3], v[8:9]
	v_add_f64 v[4:5], v[4:5], v[10:11]
	s_andn2_b64 exec, exec, s[2:3]
	s_cbranch_execnz .LBB112_764
; %bb.765:
	s_or_b64 exec, exec, s[2:3]
.LBB112_766:
	s_or_b64 exec, exec, s[0:1]
	v_mov_b32_e32 v0, 0
	ds_read_b128 v[158:161], v0 offset:768
	v_mov_b32_e32 v0, 0
	v_add_u32_e32 v156, 0x308, v0
	s_or_b64 s[4:5], s[4:5], exec
	s_waitcnt lgkmcnt(0)
	v_mul_f64 v[8:9], v[4:5], v[160:161]
	v_mul_f64 v[6:7], v[2:3], v[160:161]
	v_fma_f64 v[2:3], v[2:3], v[158:159], -v[8:9]
	v_fmac_f64_e32 v[6:7], v[4:5], v[158:159]
	scratch_store_dwordx2 off, v[2:3], off offset:768
.LBB112_767:
	s_or_b64 exec, exec, s[6:7]
.LBB112_768:
	s_and_saveexec_b64 s[0:1], s[4:5]
	s_cbranch_execz .LBB112_770
; %bb.769:
	scratch_store_dwordx2 v156, v[6:7], off
.LBB112_770:
	s_or_b64 exec, exec, s[0:1]
	scratch_load_dwordx4 v[2:5], off, off
	scratch_load_dwordx4 v[6:9], v155, off
	s_nop 0
	scratch_load_dwordx4 v[154:157], v154, off
	s_nop 0
	scratch_load_dwordx4 v[158:161], v153, off
	scratch_load_dwordx4 v[162:165], v152, off
	scratch_load_dwordx4 v[166:169], v151, off
	s_nop 0
	scratch_load_dwordx4 v[150:153], v150, off
	s_nop 0
	scratch_load_dwordx4 v[170:173], v149, off
	scratch_load_dwordx4 v[174:177], v148, off
	;; [unrolled: 6-line block ×8, first 2 shown]
	scratch_load_dwordx4 v[250:253], v123, off
	s_nop 0
	scratch_load_dwordx4 v[122:125], v122, off
	s_waitcnt vmcnt(34)
	global_store_dwordx4 v[22:23], v[2:5], off
	scratch_load_dwordx4 v[2:5], v73, off
	s_nop 0
	scratch_load_dwordx4 v[10:13], v21, off
	s_waitcnt vmcnt(36)
	global_store_dwordx4 v[24:25], v[6:9], off
	;; [unrolled: 5-line block ×7, first 2 shown]
	scratch_load_dwordx4 v[150:153], v38, off
	s_nop 0
	scratch_load_dwordx4 v[36:39], v1, off
	v_accvgpr_read_b32 v0, a0
	v_accvgpr_read_b32 v1, a1
	s_waitcnt vmcnt(48)
	global_store_dwordx4 v[254:255], v[170:173], off
	s_waitcnt vmcnt(48)
	global_store_dwordx4 v[0:1], v[174:177], off
	;; [unrolled: 2-line block ×42, first 2 shown]
.LBB112_771:
	s_endpgm
	.section	.rodata,"a",@progbits
	.p2align	6, 0x0
	.amdhsa_kernel _ZN9rocsolver6v33100L18trti2_kernel_smallILi49E19rocblas_complex_numIdEPKPS3_EEv13rocblas_fill_17rocblas_diagonal_T1_iil
		.amdhsa_group_segment_fixed_size 1568
		.amdhsa_private_segment_fixed_size 800
		.amdhsa_kernarg_size 32
		.amdhsa_user_sgpr_count 2
		.amdhsa_user_sgpr_dispatch_ptr 0
		.amdhsa_user_sgpr_queue_ptr 0
		.amdhsa_user_sgpr_kernarg_segment_ptr 1
		.amdhsa_user_sgpr_dispatch_id 0
		.amdhsa_user_sgpr_kernarg_preload_length 0
		.amdhsa_user_sgpr_kernarg_preload_offset 0
		.amdhsa_user_sgpr_private_segment_size 0
		.amdhsa_uses_dynamic_stack 0
		.amdhsa_enable_private_segment 1
		.amdhsa_system_sgpr_workgroup_id_x 1
		.amdhsa_system_sgpr_workgroup_id_y 0
		.amdhsa_system_sgpr_workgroup_id_z 0
		.amdhsa_system_sgpr_workgroup_info 0
		.amdhsa_system_vgpr_workitem_id 0
		.amdhsa_next_free_vgpr 258
		.amdhsa_next_free_sgpr 12
		.amdhsa_accum_offset 256
		.amdhsa_reserve_vcc 1
		.amdhsa_float_round_mode_32 0
		.amdhsa_float_round_mode_16_64 0
		.amdhsa_float_denorm_mode_32 3
		.amdhsa_float_denorm_mode_16_64 3
		.amdhsa_dx10_clamp 1
		.amdhsa_ieee_mode 1
		.amdhsa_fp16_overflow 0
		.amdhsa_tg_split 0
		.amdhsa_exception_fp_ieee_invalid_op 0
		.amdhsa_exception_fp_denorm_src 0
		.amdhsa_exception_fp_ieee_div_zero 0
		.amdhsa_exception_fp_ieee_overflow 0
		.amdhsa_exception_fp_ieee_underflow 0
		.amdhsa_exception_fp_ieee_inexact 0
		.amdhsa_exception_int_div_zero 0
	.end_amdhsa_kernel
	.section	.text._ZN9rocsolver6v33100L18trti2_kernel_smallILi49E19rocblas_complex_numIdEPKPS3_EEv13rocblas_fill_17rocblas_diagonal_T1_iil,"axG",@progbits,_ZN9rocsolver6v33100L18trti2_kernel_smallILi49E19rocblas_complex_numIdEPKPS3_EEv13rocblas_fill_17rocblas_diagonal_T1_iil,comdat
.Lfunc_end112:
	.size	_ZN9rocsolver6v33100L18trti2_kernel_smallILi49E19rocblas_complex_numIdEPKPS3_EEv13rocblas_fill_17rocblas_diagonal_T1_iil, .Lfunc_end112-_ZN9rocsolver6v33100L18trti2_kernel_smallILi49E19rocblas_complex_numIdEPKPS3_EEv13rocblas_fill_17rocblas_diagonal_T1_iil
                                        ; -- End function
	.section	.AMDGPU.csdata,"",@progbits
; Kernel info:
; codeLenInByte = 32364
; NumSgprs: 18
; NumVgprs: 256
; NumAgprs: 2
; TotalNumVgprs: 258
; ScratchSize: 800
; MemoryBound: 0
; FloatMode: 240
; IeeeMode: 1
; LDSByteSize: 1568 bytes/workgroup (compile time only)
; SGPRBlocks: 2
; VGPRBlocks: 32
; NumSGPRsForWavesPerEU: 18
; NumVGPRsForWavesPerEU: 258
; AccumOffset: 256
; Occupancy: 1
; WaveLimiterHint : 1
; COMPUTE_PGM_RSRC2:SCRATCH_EN: 1
; COMPUTE_PGM_RSRC2:USER_SGPR: 2
; COMPUTE_PGM_RSRC2:TRAP_HANDLER: 0
; COMPUTE_PGM_RSRC2:TGID_X_EN: 1
; COMPUTE_PGM_RSRC2:TGID_Y_EN: 0
; COMPUTE_PGM_RSRC2:TGID_Z_EN: 0
; COMPUTE_PGM_RSRC2:TIDIG_COMP_CNT: 0
; COMPUTE_PGM_RSRC3_GFX90A:ACCUM_OFFSET: 63
; COMPUTE_PGM_RSRC3_GFX90A:TG_SPLIT: 0
	.section	.text._ZN9rocsolver6v33100L18trti2_kernel_smallILi50E19rocblas_complex_numIdEPKPS3_EEv13rocblas_fill_17rocblas_diagonal_T1_iil,"axG",@progbits,_ZN9rocsolver6v33100L18trti2_kernel_smallILi50E19rocblas_complex_numIdEPKPS3_EEv13rocblas_fill_17rocblas_diagonal_T1_iil,comdat
	.globl	_ZN9rocsolver6v33100L18trti2_kernel_smallILi50E19rocblas_complex_numIdEPKPS3_EEv13rocblas_fill_17rocblas_diagonal_T1_iil ; -- Begin function _ZN9rocsolver6v33100L18trti2_kernel_smallILi50E19rocblas_complex_numIdEPKPS3_EEv13rocblas_fill_17rocblas_diagonal_T1_iil
	.p2align	8
	.type	_ZN9rocsolver6v33100L18trti2_kernel_smallILi50E19rocblas_complex_numIdEPKPS3_EEv13rocblas_fill_17rocblas_diagonal_T1_iil,@function
_ZN9rocsolver6v33100L18trti2_kernel_smallILi50E19rocblas_complex_numIdEPKPS3_EEv13rocblas_fill_17rocblas_diagonal_T1_iil: ; @_ZN9rocsolver6v33100L18trti2_kernel_smallILi50E19rocblas_complex_numIdEPKPS3_EEv13rocblas_fill_17rocblas_diagonal_T1_iil
; %bb.0:
	v_cmp_gt_u32_e32 vcc, 50, v0
	s_and_saveexec_b64 s[4:5], vcc
	s_cbranch_execz .LBB113_787
; %bb.1:
	s_load_dwordx2 s[8:9], s[0:1], 0x10
	s_load_dwordx4 s[4:7], s[0:1], 0x0
	s_ashr_i32 s3, s2, 31
	s_lshl_b64 s[2:3], s[2:3], 3
	v_lshlrev_b32_e32 v112, 4, v0
	s_waitcnt lgkmcnt(0)
	s_ashr_i32 s1, s8, 31
	s_add_u32 s2, s6, s2
	s_addc_u32 s3, s7, s3
	s_load_dwordx2 s[2:3], s[2:3], 0x0
	s_mov_b32 s0, s8
	s_lshl_b64 s[0:1], s[0:1], 4
	v_mov_b32_e32 v113, 0
	v_mov_b32_e32 v1, 0
	s_waitcnt lgkmcnt(0)
	s_add_u32 s0, s2, s0
	s_addc_u32 s1, s3, s1
	s_add_i32 s2, s9, s9
	v_add_u32_e32 v6, s2, v0
	v_add_u32_e32 v10, s9, v6
	;; [unrolled: 1-line block ×11, first 2 shown]
	s_mov_b32 s2, s9
	s_ashr_i32 s3, s9, 31
	v_lshl_add_u64 v[36:37], s[0:1], 0, v[112:113]
	v_ashrrev_i32_e32 v11, 31, v10
	v_ashrrev_i32_e32 v15, 31, v14
	v_ashrrev_i32_e32 v25, 31, v24
	v_ashrrev_i32_e32 v27, 31, v26
	v_ashrrev_i32_e32 v33, 31, v32
	v_ashrrev_i32_e32 v39, 31, v38
	v_ashrrev_i32_e32 v7, 31, v6
	v_lshl_add_u64 v[30:31], s[2:3], 4, v[36:37]
	v_lshl_add_u64 v[28:29], v[10:11], 4, s[0:1]
	v_ashrrev_i32_e32 v13, 31, v12
	v_lshl_add_u64 v[22:23], v[14:15], 4, s[0:1]
	v_ashrrev_i32_e32 v17, 31, v16
	v_lshl_add_u64 v[24:25], v[24:25], 4, s[0:1]
	v_lshl_add_u64 v[10:11], v[26:27], 4, s[0:1]
	;; [unrolled: 1-line block ×3, first 2 shown]
	v_ashrrev_i32_e32 v35, 31, v34
	v_lshl_add_u64 v[32:33], v[38:39], 4, s[0:1]
	v_ashrrev_i32_e32 v85, 31, v84
	global_load_dwordx4 v[2:5], v112, s[0:1]
	v_lshl_add_u64 v[18:19], v[6:7], 4, s[0:1]
	global_load_dwordx4 v[6:9], v[30:31], off
	global_load_dwordx4 v[40:43], v[18:19], off
	v_lshl_add_u64 v[20:21], v[12:13], 4, s[0:1]
	global_load_dwordx4 v[44:47], v[28:29], off
	global_load_dwordx4 v[48:51], v[20:21], off
	;; [unrolled: 3-line block ×3, first 2 shown]
	global_load_dwordx4 v[60:63], v[24:25], off
	global_load_dwordx4 v[64:67], v[10:11], off
	v_lshl_add_u64 v[26:27], v[34:35], 4, s[0:1]
	global_load_dwordx4 v[68:71], v[254:255], off
	global_load_dwordx4 v[72:75], v[26:27], off
	v_lshl_add_u64 v[34:35], v[84:85], 4, s[0:1]
	global_load_dwordx4 v[76:79], v[32:33], off
	global_load_dwordx4 v[80:83], v[34:35], off
	v_accvgpr_write_b32 a0, v10
	v_accvgpr_write_b32 a1, v11
	v_add_u32_e32 v10, s9, v84
	v_add_u32_e32 v12, s9, v10
	;; [unrolled: 1-line block ×37, first 2 shown]
	v_ashrrev_i32_e32 v39, 31, v38
	v_lshl_add_u64 v[38:39], v[38:39], 4, s[0:1]
	v_ashrrev_i32_e32 v11, 31, v10
	v_ashrrev_i32_e32 v17, 31, v16
	;; [unrolled: 1-line block ×25, first 2 shown]
	global_load_dwordx4 v[114:117], v[38:39], off
	s_waitcnt vmcnt(13)
	scratch_store_dwordx4 off, v[2:5], off
	s_waitcnt vmcnt(13)
	scratch_store_dwordx4 off, v[6:9], off offset:16
	s_waitcnt vmcnt(13)
	scratch_store_dwordx4 off, v[40:43], off offset:32
	;; [unrolled: 2-line block ×12, first 2 shown]
	v_lshl_add_u64 v[40:41], v[10:11], 4, s[0:1]
	v_ashrrev_i32_e32 v13, 31, v12
	v_lshl_add_u64 v[44:45], v[16:17], 4, s[0:1]
	v_lshl_add_u64 v[46:47], v[84:85], 4, s[0:1]
	;; [unrolled: 1-line block ×15, first 2 shown]
	v_ashrrev_i32_e32 v175, 31, v174
	v_lshl_add_u64 v[76:77], v[182:183], 4, s[0:1]
	v_ashrrev_i32_e32 v185, 31, v184
	v_lshl_add_u64 v[80:81], v[190:191], 4, s[0:1]
	;; [unrolled: 2-line block ×10, first 2 shown]
	global_load_dwordx4 v[2:5], v[40:41], off
	global_load_dwordx4 v[6:9], v[42:43], off
	;; [unrolled: 1-line block ×16, first 2 shown]
	v_lshl_add_u64 v[74:75], v[174:175], 4, s[0:1]
	global_load_dwordx4 v[174:177], v[72:73], off
	global_load_dwordx4 v[178:181], v[74:75], off
	v_lshl_add_u64 v[78:79], v[184:185], 4, s[0:1]
	global_load_dwordx4 v[182:185], v[76:77], off
	global_load_dwordx4 v[186:189], v[78:79], off
	;; [unrolled: 3-line block ×10, first 2 shown]
	s_cmpk_lg_i32 s5, 0x84
	s_cselect_b64 s[6:7], -1, 0
	s_cmpk_eq_i32 s5, 0x84
	s_waitcnt vmcnt(35)
	scratch_store_dwordx4 off, v[2:5], off offset:208
	s_waitcnt vmcnt(35)
	scratch_store_dwordx4 off, v[6:9], off offset:224
	;; [unrolled: 2-line block ×36, first 2 shown]
	scratch_store_dwordx4 off, v[114:117], off offset:784
	s_cbranch_scc1 .LBB113_7
; %bb.2:
	scratch_load_dwordx4 v[8:11], v112, off
                                        ; implicit-def: $vgpr6_vgpr7
	s_waitcnt vmcnt(0)
	v_xor_b32_e32 v3, 0x80000000, v9
	v_cmp_gt_f64_e32 vcc, 0, v[8:9]
	v_xor_b32_e32 v4, 0x80000000, v11
	v_mov_b32_e32 v2, v8
	v_cndmask_b32_e32 v3, v9, v3, vcc
	v_cmp_gt_f64_e32 vcc, 0, v[10:11]
	s_nop 1
	v_cndmask_b32_e32 v5, v11, v4, vcc
	v_mov_b32_e32 v4, v10
	v_cmp_ngt_f64_e32 vcc, v[2:3], v[4:5]
                                        ; implicit-def: $vgpr2_vgpr3
	s_and_saveexec_b64 s[0:1], vcc
	s_xor_b64 s[0:1], exec, s[0:1]
	s_cbranch_execz .LBB113_4
; %bb.3:
	v_div_scale_f64 v[2:3], s[2:3], v[10:11], v[10:11], v[8:9]
	v_rcp_f64_e32 v[4:5], v[2:3]
	v_div_scale_f64 v[6:7], vcc, v[8:9], v[10:11], v[8:9]
	v_fma_f64 v[12:13], -v[2:3], v[4:5], 1.0
	v_fmac_f64_e32 v[4:5], v[4:5], v[12:13]
	v_fma_f64 v[12:13], -v[2:3], v[4:5], 1.0
	v_fmac_f64_e32 v[4:5], v[4:5], v[12:13]
	v_mul_f64 v[12:13], v[6:7], v[4:5]
	v_fma_f64 v[2:3], -v[2:3], v[12:13], v[6:7]
	v_div_fmas_f64 v[2:3], v[2:3], v[4:5], v[12:13]
	v_div_fixup_f64 v[2:3], v[2:3], v[10:11], v[8:9]
	v_fmac_f64_e32 v[10:11], v[8:9], v[2:3]
	v_div_scale_f64 v[4:5], s[2:3], v[10:11], v[10:11], 1.0
	v_rcp_f64_e32 v[6:7], v[4:5]
	s_nop 0
	v_fma_f64 v[8:9], -v[4:5], v[6:7], 1.0
	v_fmac_f64_e32 v[6:7], v[6:7], v[8:9]
	v_fma_f64 v[8:9], -v[4:5], v[6:7], 1.0
	v_fmac_f64_e32 v[6:7], v[6:7], v[8:9]
	v_div_scale_f64 v[8:9], vcc, 1.0, v[10:11], 1.0
	v_mul_f64 v[12:13], v[8:9], v[6:7]
	v_fma_f64 v[4:5], -v[4:5], v[12:13], v[8:9]
                                        ; implicit-def: $vgpr8_vgpr9
	s_nop 1
	v_div_fmas_f64 v[4:5], v[4:5], v[6:7], v[12:13]
	v_div_fixup_f64 v[4:5], v[4:5], v[10:11], 1.0
	v_mul_f64 v[2:3], v[2:3], v[4:5]
	v_xor_b32_e32 v5, 0x80000000, v5
	v_xor_b32_e32 v7, 0x80000000, v3
	v_mov_b32_e32 v6, v2
.LBB113_4:
	s_or_saveexec_b64 s[0:1], s[0:1]
	v_add_u32_e32 v113, 0, v112
	s_xor_b64 exec, exec, s[0:1]
	s_cbranch_execz .LBB113_6
; %bb.5:
	v_div_scale_f64 v[2:3], s[2:3], v[8:9], v[8:9], v[10:11]
	v_rcp_f64_e32 v[4:5], v[2:3]
	v_div_scale_f64 v[6:7], vcc, v[10:11], v[8:9], v[10:11]
	v_fma_f64 v[12:13], -v[2:3], v[4:5], 1.0
	v_fmac_f64_e32 v[4:5], v[4:5], v[12:13]
	v_fma_f64 v[12:13], -v[2:3], v[4:5], 1.0
	v_fmac_f64_e32 v[4:5], v[4:5], v[12:13]
	v_mul_f64 v[12:13], v[6:7], v[4:5]
	v_fma_f64 v[2:3], -v[2:3], v[12:13], v[6:7]
	v_div_fmas_f64 v[2:3], v[2:3], v[4:5], v[12:13]
	v_div_fixup_f64 v[4:5], v[2:3], v[8:9], v[10:11]
	v_fmac_f64_e32 v[8:9], v[10:11], v[4:5]
	v_div_scale_f64 v[2:3], s[2:3], v[8:9], v[8:9], 1.0
	v_rcp_f64_e32 v[6:7], v[2:3]
	s_nop 0
	v_fma_f64 v[10:11], -v[2:3], v[6:7], 1.0
	v_fmac_f64_e32 v[6:7], v[6:7], v[10:11]
	v_fma_f64 v[10:11], -v[2:3], v[6:7], 1.0
	v_fmac_f64_e32 v[6:7], v[6:7], v[10:11]
	v_div_scale_f64 v[10:11], vcc, 1.0, v[8:9], 1.0
	v_mul_f64 v[12:13], v[10:11], v[6:7]
	v_fma_f64 v[2:3], -v[2:3], v[12:13], v[10:11]
	s_nop 1
	v_div_fmas_f64 v[2:3], v[2:3], v[6:7], v[12:13]
	v_div_fixup_f64 v[2:3], v[2:3], v[8:9], 1.0
	v_xor_b32_e32 v7, 0x80000000, v3
	v_mov_b32_e32 v6, v2
	v_mul_f64 v[4:5], v[4:5], -v[2:3]
.LBB113_6:
	s_or_b64 exec, exec, s[0:1]
	scratch_store_dwordx4 v113, v[2:5], off
	s_nop 1
	v_xor_b32_e32 v5, 0x80000000, v5
	s_branch .LBB113_8
.LBB113_7:
	v_mov_b64_e32 v[4:5], 0
	v_mov_b64_e32 v[6:7], -1.0
.LBB113_8:
	v_mov_b32_e32 v8, v4
	v_mov_b32_e32 v9, v5
	v_add_u32_e32 v158, 16, v1
	v_add_u32_e32 v157, 32, v1
	;; [unrolled: 1-line block ×49, first 2 shown]
	ds_write_b128 v112, v[6:9]
	s_cmpk_eq_i32 s4, 0x79
	v_add_u32_e32 v9, 0x320, v112
	v_add_u32_e32 v8, 0, v112
	s_cbranch_scc1 .LBB113_396
; %bb.9:
	scratch_load_dwordx4 v[2:5], v113, off
	v_cmp_eq_u32_e64 s[0:1], 49, v0
	s_waitcnt vmcnt(0)
	ds_write_b128 v9, v[2:5]
	s_waitcnt lgkmcnt(0)
	; wave barrier
	s_waitcnt lgkmcnt(0)
	s_and_saveexec_b64 s[2:3], s[0:1]
	s_cbranch_execz .LBB113_13
; %bb.10:
	ds_read_b128 v[2:5], v9
	s_andn2_b64 vcc, exec, s[6:7]
	s_cbranch_vccnz .LBB113_12
; %bb.11:
	scratch_load_dwordx4 v[160:163], v8, off
	s_waitcnt vmcnt(0) lgkmcnt(0)
	v_mul_f64 v[16:17], v[2:3], v[162:163]
	v_mul_f64 v[6:7], v[4:5], v[162:163]
	v_fmac_f64_e32 v[16:17], v[4:5], v[160:161]
	v_fma_f64 v[2:3], v[2:3], v[160:161], -v[6:7]
	v_mov_b64_e32 v[4:5], v[16:17]
.LBB113_12:
	v_mov_b32_e32 v6, 0
	ds_read_b128 v[160:163], v6 offset:768
	s_waitcnt lgkmcnt(0)
	v_mul_f64 v[6:7], v[4:5], v[162:163]
	v_mul_f64 v[164:165], v[2:3], v[162:163]
	v_fma_f64 v[162:163], v[2:3], v[160:161], -v[6:7]
	v_fmac_f64_e32 v[164:165], v[4:5], v[160:161]
	scratch_store_dwordx4 off, v[162:165], off offset:768
.LBB113_13:
	s_or_b64 exec, exec, s[2:3]
	scratch_load_dwordx4 v[2:5], v116, off
	v_cmp_lt_u32_e64 s[2:3], 47, v0
	s_waitcnt vmcnt(0)
	ds_write_b128 v9, v[2:5]
	s_waitcnt lgkmcnt(0)
	; wave barrier
	s_waitcnt lgkmcnt(0)
	s_and_saveexec_b64 s[4:5], s[2:3]
	s_cbranch_execz .LBB113_19
; %bb.14:
	ds_read_b128 v[2:5], v9
	s_andn2_b64 vcc, exec, s[6:7]
	s_cbranch_vccnz .LBB113_16
; %bb.15:
	scratch_load_dwordx4 v[160:163], v8, off
	s_waitcnt vmcnt(0) lgkmcnt(0)
	v_mul_f64 v[16:17], v[2:3], v[162:163]
	v_mul_f64 v[6:7], v[4:5], v[162:163]
	v_fmac_f64_e32 v[16:17], v[4:5], v[160:161]
	v_fma_f64 v[2:3], v[2:3], v[160:161], -v[6:7]
	v_mov_b64_e32 v[4:5], v[16:17]
.LBB113_16:
	s_and_saveexec_b64 s[8:9], s[0:1]
	s_cbranch_execz .LBB113_18
; %bb.17:
	scratch_load_dwordx4 v[160:163], off, off offset:768
	v_mov_b32_e32 v6, 0
	ds_read_b128 v[164:167], v6 offset:1568
	s_waitcnt vmcnt(0) lgkmcnt(0)
	v_mul_f64 v[6:7], v[164:165], v[162:163]
	v_mul_f64 v[16:17], v[166:167], v[162:163]
	v_fmac_f64_e32 v[6:7], v[166:167], v[160:161]
	v_fma_f64 v[16:17], v[164:165], v[160:161], -v[16:17]
	v_add_f64 v[4:5], v[4:5], v[6:7]
	v_add_f64 v[2:3], v[2:3], v[16:17]
.LBB113_18:
	s_or_b64 exec, exec, s[8:9]
	v_mov_b32_e32 v6, 0
	ds_read_b128 v[160:163], v6 offset:752
	s_waitcnt lgkmcnt(0)
	v_mul_f64 v[6:7], v[4:5], v[162:163]
	v_mul_f64 v[164:165], v[2:3], v[162:163]
	v_fma_f64 v[162:163], v[2:3], v[160:161], -v[6:7]
	v_fmac_f64_e32 v[164:165], v[4:5], v[160:161]
	scratch_store_dwordx4 off, v[162:165], off offset:752
.LBB113_19:
	s_or_b64 exec, exec, s[4:5]
	scratch_load_dwordx4 v[2:5], v117, off
	v_cmp_lt_u32_e64 s[0:1], 46, v0
	s_waitcnt vmcnt(0)
	ds_write_b128 v9, v[2:5]
	s_waitcnt lgkmcnt(0)
	; wave barrier
	s_waitcnt lgkmcnt(0)
	s_and_saveexec_b64 s[4:5], s[0:1]
	s_cbranch_execz .LBB113_27
; %bb.20:
	ds_read_b128 v[2:5], v9
	s_andn2_b64 vcc, exec, s[6:7]
	s_cbranch_vccnz .LBB113_22
; %bb.21:
	scratch_load_dwordx4 v[160:163], v8, off
	s_waitcnt vmcnt(0) lgkmcnt(0)
	v_mul_f64 v[16:17], v[2:3], v[162:163]
	v_mul_f64 v[6:7], v[4:5], v[162:163]
	v_fmac_f64_e32 v[16:17], v[4:5], v[160:161]
	v_fma_f64 v[2:3], v[2:3], v[160:161], -v[6:7]
	v_mov_b64_e32 v[4:5], v[16:17]
.LBB113_22:
	s_and_saveexec_b64 s[8:9], s[2:3]
	s_cbranch_execz .LBB113_26
; %bb.23:
	v_mov_b32_e32 v7, 0
	v_subrev_u32_e32 v6, 47, v0
	v_add_u32_e32 v7, 0x2f8, v7
	s_movk_i32 s10, 0x610
	s_mov_b64 s[2:3], 0
.LBB113_24:                             ; =>This Inner Loop Header: Depth=1
	v_add_u32_e32 v16, -8, v7
	scratch_load_dwordx4 v[160:163], v16, off
	v_mov_b32_e32 v16, s10
	ds_read_b128 v[164:167], v16
	v_add_u32_e32 v6, -1, v6
	s_add_i32 s10, s10, 16
	v_cmp_eq_u32_e32 vcc, 0, v6
	v_add_u32_e32 v7, 16, v7
	s_or_b64 s[2:3], vcc, s[2:3]
	s_waitcnt vmcnt(0) lgkmcnt(0)
	v_mul_f64 v[16:17], v[166:167], v[162:163]
	v_mul_f64 v[114:115], v[164:165], v[162:163]
	v_fma_f64 v[16:17], v[164:165], v[160:161], -v[16:17]
	v_fmac_f64_e32 v[114:115], v[166:167], v[160:161]
	v_add_f64 v[2:3], v[2:3], v[16:17]
	v_add_f64 v[4:5], v[4:5], v[114:115]
	s_andn2_b64 exec, exec, s[2:3]
	s_cbranch_execnz .LBB113_24
; %bb.25:
	s_or_b64 exec, exec, s[2:3]
.LBB113_26:
	s_or_b64 exec, exec, s[8:9]
	v_mov_b32_e32 v6, 0
	ds_read_b128 v[160:163], v6 offset:736
	s_waitcnt lgkmcnt(0)
	v_mul_f64 v[6:7], v[4:5], v[162:163]
	v_mul_f64 v[164:165], v[2:3], v[162:163]
	v_fma_f64 v[162:163], v[2:3], v[160:161], -v[6:7]
	v_fmac_f64_e32 v[164:165], v[4:5], v[160:161]
	scratch_store_dwordx4 off, v[162:165], off offset:736
.LBB113_27:
	s_or_b64 exec, exec, s[4:5]
	scratch_load_dwordx4 v[2:5], v118, off
	v_cmp_lt_u32_e64 s[2:3], 45, v0
	s_waitcnt vmcnt(0)
	ds_write_b128 v9, v[2:5]
	s_waitcnt lgkmcnt(0)
	; wave barrier
	s_waitcnt lgkmcnt(0)
	s_and_saveexec_b64 s[4:5], s[2:3]
	s_cbranch_execz .LBB113_35
; %bb.28:
	ds_read_b128 v[2:5], v9
	s_andn2_b64 vcc, exec, s[6:7]
	s_cbranch_vccnz .LBB113_30
; %bb.29:
	scratch_load_dwordx4 v[160:163], v8, off
	s_waitcnt vmcnt(0) lgkmcnt(0)
	v_mul_f64 v[16:17], v[2:3], v[162:163]
	v_mul_f64 v[6:7], v[4:5], v[162:163]
	v_fmac_f64_e32 v[16:17], v[4:5], v[160:161]
	v_fma_f64 v[2:3], v[2:3], v[160:161], -v[6:7]
	v_mov_b64_e32 v[4:5], v[16:17]
.LBB113_30:
	s_and_saveexec_b64 s[8:9], s[0:1]
	s_cbranch_execz .LBB113_34
; %bb.31:
	v_mov_b32_e32 v7, 0
	v_subrev_u32_e32 v6, 46, v0
	v_add_u32_e32 v7, 0x2e8, v7
	s_movk_i32 s10, 0x600
	s_mov_b64 s[0:1], 0
.LBB113_32:                             ; =>This Inner Loop Header: Depth=1
	v_add_u32_e32 v16, -8, v7
	scratch_load_dwordx4 v[160:163], v16, off
	v_mov_b32_e32 v16, s10
	ds_read_b128 v[164:167], v16
	v_add_u32_e32 v6, -1, v6
	s_add_i32 s10, s10, 16
	v_cmp_eq_u32_e32 vcc, 0, v6
	v_add_u32_e32 v7, 16, v7
	s_or_b64 s[0:1], vcc, s[0:1]
	s_waitcnt vmcnt(0) lgkmcnt(0)
	v_mul_f64 v[16:17], v[166:167], v[162:163]
	v_mul_f64 v[114:115], v[164:165], v[162:163]
	v_fma_f64 v[16:17], v[164:165], v[160:161], -v[16:17]
	v_fmac_f64_e32 v[114:115], v[166:167], v[160:161]
	v_add_f64 v[2:3], v[2:3], v[16:17]
	v_add_f64 v[4:5], v[4:5], v[114:115]
	s_andn2_b64 exec, exec, s[0:1]
	s_cbranch_execnz .LBB113_32
; %bb.33:
	s_or_b64 exec, exec, s[0:1]
.LBB113_34:
	s_or_b64 exec, exec, s[8:9]
	v_mov_b32_e32 v6, 0
	ds_read_b128 v[160:163], v6 offset:720
	s_waitcnt lgkmcnt(0)
	v_mul_f64 v[6:7], v[4:5], v[162:163]
	v_mul_f64 v[164:165], v[2:3], v[162:163]
	v_fma_f64 v[162:163], v[2:3], v[160:161], -v[6:7]
	v_fmac_f64_e32 v[164:165], v[4:5], v[160:161]
	scratch_store_dwordx4 off, v[162:165], off offset:720
.LBB113_35:
	;; [unrolled: 63-line block ×10, first 2 shown]
	s_or_b64 exec, exec, s[4:5]
	scratch_load_dwordx4 v[2:5], v123, off
	v_cmp_lt_u32_e64 s[0:1], 36, v0
	s_waitcnt vmcnt(0)
	ds_write_b128 v9, v[2:5]
	s_waitcnt lgkmcnt(0)
	; wave barrier
	s_waitcnt lgkmcnt(0)
	s_and_saveexec_b64 s[4:5], s[0:1]
	s_cbranch_execz .LBB113_107
; %bb.100:
	ds_read_b128 v[2:5], v9
	s_andn2_b64 vcc, exec, s[6:7]
	s_cbranch_vccnz .LBB113_102
; %bb.101:
	scratch_load_dwordx4 v[160:163], v8, off
	s_waitcnt vmcnt(0) lgkmcnt(0)
	v_mul_f64 v[16:17], v[2:3], v[162:163]
	v_mul_f64 v[6:7], v[4:5], v[162:163]
	v_fmac_f64_e32 v[16:17], v[4:5], v[160:161]
	v_fma_f64 v[2:3], v[2:3], v[160:161], -v[6:7]
	v_mov_b64_e32 v[4:5], v[16:17]
.LBB113_102:
	s_and_saveexec_b64 s[8:9], s[2:3]
	s_cbranch_execz .LBB113_106
; %bb.103:
	v_mov_b32_e32 v7, 0
	v_subrev_u32_e32 v6, 37, v0
	v_add_u32_e32 v7, 0x258, v7
	s_movk_i32 s10, 0x570
	s_mov_b64 s[2:3], 0
.LBB113_104:                            ; =>This Inner Loop Header: Depth=1
	v_add_u32_e32 v16, -8, v7
	scratch_load_dwordx4 v[160:163], v16, off
	v_mov_b32_e32 v16, s10
	ds_read_b128 v[164:167], v16
	v_add_u32_e32 v6, -1, v6
	s_add_i32 s10, s10, 16
	v_cmp_eq_u32_e32 vcc, 0, v6
	v_add_u32_e32 v7, 16, v7
	s_or_b64 s[2:3], vcc, s[2:3]
	s_waitcnt vmcnt(0) lgkmcnt(0)
	v_mul_f64 v[16:17], v[166:167], v[162:163]
	v_mul_f64 v[114:115], v[164:165], v[162:163]
	v_fma_f64 v[16:17], v[164:165], v[160:161], -v[16:17]
	v_fmac_f64_e32 v[114:115], v[166:167], v[160:161]
	v_add_f64 v[2:3], v[2:3], v[16:17]
	v_add_f64 v[4:5], v[4:5], v[114:115]
	s_andn2_b64 exec, exec, s[2:3]
	s_cbranch_execnz .LBB113_104
; %bb.105:
	s_or_b64 exec, exec, s[2:3]
.LBB113_106:
	s_or_b64 exec, exec, s[8:9]
	v_mov_b32_e32 v6, 0
	ds_read_b128 v[160:163], v6 offset:576
	s_waitcnt lgkmcnt(0)
	v_mul_f64 v[6:7], v[4:5], v[162:163]
	v_mul_f64 v[164:165], v[2:3], v[162:163]
	v_fma_f64 v[162:163], v[2:3], v[160:161], -v[6:7]
	v_fmac_f64_e32 v[164:165], v[4:5], v[160:161]
	scratch_store_dwordx4 off, v[162:165], off offset:576
.LBB113_107:
	s_or_b64 exec, exec, s[4:5]
	scratch_load_dwordx4 v[2:5], v124, off
	v_cmp_lt_u32_e64 s[2:3], 35, v0
	s_waitcnt vmcnt(0)
	ds_write_b128 v9, v[2:5]
	s_waitcnt lgkmcnt(0)
	; wave barrier
	s_waitcnt lgkmcnt(0)
	s_and_saveexec_b64 s[4:5], s[2:3]
	s_cbranch_execz .LBB113_115
; %bb.108:
	ds_read_b128 v[2:5], v9
	s_andn2_b64 vcc, exec, s[6:7]
	s_cbranch_vccnz .LBB113_110
; %bb.109:
	scratch_load_dwordx4 v[160:163], v8, off
	s_waitcnt vmcnt(0) lgkmcnt(0)
	v_mul_f64 v[16:17], v[2:3], v[162:163]
	v_mul_f64 v[6:7], v[4:5], v[162:163]
	v_fmac_f64_e32 v[16:17], v[4:5], v[160:161]
	v_fma_f64 v[2:3], v[2:3], v[160:161], -v[6:7]
	v_mov_b64_e32 v[4:5], v[16:17]
.LBB113_110:
	s_and_saveexec_b64 s[8:9], s[0:1]
	s_cbranch_execz .LBB113_114
; %bb.111:
	v_mov_b32_e32 v7, 0
	v_subrev_u32_e32 v6, 36, v0
	v_add_u32_e32 v7, 0x248, v7
	s_movk_i32 s10, 0x560
	s_mov_b64 s[0:1], 0
.LBB113_112:                            ; =>This Inner Loop Header: Depth=1
	v_add_u32_e32 v16, -8, v7
	scratch_load_dwordx4 v[160:163], v16, off
	v_mov_b32_e32 v16, s10
	ds_read_b128 v[164:167], v16
	v_add_u32_e32 v6, -1, v6
	s_add_i32 s10, s10, 16
	v_cmp_eq_u32_e32 vcc, 0, v6
	v_add_u32_e32 v7, 16, v7
	s_or_b64 s[0:1], vcc, s[0:1]
	s_waitcnt vmcnt(0) lgkmcnt(0)
	v_mul_f64 v[16:17], v[166:167], v[162:163]
	v_mul_f64 v[114:115], v[164:165], v[162:163]
	v_fma_f64 v[16:17], v[164:165], v[160:161], -v[16:17]
	v_fmac_f64_e32 v[114:115], v[166:167], v[160:161]
	v_add_f64 v[2:3], v[2:3], v[16:17]
	v_add_f64 v[4:5], v[4:5], v[114:115]
	s_andn2_b64 exec, exec, s[0:1]
	s_cbranch_execnz .LBB113_112
; %bb.113:
	s_or_b64 exec, exec, s[0:1]
.LBB113_114:
	s_or_b64 exec, exec, s[8:9]
	v_mov_b32_e32 v6, 0
	ds_read_b128 v[160:163], v6 offset:560
	s_waitcnt lgkmcnt(0)
	v_mul_f64 v[6:7], v[4:5], v[162:163]
	v_mul_f64 v[164:165], v[2:3], v[162:163]
	v_fma_f64 v[162:163], v[2:3], v[160:161], -v[6:7]
	v_fmac_f64_e32 v[164:165], v[4:5], v[160:161]
	scratch_store_dwordx4 off, v[162:165], off offset:560
.LBB113_115:
	;; [unrolled: 63-line block ×21, first 2 shown]
	s_or_b64 exec, exec, s[4:5]
	scratch_load_dwordx4 v[2:5], v144, off
	v_cmp_lt_u32_e64 s[2:3], 15, v0
	s_waitcnt vmcnt(0)
	ds_write_b128 v9, v[2:5]
	s_waitcnt lgkmcnt(0)
	; wave barrier
	s_waitcnt lgkmcnt(0)
	s_and_saveexec_b64 s[4:5], s[2:3]
	s_cbranch_execz .LBB113_275
; %bb.268:
	ds_read_b128 v[2:5], v9
	s_andn2_b64 vcc, exec, s[6:7]
	s_cbranch_vccnz .LBB113_270
; %bb.269:
	scratch_load_dwordx4 v[160:163], v8, off
	s_waitcnt vmcnt(0) lgkmcnt(0)
	v_mul_f64 v[16:17], v[2:3], v[162:163]
	v_mul_f64 v[6:7], v[4:5], v[162:163]
	v_fmac_f64_e32 v[16:17], v[4:5], v[160:161]
	v_fma_f64 v[2:3], v[2:3], v[160:161], -v[6:7]
	v_mov_b64_e32 v[4:5], v[16:17]
.LBB113_270:
	s_and_saveexec_b64 s[8:9], s[0:1]
	s_cbranch_execz .LBB113_274
; %bb.271:
	v_mov_b32_e32 v7, 0
	v_add_u32_e32 v6, -16, v0
	v_add_u32_e32 v7, 0x108, v7
	s_movk_i32 s10, 0x420
	s_mov_b64 s[0:1], 0
.LBB113_272:                            ; =>This Inner Loop Header: Depth=1
	v_add_u32_e32 v16, -8, v7
	scratch_load_dwordx4 v[160:163], v16, off
	v_mov_b32_e32 v16, s10
	ds_read_b128 v[164:167], v16
	v_add_u32_e32 v6, -1, v6
	s_add_i32 s10, s10, 16
	v_cmp_eq_u32_e32 vcc, 0, v6
	v_add_u32_e32 v7, 16, v7
	s_or_b64 s[0:1], vcc, s[0:1]
	s_waitcnt vmcnt(0) lgkmcnt(0)
	v_mul_f64 v[16:17], v[166:167], v[162:163]
	v_mul_f64 v[114:115], v[164:165], v[162:163]
	v_fma_f64 v[16:17], v[164:165], v[160:161], -v[16:17]
	v_fmac_f64_e32 v[114:115], v[166:167], v[160:161]
	v_add_f64 v[2:3], v[2:3], v[16:17]
	v_add_f64 v[4:5], v[4:5], v[114:115]
	s_andn2_b64 exec, exec, s[0:1]
	s_cbranch_execnz .LBB113_272
; %bb.273:
	s_or_b64 exec, exec, s[0:1]
.LBB113_274:
	s_or_b64 exec, exec, s[8:9]
	v_mov_b32_e32 v6, 0
	ds_read_b128 v[160:163], v6 offset:240
	s_waitcnt lgkmcnt(0)
	v_mul_f64 v[6:7], v[4:5], v[162:163]
	v_mul_f64 v[164:165], v[2:3], v[162:163]
	v_fma_f64 v[162:163], v[2:3], v[160:161], -v[6:7]
	v_fmac_f64_e32 v[164:165], v[4:5], v[160:161]
	scratch_store_dwordx4 off, v[162:165], off offset:240
.LBB113_275:
	s_or_b64 exec, exec, s[4:5]
	scratch_load_dwordx4 v[2:5], v145, off
	v_cmp_lt_u32_e64 s[0:1], 14, v0
	s_waitcnt vmcnt(0)
	ds_write_b128 v9, v[2:5]
	s_waitcnt lgkmcnt(0)
	; wave barrier
	s_waitcnt lgkmcnt(0)
	s_and_saveexec_b64 s[4:5], s[0:1]
	s_cbranch_execz .LBB113_283
; %bb.276:
	ds_read_b128 v[2:5], v9
	s_andn2_b64 vcc, exec, s[6:7]
	s_cbranch_vccnz .LBB113_278
; %bb.277:
	scratch_load_dwordx4 v[160:163], v8, off
	s_waitcnt vmcnt(0) lgkmcnt(0)
	v_mul_f64 v[16:17], v[2:3], v[162:163]
	v_mul_f64 v[6:7], v[4:5], v[162:163]
	v_fmac_f64_e32 v[16:17], v[4:5], v[160:161]
	v_fma_f64 v[2:3], v[2:3], v[160:161], -v[6:7]
	v_mov_b64_e32 v[4:5], v[16:17]
.LBB113_278:
	s_and_saveexec_b64 s[8:9], s[2:3]
	s_cbranch_execz .LBB113_282
; %bb.279:
	v_mov_b32_e32 v7, 0
	v_add_u32_e32 v6, -15, v0
	v_add_u32_e32 v7, 0xf8, v7
	s_movk_i32 s10, 0x410
	s_mov_b64 s[2:3], 0
.LBB113_280:                            ; =>This Inner Loop Header: Depth=1
	v_add_u32_e32 v16, -8, v7
	scratch_load_dwordx4 v[160:163], v16, off
	v_mov_b32_e32 v16, s10
	ds_read_b128 v[164:167], v16
	v_add_u32_e32 v6, -1, v6
	s_add_i32 s10, s10, 16
	v_cmp_eq_u32_e32 vcc, 0, v6
	v_add_u32_e32 v7, 16, v7
	s_or_b64 s[2:3], vcc, s[2:3]
	s_waitcnt vmcnt(0) lgkmcnt(0)
	v_mul_f64 v[16:17], v[166:167], v[162:163]
	v_mul_f64 v[114:115], v[164:165], v[162:163]
	v_fma_f64 v[16:17], v[164:165], v[160:161], -v[16:17]
	v_fmac_f64_e32 v[114:115], v[166:167], v[160:161]
	v_add_f64 v[2:3], v[2:3], v[16:17]
	v_add_f64 v[4:5], v[4:5], v[114:115]
	s_andn2_b64 exec, exec, s[2:3]
	s_cbranch_execnz .LBB113_280
; %bb.281:
	s_or_b64 exec, exec, s[2:3]
.LBB113_282:
	s_or_b64 exec, exec, s[8:9]
	v_mov_b32_e32 v6, 0
	ds_read_b128 v[160:163], v6 offset:224
	s_waitcnt lgkmcnt(0)
	v_mul_f64 v[6:7], v[4:5], v[162:163]
	v_mul_f64 v[164:165], v[2:3], v[162:163]
	v_fma_f64 v[162:163], v[2:3], v[160:161], -v[6:7]
	v_fmac_f64_e32 v[164:165], v[4:5], v[160:161]
	scratch_store_dwordx4 off, v[162:165], off offset:224
.LBB113_283:
	;; [unrolled: 63-line block ×15, first 2 shown]
	s_or_b64 exec, exec, s[2:3]
	scratch_load_dwordx4 v[2:5], off, off
	v_cmp_ne_u32_e32 vcc, 0, v0
	s_mov_b64 s[2:3], 0
	s_mov_b64 s[4:5], 0
                                        ; implicit-def: $vgpr6_vgpr7
                                        ; implicit-def: $vgpr159
	s_waitcnt vmcnt(0)
	ds_write_b128 v9, v[2:5]
	s_waitcnt lgkmcnt(0)
	; wave barrier
	s_waitcnt lgkmcnt(0)
	s_and_saveexec_b64 s[8:9], vcc
	s_cbranch_execz .LBB113_395
; %bb.388:
	ds_read_b128 v[2:5], v9
	s_andn2_b64 vcc, exec, s[6:7]
	s_cbranch_vccnz .LBB113_390
; %bb.389:
	scratch_load_dwordx4 v[160:163], v8, off
	s_waitcnt vmcnt(0) lgkmcnt(0)
	v_mul_f64 v[16:17], v[2:3], v[162:163]
	v_mul_f64 v[6:7], v[4:5], v[162:163]
	v_fmac_f64_e32 v[16:17], v[4:5], v[160:161]
	v_fma_f64 v[2:3], v[2:3], v[160:161], -v[6:7]
	v_mov_b64_e32 v[4:5], v[16:17]
.LBB113_390:
	s_and_saveexec_b64 s[4:5], s[0:1]
	s_cbranch_execz .LBB113_394
; %bb.391:
	v_mov_b32_e32 v7, 0
	v_add_u32_e32 v6, -1, v0
	v_add_u32_e32 v7, 24, v7
	s_movk_i32 s10, 0x330
	s_mov_b64 s[0:1], 0
.LBB113_392:                            ; =>This Inner Loop Header: Depth=1
	v_add_u32_e32 v16, -8, v7
	scratch_load_dwordx4 v[160:163], v16, off
	v_mov_b32_e32 v16, s10
	ds_read_b128 v[164:167], v16
	v_add_u32_e32 v6, -1, v6
	s_add_i32 s10, s10, 16
	v_cmp_eq_u32_e32 vcc, 0, v6
	v_add_u32_e32 v7, 16, v7
	s_or_b64 s[0:1], vcc, s[0:1]
	s_waitcnt vmcnt(0) lgkmcnt(0)
	v_mul_f64 v[16:17], v[166:167], v[162:163]
	v_mul_f64 v[114:115], v[164:165], v[162:163]
	v_fma_f64 v[16:17], v[164:165], v[160:161], -v[16:17]
	v_fmac_f64_e32 v[114:115], v[166:167], v[160:161]
	v_add_f64 v[2:3], v[2:3], v[16:17]
	v_add_f64 v[4:5], v[4:5], v[114:115]
	s_andn2_b64 exec, exec, s[0:1]
	s_cbranch_execnz .LBB113_392
; %bb.393:
	s_or_b64 exec, exec, s[0:1]
.LBB113_394:
	s_or_b64 exec, exec, s[4:5]
	v_mov_b32_e32 v6, 0
	ds_read_b128 v[160:163], v6
	v_mov_b32_e32 v6, 0
	v_or_b32_e32 v159, 8, v6
	s_mov_b64 s[4:5], exec
	s_waitcnt lgkmcnt(0)
	v_mul_f64 v[16:17], v[4:5], v[162:163]
	v_mul_f64 v[6:7], v[2:3], v[162:163]
	v_fma_f64 v[2:3], v[2:3], v[160:161], -v[16:17]
	v_fmac_f64_e32 v[6:7], v[4:5], v[160:161]
	scratch_store_dwordx2 off, v[2:3], off
.LBB113_395:
	s_or_b64 exec, exec, s[8:9]
	s_and_b64 vcc, exec, s[2:3]
	s_cbranch_vccnz .LBB113_397
	s_branch .LBB113_784
.LBB113_396:
	s_mov_b64 s[4:5], 0
                                        ; implicit-def: $vgpr6_vgpr7
                                        ; implicit-def: $vgpr159
	s_cbranch_execz .LBB113_784
.LBB113_397:
	scratch_load_dwordx4 v[2:5], v158, off
	v_cndmask_b32_e64 v6, 0, 1, s[6:7]
	v_cmp_eq_u32_e64 s[2:3], 0, v0
	v_cmp_ne_u32_e64 s[0:1], 1, v6
	s_waitcnt vmcnt(0)
	ds_write_b128 v9, v[2:5]
	s_waitcnt lgkmcnt(0)
	; wave barrier
	s_waitcnt lgkmcnt(0)
	s_and_saveexec_b64 s[6:7], s[2:3]
	s_cbranch_execz .LBB113_401
; %bb.398:
	ds_read_b128 v[2:5], v9
	s_and_b64 vcc, exec, s[0:1]
	s_cbranch_vccnz .LBB113_400
; %bb.399:
	scratch_load_dwordx4 v[160:163], v8, off
	s_waitcnt vmcnt(0) lgkmcnt(0)
	v_mul_f64 v[16:17], v[2:3], v[162:163]
	v_mul_f64 v[6:7], v[4:5], v[162:163]
	v_fmac_f64_e32 v[16:17], v[4:5], v[160:161]
	v_fma_f64 v[2:3], v[2:3], v[160:161], -v[6:7]
	v_mov_b64_e32 v[4:5], v[16:17]
.LBB113_400:
	v_mov_b32_e32 v6, 0
	ds_read_b128 v[160:163], v6 offset:16
	s_waitcnt lgkmcnt(0)
	v_mul_f64 v[6:7], v[4:5], v[162:163]
	v_mul_f64 v[164:165], v[2:3], v[162:163]
	v_fma_f64 v[162:163], v[2:3], v[160:161], -v[6:7]
	v_fmac_f64_e32 v[164:165], v[4:5], v[160:161]
	scratch_store_dwordx4 off, v[162:165], off offset:16
.LBB113_401:
	s_or_b64 exec, exec, s[6:7]
	scratch_load_dwordx4 v[2:5], v157, off
	v_cmp_gt_u32_e32 vcc, 2, v0
	s_waitcnt vmcnt(0)
	ds_write_b128 v9, v[2:5]
	s_waitcnt lgkmcnt(0)
	; wave barrier
	s_waitcnt lgkmcnt(0)
	s_and_saveexec_b64 s[6:7], vcc
	s_cbranch_execz .LBB113_407
; %bb.402:
	ds_read_b128 v[2:5], v9
	s_and_b64 vcc, exec, s[0:1]
	s_cbranch_vccnz .LBB113_404
; %bb.403:
	scratch_load_dwordx4 v[160:163], v8, off
	s_waitcnt vmcnt(0) lgkmcnt(0)
	v_mul_f64 v[16:17], v[2:3], v[162:163]
	v_mul_f64 v[6:7], v[4:5], v[162:163]
	v_fmac_f64_e32 v[16:17], v[4:5], v[160:161]
	v_fma_f64 v[2:3], v[2:3], v[160:161], -v[6:7]
	v_mov_b64_e32 v[4:5], v[16:17]
.LBB113_404:
	s_and_saveexec_b64 s[8:9], s[2:3]
	s_cbranch_execz .LBB113_406
; %bb.405:
	scratch_load_dwordx4 v[160:163], v8, off offset:16
	ds_read_b128 v[164:167], v9 offset:16
	s_waitcnt vmcnt(0) lgkmcnt(0)
	v_mul_f64 v[6:7], v[166:167], v[162:163]
	v_mul_f64 v[16:17], v[164:165], v[162:163]
	v_fma_f64 v[6:7], v[164:165], v[160:161], -v[6:7]
	v_fmac_f64_e32 v[16:17], v[166:167], v[160:161]
	v_add_f64 v[2:3], v[2:3], v[6:7]
	v_add_f64 v[4:5], v[4:5], v[16:17]
.LBB113_406:
	s_or_b64 exec, exec, s[8:9]
	v_mov_b32_e32 v6, 0
	ds_read_b128 v[160:163], v6 offset:32
	s_waitcnt lgkmcnt(0)
	v_mul_f64 v[6:7], v[4:5], v[162:163]
	v_mul_f64 v[164:165], v[2:3], v[162:163]
	v_fma_f64 v[162:163], v[2:3], v[160:161], -v[6:7]
	v_fmac_f64_e32 v[164:165], v[4:5], v[160:161]
	scratch_store_dwordx4 off, v[162:165], off offset:32
.LBB113_407:
	s_or_b64 exec, exec, s[6:7]
	scratch_load_dwordx4 v[2:5], v156, off
	v_cmp_gt_u32_e32 vcc, 3, v0
	s_waitcnt vmcnt(0)
	ds_write_b128 v9, v[2:5]
	s_waitcnt lgkmcnt(0)
	; wave barrier
	s_waitcnt lgkmcnt(0)
	s_and_saveexec_b64 s[6:7], vcc
	s_cbranch_execz .LBB113_415
; %bb.408:
	ds_read_b128 v[2:5], v9
	s_and_b64 vcc, exec, s[0:1]
	s_cbranch_vccnz .LBB113_410
; %bb.409:
	scratch_load_dwordx4 v[160:163], v8, off
	s_waitcnt vmcnt(0) lgkmcnt(0)
	v_mul_f64 v[16:17], v[2:3], v[162:163]
	v_mul_f64 v[6:7], v[4:5], v[162:163]
	v_fmac_f64_e32 v[16:17], v[4:5], v[160:161]
	v_fma_f64 v[2:3], v[2:3], v[160:161], -v[6:7]
	v_mov_b64_e32 v[4:5], v[16:17]
.LBB113_410:
	v_cmp_ne_u32_e32 vcc, 2, v0
	s_and_saveexec_b64 s[8:9], vcc
	s_cbranch_execz .LBB113_414
; %bb.411:
	scratch_load_dwordx4 v[160:163], v8, off offset:16
	ds_read_b128 v[164:167], v9 offset:16
	s_waitcnt vmcnt(0) lgkmcnt(0)
	v_mul_f64 v[6:7], v[166:167], v[162:163]
	v_mul_f64 v[16:17], v[164:165], v[162:163]
	v_fma_f64 v[6:7], v[164:165], v[160:161], -v[6:7]
	v_fmac_f64_e32 v[16:17], v[166:167], v[160:161]
	v_add_f64 v[2:3], v[2:3], v[6:7]
	v_add_f64 v[4:5], v[4:5], v[16:17]
	s_and_saveexec_b64 s[10:11], s[2:3]
	s_cbranch_execz .LBB113_413
; %bb.412:
	scratch_load_dwordx4 v[160:163], off, off offset:32
	v_mov_b32_e32 v6, 0
	ds_read_b128 v[164:167], v6 offset:832
	s_waitcnt vmcnt(0) lgkmcnt(0)
	v_mul_f64 v[6:7], v[164:165], v[162:163]
	v_mul_f64 v[16:17], v[166:167], v[162:163]
	v_fmac_f64_e32 v[6:7], v[166:167], v[160:161]
	v_fma_f64 v[16:17], v[164:165], v[160:161], -v[16:17]
	v_add_f64 v[4:5], v[4:5], v[6:7]
	v_add_f64 v[2:3], v[2:3], v[16:17]
.LBB113_413:
	s_or_b64 exec, exec, s[10:11]
.LBB113_414:
	s_or_b64 exec, exec, s[8:9]
	v_mov_b32_e32 v6, 0
	ds_read_b128 v[160:163], v6 offset:48
	s_waitcnt lgkmcnt(0)
	v_mul_f64 v[6:7], v[4:5], v[162:163]
	v_mul_f64 v[164:165], v[2:3], v[162:163]
	v_fma_f64 v[162:163], v[2:3], v[160:161], -v[6:7]
	v_fmac_f64_e32 v[164:165], v[4:5], v[160:161]
	scratch_store_dwordx4 off, v[162:165], off offset:48
.LBB113_415:
	s_or_b64 exec, exec, s[6:7]
	scratch_load_dwordx4 v[2:5], v155, off
	v_cmp_gt_u32_e32 vcc, 4, v0
	s_waitcnt vmcnt(0)
	ds_write_b128 v9, v[2:5]
	s_waitcnt lgkmcnt(0)
	; wave barrier
	s_waitcnt lgkmcnt(0)
	s_and_saveexec_b64 s[2:3], vcc
	s_cbranch_execz .LBB113_423
; %bb.416:
	ds_read_b128 v[2:5], v9
	s_and_b64 vcc, exec, s[0:1]
	s_cbranch_vccnz .LBB113_418
; %bb.417:
	scratch_load_dwordx4 v[160:163], v8, off
	s_waitcnt vmcnt(0) lgkmcnt(0)
	v_mul_f64 v[16:17], v[2:3], v[162:163]
	v_mul_f64 v[6:7], v[4:5], v[162:163]
	v_fmac_f64_e32 v[16:17], v[4:5], v[160:161]
	v_fma_f64 v[2:3], v[2:3], v[160:161], -v[6:7]
	v_mov_b64_e32 v[4:5], v[16:17]
.LBB113_418:
	v_cmp_ne_u32_e32 vcc, 3, v0
	s_and_saveexec_b64 s[6:7], vcc
	s_cbranch_execz .LBB113_422
; %bb.419:
	v_mov_b32_e32 v7, 0
	v_add_u32_e32 v6, 0x330, v112
	v_add3_u32 v7, v112, v7, 24
	s_mov_b64 s[8:9], 0
	v_mov_b32_e32 v159, v0
.LBB113_420:                            ; =>This Inner Loop Header: Depth=1
	v_add_u32_e32 v16, -8, v7
	scratch_load_dwordx4 v[160:163], v16, off
	ds_read_b128 v[164:167], v6
	v_add_u32_e32 v159, 1, v159
	v_cmp_lt_u32_e32 vcc, 2, v159
	v_add_u32_e32 v6, 16, v6
	v_add_u32_e32 v7, 16, v7
	s_or_b64 s[8:9], vcc, s[8:9]
	s_waitcnt vmcnt(0) lgkmcnt(0)
	v_mul_f64 v[16:17], v[166:167], v[162:163]
	v_mul_f64 v[114:115], v[164:165], v[162:163]
	v_fma_f64 v[16:17], v[164:165], v[160:161], -v[16:17]
	v_fmac_f64_e32 v[114:115], v[166:167], v[160:161]
	v_add_f64 v[2:3], v[2:3], v[16:17]
	v_add_f64 v[4:5], v[4:5], v[114:115]
	s_andn2_b64 exec, exec, s[8:9]
	s_cbranch_execnz .LBB113_420
; %bb.421:
	s_or_b64 exec, exec, s[8:9]
.LBB113_422:
	s_or_b64 exec, exec, s[6:7]
	v_mov_b32_e32 v6, 0
	ds_read_b128 v[160:163], v6 offset:64
	s_waitcnt lgkmcnt(0)
	v_mul_f64 v[6:7], v[4:5], v[162:163]
	v_mul_f64 v[164:165], v[2:3], v[162:163]
	v_fma_f64 v[162:163], v[2:3], v[160:161], -v[6:7]
	v_fmac_f64_e32 v[164:165], v[4:5], v[160:161]
	scratch_store_dwordx4 off, v[162:165], off offset:64
.LBB113_423:
	s_or_b64 exec, exec, s[2:3]
	scratch_load_dwordx4 v[2:5], v154, off
	v_cmp_gt_u32_e32 vcc, 5, v0
	s_waitcnt vmcnt(0)
	ds_write_b128 v9, v[2:5]
	s_waitcnt lgkmcnt(0)
	; wave barrier
	s_waitcnt lgkmcnt(0)
	s_and_saveexec_b64 s[2:3], vcc
	s_cbranch_execz .LBB113_431
; %bb.424:
	ds_read_b128 v[2:5], v9
	s_and_b64 vcc, exec, s[0:1]
	s_cbranch_vccnz .LBB113_426
; %bb.425:
	scratch_load_dwordx4 v[160:163], v8, off
	s_waitcnt vmcnt(0) lgkmcnt(0)
	v_mul_f64 v[16:17], v[2:3], v[162:163]
	v_mul_f64 v[6:7], v[4:5], v[162:163]
	v_fmac_f64_e32 v[16:17], v[4:5], v[160:161]
	v_fma_f64 v[2:3], v[2:3], v[160:161], -v[6:7]
	v_mov_b64_e32 v[4:5], v[16:17]
.LBB113_426:
	v_cmp_ne_u32_e32 vcc, 4, v0
	s_and_saveexec_b64 s[6:7], vcc
	s_cbranch_execz .LBB113_430
; %bb.427:
	v_mov_b32_e32 v7, 0
	v_add_u32_e32 v6, 0x330, v112
	v_add3_u32 v7, v112, v7, 24
	s_mov_b64 s[8:9], 0
	v_mov_b32_e32 v159, v0
.LBB113_428:                            ; =>This Inner Loop Header: Depth=1
	v_add_u32_e32 v16, -8, v7
	scratch_load_dwordx4 v[160:163], v16, off
	ds_read_b128 v[164:167], v6
	v_add_u32_e32 v159, 1, v159
	v_cmp_lt_u32_e32 vcc, 3, v159
	v_add_u32_e32 v6, 16, v6
	v_add_u32_e32 v7, 16, v7
	s_or_b64 s[8:9], vcc, s[8:9]
	s_waitcnt vmcnt(0) lgkmcnt(0)
	v_mul_f64 v[16:17], v[166:167], v[162:163]
	v_mul_f64 v[114:115], v[164:165], v[162:163]
	v_fma_f64 v[16:17], v[164:165], v[160:161], -v[16:17]
	v_fmac_f64_e32 v[114:115], v[166:167], v[160:161]
	v_add_f64 v[2:3], v[2:3], v[16:17]
	v_add_f64 v[4:5], v[4:5], v[114:115]
	s_andn2_b64 exec, exec, s[8:9]
	s_cbranch_execnz .LBB113_428
; %bb.429:
	s_or_b64 exec, exec, s[8:9]
.LBB113_430:
	s_or_b64 exec, exec, s[6:7]
	v_mov_b32_e32 v6, 0
	ds_read_b128 v[160:163], v6 offset:80
	s_waitcnt lgkmcnt(0)
	v_mul_f64 v[6:7], v[4:5], v[162:163]
	v_mul_f64 v[164:165], v[2:3], v[162:163]
	v_fma_f64 v[162:163], v[2:3], v[160:161], -v[6:7]
	v_fmac_f64_e32 v[164:165], v[4:5], v[160:161]
	scratch_store_dwordx4 off, v[162:165], off offset:80
.LBB113_431:
	s_or_b64 exec, exec, s[2:3]
	scratch_load_dwordx4 v[2:5], v153, off
	v_cmp_gt_u32_e32 vcc, 6, v0
	s_waitcnt vmcnt(0)
	ds_write_b128 v9, v[2:5]
	s_waitcnt lgkmcnt(0)
	; wave barrier
	s_waitcnt lgkmcnt(0)
	s_and_saveexec_b64 s[2:3], vcc
	s_cbranch_execz .LBB113_439
; %bb.432:
	ds_read_b128 v[2:5], v9
	s_and_b64 vcc, exec, s[0:1]
	s_cbranch_vccnz .LBB113_434
; %bb.433:
	scratch_load_dwordx4 v[160:163], v8, off
	s_waitcnt vmcnt(0) lgkmcnt(0)
	v_mul_f64 v[16:17], v[2:3], v[162:163]
	v_mul_f64 v[6:7], v[4:5], v[162:163]
	v_fmac_f64_e32 v[16:17], v[4:5], v[160:161]
	v_fma_f64 v[2:3], v[2:3], v[160:161], -v[6:7]
	v_mov_b64_e32 v[4:5], v[16:17]
.LBB113_434:
	v_cmp_ne_u32_e32 vcc, 5, v0
	s_and_saveexec_b64 s[6:7], vcc
	s_cbranch_execz .LBB113_438
; %bb.435:
	v_mov_b32_e32 v7, 0
	v_add_u32_e32 v6, 0x330, v112
	v_add3_u32 v7, v112, v7, 24
	s_mov_b64 s[8:9], 0
	v_mov_b32_e32 v159, v0
.LBB113_436:                            ; =>This Inner Loop Header: Depth=1
	v_add_u32_e32 v16, -8, v7
	scratch_load_dwordx4 v[160:163], v16, off
	ds_read_b128 v[164:167], v6
	v_add_u32_e32 v159, 1, v159
	v_cmp_lt_u32_e32 vcc, 4, v159
	v_add_u32_e32 v6, 16, v6
	v_add_u32_e32 v7, 16, v7
	s_or_b64 s[8:9], vcc, s[8:9]
	s_waitcnt vmcnt(0) lgkmcnt(0)
	v_mul_f64 v[16:17], v[166:167], v[162:163]
	v_mul_f64 v[114:115], v[164:165], v[162:163]
	v_fma_f64 v[16:17], v[164:165], v[160:161], -v[16:17]
	v_fmac_f64_e32 v[114:115], v[166:167], v[160:161]
	v_add_f64 v[2:3], v[2:3], v[16:17]
	v_add_f64 v[4:5], v[4:5], v[114:115]
	s_andn2_b64 exec, exec, s[8:9]
	s_cbranch_execnz .LBB113_436
; %bb.437:
	s_or_b64 exec, exec, s[8:9]
.LBB113_438:
	s_or_b64 exec, exec, s[6:7]
	v_mov_b32_e32 v6, 0
	ds_read_b128 v[160:163], v6 offset:96
	s_waitcnt lgkmcnt(0)
	v_mul_f64 v[6:7], v[4:5], v[162:163]
	v_mul_f64 v[164:165], v[2:3], v[162:163]
	v_fma_f64 v[162:163], v[2:3], v[160:161], -v[6:7]
	v_fmac_f64_e32 v[164:165], v[4:5], v[160:161]
	scratch_store_dwordx4 off, v[162:165], off offset:96
.LBB113_439:
	s_or_b64 exec, exec, s[2:3]
	scratch_load_dwordx4 v[2:5], v152, off
	v_cmp_gt_u32_e32 vcc, 7, v0
	s_waitcnt vmcnt(0)
	ds_write_b128 v9, v[2:5]
	s_waitcnt lgkmcnt(0)
	; wave barrier
	s_waitcnt lgkmcnt(0)
	s_and_saveexec_b64 s[2:3], vcc
	s_cbranch_execz .LBB113_447
; %bb.440:
	ds_read_b128 v[2:5], v9
	s_and_b64 vcc, exec, s[0:1]
	s_cbranch_vccnz .LBB113_442
; %bb.441:
	scratch_load_dwordx4 v[160:163], v8, off
	s_waitcnt vmcnt(0) lgkmcnt(0)
	v_mul_f64 v[16:17], v[2:3], v[162:163]
	v_mul_f64 v[6:7], v[4:5], v[162:163]
	v_fmac_f64_e32 v[16:17], v[4:5], v[160:161]
	v_fma_f64 v[2:3], v[2:3], v[160:161], -v[6:7]
	v_mov_b64_e32 v[4:5], v[16:17]
.LBB113_442:
	v_cmp_ne_u32_e32 vcc, 6, v0
	s_and_saveexec_b64 s[6:7], vcc
	s_cbranch_execz .LBB113_446
; %bb.443:
	v_mov_b32_e32 v7, 0
	v_add_u32_e32 v6, 0x330, v112
	v_add3_u32 v7, v112, v7, 24
	s_mov_b64 s[8:9], 0
	v_mov_b32_e32 v159, v0
.LBB113_444:                            ; =>This Inner Loop Header: Depth=1
	v_add_u32_e32 v16, -8, v7
	scratch_load_dwordx4 v[160:163], v16, off
	ds_read_b128 v[164:167], v6
	v_add_u32_e32 v159, 1, v159
	v_cmp_lt_u32_e32 vcc, 5, v159
	v_add_u32_e32 v6, 16, v6
	v_add_u32_e32 v7, 16, v7
	s_or_b64 s[8:9], vcc, s[8:9]
	s_waitcnt vmcnt(0) lgkmcnt(0)
	v_mul_f64 v[16:17], v[166:167], v[162:163]
	v_mul_f64 v[114:115], v[164:165], v[162:163]
	v_fma_f64 v[16:17], v[164:165], v[160:161], -v[16:17]
	v_fmac_f64_e32 v[114:115], v[166:167], v[160:161]
	v_add_f64 v[2:3], v[2:3], v[16:17]
	v_add_f64 v[4:5], v[4:5], v[114:115]
	s_andn2_b64 exec, exec, s[8:9]
	s_cbranch_execnz .LBB113_444
; %bb.445:
	s_or_b64 exec, exec, s[8:9]
.LBB113_446:
	s_or_b64 exec, exec, s[6:7]
	v_mov_b32_e32 v6, 0
	ds_read_b128 v[160:163], v6 offset:112
	s_waitcnt lgkmcnt(0)
	v_mul_f64 v[6:7], v[4:5], v[162:163]
	v_mul_f64 v[164:165], v[2:3], v[162:163]
	v_fma_f64 v[162:163], v[2:3], v[160:161], -v[6:7]
	v_fmac_f64_e32 v[164:165], v[4:5], v[160:161]
	scratch_store_dwordx4 off, v[162:165], off offset:112
.LBB113_447:
	s_or_b64 exec, exec, s[2:3]
	scratch_load_dwordx4 v[2:5], v151, off
	v_cmp_gt_u32_e32 vcc, 8, v0
	s_waitcnt vmcnt(0)
	ds_write_b128 v9, v[2:5]
	s_waitcnt lgkmcnt(0)
	; wave barrier
	s_waitcnt lgkmcnt(0)
	s_and_saveexec_b64 s[2:3], vcc
	s_cbranch_execz .LBB113_455
; %bb.448:
	ds_read_b128 v[2:5], v9
	s_and_b64 vcc, exec, s[0:1]
	s_cbranch_vccnz .LBB113_450
; %bb.449:
	scratch_load_dwordx4 v[160:163], v8, off
	s_waitcnt vmcnt(0) lgkmcnt(0)
	v_mul_f64 v[16:17], v[2:3], v[162:163]
	v_mul_f64 v[6:7], v[4:5], v[162:163]
	v_fmac_f64_e32 v[16:17], v[4:5], v[160:161]
	v_fma_f64 v[2:3], v[2:3], v[160:161], -v[6:7]
	v_mov_b64_e32 v[4:5], v[16:17]
.LBB113_450:
	v_cmp_ne_u32_e32 vcc, 7, v0
	s_and_saveexec_b64 s[6:7], vcc
	s_cbranch_execz .LBB113_454
; %bb.451:
	v_mov_b32_e32 v7, 0
	v_add_u32_e32 v6, 0x330, v112
	v_add3_u32 v7, v112, v7, 24
	s_mov_b64 s[8:9], 0
	v_mov_b32_e32 v159, v0
.LBB113_452:                            ; =>This Inner Loop Header: Depth=1
	v_add_u32_e32 v16, -8, v7
	scratch_load_dwordx4 v[160:163], v16, off
	ds_read_b128 v[164:167], v6
	v_add_u32_e32 v159, 1, v159
	v_cmp_lt_u32_e32 vcc, 6, v159
	v_add_u32_e32 v6, 16, v6
	v_add_u32_e32 v7, 16, v7
	s_or_b64 s[8:9], vcc, s[8:9]
	s_waitcnt vmcnt(0) lgkmcnt(0)
	v_mul_f64 v[16:17], v[166:167], v[162:163]
	v_mul_f64 v[114:115], v[164:165], v[162:163]
	v_fma_f64 v[16:17], v[164:165], v[160:161], -v[16:17]
	v_fmac_f64_e32 v[114:115], v[166:167], v[160:161]
	v_add_f64 v[2:3], v[2:3], v[16:17]
	v_add_f64 v[4:5], v[4:5], v[114:115]
	s_andn2_b64 exec, exec, s[8:9]
	s_cbranch_execnz .LBB113_452
; %bb.453:
	s_or_b64 exec, exec, s[8:9]
.LBB113_454:
	s_or_b64 exec, exec, s[6:7]
	v_mov_b32_e32 v6, 0
	ds_read_b128 v[160:163], v6 offset:128
	s_waitcnt lgkmcnt(0)
	v_mul_f64 v[6:7], v[4:5], v[162:163]
	v_mul_f64 v[164:165], v[2:3], v[162:163]
	v_fma_f64 v[162:163], v[2:3], v[160:161], -v[6:7]
	v_fmac_f64_e32 v[164:165], v[4:5], v[160:161]
	scratch_store_dwordx4 off, v[162:165], off offset:128
.LBB113_455:
	s_or_b64 exec, exec, s[2:3]
	scratch_load_dwordx4 v[2:5], v150, off
	v_cmp_gt_u32_e32 vcc, 9, v0
	s_waitcnt vmcnt(0)
	ds_write_b128 v9, v[2:5]
	s_waitcnt lgkmcnt(0)
	; wave barrier
	s_waitcnt lgkmcnt(0)
	s_and_saveexec_b64 s[2:3], vcc
	s_cbranch_execz .LBB113_463
; %bb.456:
	ds_read_b128 v[2:5], v9
	s_and_b64 vcc, exec, s[0:1]
	s_cbranch_vccnz .LBB113_458
; %bb.457:
	scratch_load_dwordx4 v[160:163], v8, off
	s_waitcnt vmcnt(0) lgkmcnt(0)
	v_mul_f64 v[16:17], v[2:3], v[162:163]
	v_mul_f64 v[6:7], v[4:5], v[162:163]
	v_fmac_f64_e32 v[16:17], v[4:5], v[160:161]
	v_fma_f64 v[2:3], v[2:3], v[160:161], -v[6:7]
	v_mov_b64_e32 v[4:5], v[16:17]
.LBB113_458:
	v_cmp_ne_u32_e32 vcc, 8, v0
	s_and_saveexec_b64 s[6:7], vcc
	s_cbranch_execz .LBB113_462
; %bb.459:
	v_mov_b32_e32 v7, 0
	v_add_u32_e32 v6, 0x330, v112
	v_add3_u32 v7, v112, v7, 24
	s_mov_b64 s[8:9], 0
	v_mov_b32_e32 v159, v0
.LBB113_460:                            ; =>This Inner Loop Header: Depth=1
	v_add_u32_e32 v16, -8, v7
	scratch_load_dwordx4 v[160:163], v16, off
	ds_read_b128 v[164:167], v6
	v_add_u32_e32 v159, 1, v159
	v_cmp_lt_u32_e32 vcc, 7, v159
	v_add_u32_e32 v6, 16, v6
	v_add_u32_e32 v7, 16, v7
	s_or_b64 s[8:9], vcc, s[8:9]
	s_waitcnt vmcnt(0) lgkmcnt(0)
	v_mul_f64 v[16:17], v[166:167], v[162:163]
	v_mul_f64 v[114:115], v[164:165], v[162:163]
	v_fma_f64 v[16:17], v[164:165], v[160:161], -v[16:17]
	v_fmac_f64_e32 v[114:115], v[166:167], v[160:161]
	v_add_f64 v[2:3], v[2:3], v[16:17]
	v_add_f64 v[4:5], v[4:5], v[114:115]
	s_andn2_b64 exec, exec, s[8:9]
	s_cbranch_execnz .LBB113_460
; %bb.461:
	s_or_b64 exec, exec, s[8:9]
.LBB113_462:
	s_or_b64 exec, exec, s[6:7]
	v_mov_b32_e32 v6, 0
	ds_read_b128 v[160:163], v6 offset:144
	s_waitcnt lgkmcnt(0)
	v_mul_f64 v[6:7], v[4:5], v[162:163]
	v_mul_f64 v[164:165], v[2:3], v[162:163]
	v_fma_f64 v[162:163], v[2:3], v[160:161], -v[6:7]
	v_fmac_f64_e32 v[164:165], v[4:5], v[160:161]
	scratch_store_dwordx4 off, v[162:165], off offset:144
.LBB113_463:
	s_or_b64 exec, exec, s[2:3]
	scratch_load_dwordx4 v[2:5], v149, off
	v_cmp_gt_u32_e32 vcc, 10, v0
	s_waitcnt vmcnt(0)
	ds_write_b128 v9, v[2:5]
	s_waitcnt lgkmcnt(0)
	; wave barrier
	s_waitcnt lgkmcnt(0)
	s_and_saveexec_b64 s[2:3], vcc
	s_cbranch_execz .LBB113_471
; %bb.464:
	ds_read_b128 v[2:5], v9
	s_and_b64 vcc, exec, s[0:1]
	s_cbranch_vccnz .LBB113_466
; %bb.465:
	scratch_load_dwordx4 v[160:163], v8, off
	s_waitcnt vmcnt(0) lgkmcnt(0)
	v_mul_f64 v[16:17], v[2:3], v[162:163]
	v_mul_f64 v[6:7], v[4:5], v[162:163]
	v_fmac_f64_e32 v[16:17], v[4:5], v[160:161]
	v_fma_f64 v[2:3], v[2:3], v[160:161], -v[6:7]
	v_mov_b64_e32 v[4:5], v[16:17]
.LBB113_466:
	v_cmp_ne_u32_e32 vcc, 9, v0
	s_and_saveexec_b64 s[6:7], vcc
	s_cbranch_execz .LBB113_470
; %bb.467:
	v_mov_b32_e32 v7, 0
	v_add_u32_e32 v6, 0x330, v112
	v_add3_u32 v7, v112, v7, 24
	s_mov_b64 s[8:9], 0
	v_mov_b32_e32 v159, v0
.LBB113_468:                            ; =>This Inner Loop Header: Depth=1
	v_add_u32_e32 v16, -8, v7
	scratch_load_dwordx4 v[160:163], v16, off
	ds_read_b128 v[164:167], v6
	v_add_u32_e32 v159, 1, v159
	v_cmp_lt_u32_e32 vcc, 8, v159
	v_add_u32_e32 v6, 16, v6
	v_add_u32_e32 v7, 16, v7
	s_or_b64 s[8:9], vcc, s[8:9]
	s_waitcnt vmcnt(0) lgkmcnt(0)
	v_mul_f64 v[16:17], v[166:167], v[162:163]
	v_mul_f64 v[114:115], v[164:165], v[162:163]
	v_fma_f64 v[16:17], v[164:165], v[160:161], -v[16:17]
	v_fmac_f64_e32 v[114:115], v[166:167], v[160:161]
	v_add_f64 v[2:3], v[2:3], v[16:17]
	v_add_f64 v[4:5], v[4:5], v[114:115]
	s_andn2_b64 exec, exec, s[8:9]
	s_cbranch_execnz .LBB113_468
; %bb.469:
	s_or_b64 exec, exec, s[8:9]
.LBB113_470:
	s_or_b64 exec, exec, s[6:7]
	v_mov_b32_e32 v6, 0
	ds_read_b128 v[160:163], v6 offset:160
	s_waitcnt lgkmcnt(0)
	v_mul_f64 v[6:7], v[4:5], v[162:163]
	v_mul_f64 v[164:165], v[2:3], v[162:163]
	v_fma_f64 v[162:163], v[2:3], v[160:161], -v[6:7]
	v_fmac_f64_e32 v[164:165], v[4:5], v[160:161]
	scratch_store_dwordx4 off, v[162:165], off offset:160
.LBB113_471:
	s_or_b64 exec, exec, s[2:3]
	scratch_load_dwordx4 v[2:5], v148, off
	v_cmp_gt_u32_e32 vcc, 11, v0
	s_waitcnt vmcnt(0)
	ds_write_b128 v9, v[2:5]
	s_waitcnt lgkmcnt(0)
	; wave barrier
	s_waitcnt lgkmcnt(0)
	s_and_saveexec_b64 s[2:3], vcc
	s_cbranch_execz .LBB113_479
; %bb.472:
	ds_read_b128 v[2:5], v9
	s_and_b64 vcc, exec, s[0:1]
	s_cbranch_vccnz .LBB113_474
; %bb.473:
	scratch_load_dwordx4 v[160:163], v8, off
	s_waitcnt vmcnt(0) lgkmcnt(0)
	v_mul_f64 v[16:17], v[2:3], v[162:163]
	v_mul_f64 v[6:7], v[4:5], v[162:163]
	v_fmac_f64_e32 v[16:17], v[4:5], v[160:161]
	v_fma_f64 v[2:3], v[2:3], v[160:161], -v[6:7]
	v_mov_b64_e32 v[4:5], v[16:17]
.LBB113_474:
	v_cmp_ne_u32_e32 vcc, 10, v0
	s_and_saveexec_b64 s[6:7], vcc
	s_cbranch_execz .LBB113_478
; %bb.475:
	v_mov_b32_e32 v7, 0
	v_add_u32_e32 v6, 0x330, v112
	v_add3_u32 v7, v112, v7, 24
	s_mov_b64 s[8:9], 0
	v_mov_b32_e32 v159, v0
.LBB113_476:                            ; =>This Inner Loop Header: Depth=1
	v_add_u32_e32 v16, -8, v7
	scratch_load_dwordx4 v[160:163], v16, off
	ds_read_b128 v[164:167], v6
	v_add_u32_e32 v159, 1, v159
	v_cmp_lt_u32_e32 vcc, 9, v159
	v_add_u32_e32 v6, 16, v6
	v_add_u32_e32 v7, 16, v7
	s_or_b64 s[8:9], vcc, s[8:9]
	s_waitcnt vmcnt(0) lgkmcnt(0)
	v_mul_f64 v[16:17], v[166:167], v[162:163]
	v_mul_f64 v[114:115], v[164:165], v[162:163]
	v_fma_f64 v[16:17], v[164:165], v[160:161], -v[16:17]
	v_fmac_f64_e32 v[114:115], v[166:167], v[160:161]
	v_add_f64 v[2:3], v[2:3], v[16:17]
	v_add_f64 v[4:5], v[4:5], v[114:115]
	s_andn2_b64 exec, exec, s[8:9]
	s_cbranch_execnz .LBB113_476
; %bb.477:
	s_or_b64 exec, exec, s[8:9]
.LBB113_478:
	s_or_b64 exec, exec, s[6:7]
	v_mov_b32_e32 v6, 0
	ds_read_b128 v[160:163], v6 offset:176
	s_waitcnt lgkmcnt(0)
	v_mul_f64 v[6:7], v[4:5], v[162:163]
	v_mul_f64 v[164:165], v[2:3], v[162:163]
	v_fma_f64 v[162:163], v[2:3], v[160:161], -v[6:7]
	v_fmac_f64_e32 v[164:165], v[4:5], v[160:161]
	scratch_store_dwordx4 off, v[162:165], off offset:176
.LBB113_479:
	s_or_b64 exec, exec, s[2:3]
	scratch_load_dwordx4 v[2:5], v147, off
	v_cmp_gt_u32_e32 vcc, 12, v0
	s_waitcnt vmcnt(0)
	ds_write_b128 v9, v[2:5]
	s_waitcnt lgkmcnt(0)
	; wave barrier
	s_waitcnt lgkmcnt(0)
	s_and_saveexec_b64 s[2:3], vcc
	s_cbranch_execz .LBB113_487
; %bb.480:
	ds_read_b128 v[2:5], v9
	s_and_b64 vcc, exec, s[0:1]
	s_cbranch_vccnz .LBB113_482
; %bb.481:
	scratch_load_dwordx4 v[160:163], v8, off
	s_waitcnt vmcnt(0) lgkmcnt(0)
	v_mul_f64 v[16:17], v[2:3], v[162:163]
	v_mul_f64 v[6:7], v[4:5], v[162:163]
	v_fmac_f64_e32 v[16:17], v[4:5], v[160:161]
	v_fma_f64 v[2:3], v[2:3], v[160:161], -v[6:7]
	v_mov_b64_e32 v[4:5], v[16:17]
.LBB113_482:
	v_cmp_ne_u32_e32 vcc, 11, v0
	s_and_saveexec_b64 s[6:7], vcc
	s_cbranch_execz .LBB113_486
; %bb.483:
	v_mov_b32_e32 v7, 0
	v_add_u32_e32 v6, 0x330, v112
	v_add3_u32 v7, v112, v7, 24
	s_mov_b64 s[8:9], 0
	v_mov_b32_e32 v159, v0
.LBB113_484:                            ; =>This Inner Loop Header: Depth=1
	v_add_u32_e32 v16, -8, v7
	scratch_load_dwordx4 v[160:163], v16, off
	ds_read_b128 v[164:167], v6
	v_add_u32_e32 v159, 1, v159
	v_cmp_lt_u32_e32 vcc, 10, v159
	v_add_u32_e32 v6, 16, v6
	v_add_u32_e32 v7, 16, v7
	s_or_b64 s[8:9], vcc, s[8:9]
	s_waitcnt vmcnt(0) lgkmcnt(0)
	v_mul_f64 v[16:17], v[166:167], v[162:163]
	v_mul_f64 v[114:115], v[164:165], v[162:163]
	v_fma_f64 v[16:17], v[164:165], v[160:161], -v[16:17]
	v_fmac_f64_e32 v[114:115], v[166:167], v[160:161]
	v_add_f64 v[2:3], v[2:3], v[16:17]
	v_add_f64 v[4:5], v[4:5], v[114:115]
	s_andn2_b64 exec, exec, s[8:9]
	s_cbranch_execnz .LBB113_484
; %bb.485:
	s_or_b64 exec, exec, s[8:9]
.LBB113_486:
	s_or_b64 exec, exec, s[6:7]
	v_mov_b32_e32 v6, 0
	ds_read_b128 v[160:163], v6 offset:192
	s_waitcnt lgkmcnt(0)
	v_mul_f64 v[6:7], v[4:5], v[162:163]
	v_mul_f64 v[164:165], v[2:3], v[162:163]
	v_fma_f64 v[162:163], v[2:3], v[160:161], -v[6:7]
	v_fmac_f64_e32 v[164:165], v[4:5], v[160:161]
	scratch_store_dwordx4 off, v[162:165], off offset:192
.LBB113_487:
	s_or_b64 exec, exec, s[2:3]
	scratch_load_dwordx4 v[2:5], v146, off
	v_cmp_gt_u32_e32 vcc, 13, v0
	s_waitcnt vmcnt(0)
	ds_write_b128 v9, v[2:5]
	s_waitcnt lgkmcnt(0)
	; wave barrier
	s_waitcnt lgkmcnt(0)
	s_and_saveexec_b64 s[2:3], vcc
	s_cbranch_execz .LBB113_495
; %bb.488:
	ds_read_b128 v[2:5], v9
	s_and_b64 vcc, exec, s[0:1]
	s_cbranch_vccnz .LBB113_490
; %bb.489:
	scratch_load_dwordx4 v[160:163], v8, off
	s_waitcnt vmcnt(0) lgkmcnt(0)
	v_mul_f64 v[16:17], v[2:3], v[162:163]
	v_mul_f64 v[6:7], v[4:5], v[162:163]
	v_fmac_f64_e32 v[16:17], v[4:5], v[160:161]
	v_fma_f64 v[2:3], v[2:3], v[160:161], -v[6:7]
	v_mov_b64_e32 v[4:5], v[16:17]
.LBB113_490:
	v_cmp_ne_u32_e32 vcc, 12, v0
	s_and_saveexec_b64 s[6:7], vcc
	s_cbranch_execz .LBB113_494
; %bb.491:
	v_mov_b32_e32 v7, 0
	v_add_u32_e32 v6, 0x330, v112
	v_add3_u32 v7, v112, v7, 24
	s_mov_b64 s[8:9], 0
	v_mov_b32_e32 v159, v0
.LBB113_492:                            ; =>This Inner Loop Header: Depth=1
	v_add_u32_e32 v16, -8, v7
	scratch_load_dwordx4 v[160:163], v16, off
	ds_read_b128 v[164:167], v6
	v_add_u32_e32 v159, 1, v159
	v_cmp_lt_u32_e32 vcc, 11, v159
	v_add_u32_e32 v6, 16, v6
	v_add_u32_e32 v7, 16, v7
	s_or_b64 s[8:9], vcc, s[8:9]
	s_waitcnt vmcnt(0) lgkmcnt(0)
	v_mul_f64 v[16:17], v[166:167], v[162:163]
	v_mul_f64 v[114:115], v[164:165], v[162:163]
	v_fma_f64 v[16:17], v[164:165], v[160:161], -v[16:17]
	v_fmac_f64_e32 v[114:115], v[166:167], v[160:161]
	v_add_f64 v[2:3], v[2:3], v[16:17]
	v_add_f64 v[4:5], v[4:5], v[114:115]
	s_andn2_b64 exec, exec, s[8:9]
	s_cbranch_execnz .LBB113_492
; %bb.493:
	s_or_b64 exec, exec, s[8:9]
.LBB113_494:
	s_or_b64 exec, exec, s[6:7]
	v_mov_b32_e32 v6, 0
	ds_read_b128 v[160:163], v6 offset:208
	s_waitcnt lgkmcnt(0)
	v_mul_f64 v[6:7], v[4:5], v[162:163]
	v_mul_f64 v[164:165], v[2:3], v[162:163]
	v_fma_f64 v[162:163], v[2:3], v[160:161], -v[6:7]
	v_fmac_f64_e32 v[164:165], v[4:5], v[160:161]
	scratch_store_dwordx4 off, v[162:165], off offset:208
.LBB113_495:
	s_or_b64 exec, exec, s[2:3]
	scratch_load_dwordx4 v[2:5], v145, off
	v_cmp_gt_u32_e32 vcc, 14, v0
	s_waitcnt vmcnt(0)
	ds_write_b128 v9, v[2:5]
	s_waitcnt lgkmcnt(0)
	; wave barrier
	s_waitcnt lgkmcnt(0)
	s_and_saveexec_b64 s[2:3], vcc
	s_cbranch_execz .LBB113_503
; %bb.496:
	ds_read_b128 v[2:5], v9
	s_and_b64 vcc, exec, s[0:1]
	s_cbranch_vccnz .LBB113_498
; %bb.497:
	scratch_load_dwordx4 v[160:163], v8, off
	s_waitcnt vmcnt(0) lgkmcnt(0)
	v_mul_f64 v[16:17], v[2:3], v[162:163]
	v_mul_f64 v[6:7], v[4:5], v[162:163]
	v_fmac_f64_e32 v[16:17], v[4:5], v[160:161]
	v_fma_f64 v[2:3], v[2:3], v[160:161], -v[6:7]
	v_mov_b64_e32 v[4:5], v[16:17]
.LBB113_498:
	v_cmp_ne_u32_e32 vcc, 13, v0
	s_and_saveexec_b64 s[6:7], vcc
	s_cbranch_execz .LBB113_502
; %bb.499:
	v_mov_b32_e32 v7, 0
	v_add_u32_e32 v6, 0x330, v112
	v_add3_u32 v7, v112, v7, 24
	s_mov_b64 s[8:9], 0
	v_mov_b32_e32 v159, v0
.LBB113_500:                            ; =>This Inner Loop Header: Depth=1
	v_add_u32_e32 v16, -8, v7
	scratch_load_dwordx4 v[160:163], v16, off
	ds_read_b128 v[164:167], v6
	v_add_u32_e32 v159, 1, v159
	v_cmp_lt_u32_e32 vcc, 12, v159
	v_add_u32_e32 v6, 16, v6
	v_add_u32_e32 v7, 16, v7
	s_or_b64 s[8:9], vcc, s[8:9]
	s_waitcnt vmcnt(0) lgkmcnt(0)
	v_mul_f64 v[16:17], v[166:167], v[162:163]
	v_mul_f64 v[114:115], v[164:165], v[162:163]
	v_fma_f64 v[16:17], v[164:165], v[160:161], -v[16:17]
	v_fmac_f64_e32 v[114:115], v[166:167], v[160:161]
	v_add_f64 v[2:3], v[2:3], v[16:17]
	v_add_f64 v[4:5], v[4:5], v[114:115]
	s_andn2_b64 exec, exec, s[8:9]
	s_cbranch_execnz .LBB113_500
; %bb.501:
	s_or_b64 exec, exec, s[8:9]
.LBB113_502:
	s_or_b64 exec, exec, s[6:7]
	v_mov_b32_e32 v6, 0
	ds_read_b128 v[160:163], v6 offset:224
	s_waitcnt lgkmcnt(0)
	v_mul_f64 v[6:7], v[4:5], v[162:163]
	v_mul_f64 v[164:165], v[2:3], v[162:163]
	v_fma_f64 v[162:163], v[2:3], v[160:161], -v[6:7]
	v_fmac_f64_e32 v[164:165], v[4:5], v[160:161]
	scratch_store_dwordx4 off, v[162:165], off offset:224
.LBB113_503:
	s_or_b64 exec, exec, s[2:3]
	scratch_load_dwordx4 v[2:5], v144, off
	v_cmp_gt_u32_e32 vcc, 15, v0
	s_waitcnt vmcnt(0)
	ds_write_b128 v9, v[2:5]
	s_waitcnt lgkmcnt(0)
	; wave barrier
	s_waitcnt lgkmcnt(0)
	s_and_saveexec_b64 s[2:3], vcc
	s_cbranch_execz .LBB113_511
; %bb.504:
	ds_read_b128 v[2:5], v9
	s_and_b64 vcc, exec, s[0:1]
	s_cbranch_vccnz .LBB113_506
; %bb.505:
	scratch_load_dwordx4 v[160:163], v8, off
	s_waitcnt vmcnt(0) lgkmcnt(0)
	v_mul_f64 v[16:17], v[2:3], v[162:163]
	v_mul_f64 v[6:7], v[4:5], v[162:163]
	v_fmac_f64_e32 v[16:17], v[4:5], v[160:161]
	v_fma_f64 v[2:3], v[2:3], v[160:161], -v[6:7]
	v_mov_b64_e32 v[4:5], v[16:17]
.LBB113_506:
	v_cmp_ne_u32_e32 vcc, 14, v0
	s_and_saveexec_b64 s[6:7], vcc
	s_cbranch_execz .LBB113_510
; %bb.507:
	v_mov_b32_e32 v7, 0
	v_add_u32_e32 v6, 0x330, v112
	v_add3_u32 v7, v112, v7, 24
	s_mov_b64 s[8:9], 0
	v_mov_b32_e32 v159, v0
.LBB113_508:                            ; =>This Inner Loop Header: Depth=1
	v_add_u32_e32 v16, -8, v7
	scratch_load_dwordx4 v[160:163], v16, off
	ds_read_b128 v[164:167], v6
	v_add_u32_e32 v159, 1, v159
	v_cmp_lt_u32_e32 vcc, 13, v159
	v_add_u32_e32 v6, 16, v6
	v_add_u32_e32 v7, 16, v7
	s_or_b64 s[8:9], vcc, s[8:9]
	s_waitcnt vmcnt(0) lgkmcnt(0)
	v_mul_f64 v[16:17], v[166:167], v[162:163]
	v_mul_f64 v[114:115], v[164:165], v[162:163]
	v_fma_f64 v[16:17], v[164:165], v[160:161], -v[16:17]
	v_fmac_f64_e32 v[114:115], v[166:167], v[160:161]
	v_add_f64 v[2:3], v[2:3], v[16:17]
	v_add_f64 v[4:5], v[4:5], v[114:115]
	s_andn2_b64 exec, exec, s[8:9]
	s_cbranch_execnz .LBB113_508
; %bb.509:
	s_or_b64 exec, exec, s[8:9]
.LBB113_510:
	s_or_b64 exec, exec, s[6:7]
	v_mov_b32_e32 v6, 0
	ds_read_b128 v[160:163], v6 offset:240
	s_waitcnt lgkmcnt(0)
	v_mul_f64 v[6:7], v[4:5], v[162:163]
	v_mul_f64 v[164:165], v[2:3], v[162:163]
	v_fma_f64 v[162:163], v[2:3], v[160:161], -v[6:7]
	v_fmac_f64_e32 v[164:165], v[4:5], v[160:161]
	scratch_store_dwordx4 off, v[162:165], off offset:240
.LBB113_511:
	s_or_b64 exec, exec, s[2:3]
	scratch_load_dwordx4 v[2:5], v143, off
	v_cmp_gt_u32_e32 vcc, 16, v0
	s_waitcnt vmcnt(0)
	ds_write_b128 v9, v[2:5]
	s_waitcnt lgkmcnt(0)
	; wave barrier
	s_waitcnt lgkmcnt(0)
	s_and_saveexec_b64 s[2:3], vcc
	s_cbranch_execz .LBB113_519
; %bb.512:
	ds_read_b128 v[2:5], v9
	s_and_b64 vcc, exec, s[0:1]
	s_cbranch_vccnz .LBB113_514
; %bb.513:
	scratch_load_dwordx4 v[160:163], v8, off
	s_waitcnt vmcnt(0) lgkmcnt(0)
	v_mul_f64 v[16:17], v[2:3], v[162:163]
	v_mul_f64 v[6:7], v[4:5], v[162:163]
	v_fmac_f64_e32 v[16:17], v[4:5], v[160:161]
	v_fma_f64 v[2:3], v[2:3], v[160:161], -v[6:7]
	v_mov_b64_e32 v[4:5], v[16:17]
.LBB113_514:
	v_cmp_ne_u32_e32 vcc, 15, v0
	s_and_saveexec_b64 s[6:7], vcc
	s_cbranch_execz .LBB113_518
; %bb.515:
	v_mov_b32_e32 v7, 0
	v_add_u32_e32 v6, 0x330, v112
	v_add3_u32 v7, v112, v7, 24
	s_mov_b64 s[8:9], 0
	v_mov_b32_e32 v159, v0
.LBB113_516:                            ; =>This Inner Loop Header: Depth=1
	v_add_u32_e32 v16, -8, v7
	scratch_load_dwordx4 v[160:163], v16, off
	ds_read_b128 v[164:167], v6
	v_add_u32_e32 v159, 1, v159
	v_cmp_lt_u32_e32 vcc, 14, v159
	v_add_u32_e32 v6, 16, v6
	v_add_u32_e32 v7, 16, v7
	s_or_b64 s[8:9], vcc, s[8:9]
	s_waitcnt vmcnt(0) lgkmcnt(0)
	v_mul_f64 v[16:17], v[166:167], v[162:163]
	v_mul_f64 v[114:115], v[164:165], v[162:163]
	v_fma_f64 v[16:17], v[164:165], v[160:161], -v[16:17]
	v_fmac_f64_e32 v[114:115], v[166:167], v[160:161]
	v_add_f64 v[2:3], v[2:3], v[16:17]
	v_add_f64 v[4:5], v[4:5], v[114:115]
	s_andn2_b64 exec, exec, s[8:9]
	s_cbranch_execnz .LBB113_516
; %bb.517:
	s_or_b64 exec, exec, s[8:9]
.LBB113_518:
	s_or_b64 exec, exec, s[6:7]
	v_mov_b32_e32 v6, 0
	ds_read_b128 v[160:163], v6 offset:256
	s_waitcnt lgkmcnt(0)
	v_mul_f64 v[6:7], v[4:5], v[162:163]
	v_mul_f64 v[164:165], v[2:3], v[162:163]
	v_fma_f64 v[162:163], v[2:3], v[160:161], -v[6:7]
	v_fmac_f64_e32 v[164:165], v[4:5], v[160:161]
	scratch_store_dwordx4 off, v[162:165], off offset:256
.LBB113_519:
	s_or_b64 exec, exec, s[2:3]
	scratch_load_dwordx4 v[2:5], v142, off
	v_cmp_gt_u32_e32 vcc, 17, v0
	s_waitcnt vmcnt(0)
	ds_write_b128 v9, v[2:5]
	s_waitcnt lgkmcnt(0)
	; wave barrier
	s_waitcnt lgkmcnt(0)
	s_and_saveexec_b64 s[2:3], vcc
	s_cbranch_execz .LBB113_527
; %bb.520:
	ds_read_b128 v[2:5], v9
	s_and_b64 vcc, exec, s[0:1]
	s_cbranch_vccnz .LBB113_522
; %bb.521:
	scratch_load_dwordx4 v[160:163], v8, off
	s_waitcnt vmcnt(0) lgkmcnt(0)
	v_mul_f64 v[16:17], v[2:3], v[162:163]
	v_mul_f64 v[6:7], v[4:5], v[162:163]
	v_fmac_f64_e32 v[16:17], v[4:5], v[160:161]
	v_fma_f64 v[2:3], v[2:3], v[160:161], -v[6:7]
	v_mov_b64_e32 v[4:5], v[16:17]
.LBB113_522:
	v_cmp_ne_u32_e32 vcc, 16, v0
	s_and_saveexec_b64 s[6:7], vcc
	s_cbranch_execz .LBB113_526
; %bb.523:
	v_mov_b32_e32 v7, 0
	v_add_u32_e32 v6, 0x330, v112
	v_add3_u32 v7, v112, v7, 24
	s_mov_b64 s[8:9], 0
	v_mov_b32_e32 v159, v0
.LBB113_524:                            ; =>This Inner Loop Header: Depth=1
	v_add_u32_e32 v16, -8, v7
	scratch_load_dwordx4 v[160:163], v16, off
	ds_read_b128 v[164:167], v6
	v_add_u32_e32 v159, 1, v159
	v_cmp_lt_u32_e32 vcc, 15, v159
	v_add_u32_e32 v6, 16, v6
	v_add_u32_e32 v7, 16, v7
	s_or_b64 s[8:9], vcc, s[8:9]
	s_waitcnt vmcnt(0) lgkmcnt(0)
	v_mul_f64 v[16:17], v[166:167], v[162:163]
	v_mul_f64 v[114:115], v[164:165], v[162:163]
	v_fma_f64 v[16:17], v[164:165], v[160:161], -v[16:17]
	v_fmac_f64_e32 v[114:115], v[166:167], v[160:161]
	v_add_f64 v[2:3], v[2:3], v[16:17]
	v_add_f64 v[4:5], v[4:5], v[114:115]
	s_andn2_b64 exec, exec, s[8:9]
	s_cbranch_execnz .LBB113_524
; %bb.525:
	s_or_b64 exec, exec, s[8:9]
.LBB113_526:
	s_or_b64 exec, exec, s[6:7]
	v_mov_b32_e32 v6, 0
	ds_read_b128 v[160:163], v6 offset:272
	s_waitcnt lgkmcnt(0)
	v_mul_f64 v[6:7], v[4:5], v[162:163]
	v_mul_f64 v[164:165], v[2:3], v[162:163]
	v_fma_f64 v[162:163], v[2:3], v[160:161], -v[6:7]
	v_fmac_f64_e32 v[164:165], v[4:5], v[160:161]
	scratch_store_dwordx4 off, v[162:165], off offset:272
.LBB113_527:
	s_or_b64 exec, exec, s[2:3]
	scratch_load_dwordx4 v[2:5], v141, off
	v_cmp_gt_u32_e32 vcc, 18, v0
	s_waitcnt vmcnt(0)
	ds_write_b128 v9, v[2:5]
	s_waitcnt lgkmcnt(0)
	; wave barrier
	s_waitcnt lgkmcnt(0)
	s_and_saveexec_b64 s[2:3], vcc
	s_cbranch_execz .LBB113_535
; %bb.528:
	ds_read_b128 v[2:5], v9
	s_and_b64 vcc, exec, s[0:1]
	s_cbranch_vccnz .LBB113_530
; %bb.529:
	scratch_load_dwordx4 v[160:163], v8, off
	s_waitcnt vmcnt(0) lgkmcnt(0)
	v_mul_f64 v[16:17], v[2:3], v[162:163]
	v_mul_f64 v[6:7], v[4:5], v[162:163]
	v_fmac_f64_e32 v[16:17], v[4:5], v[160:161]
	v_fma_f64 v[2:3], v[2:3], v[160:161], -v[6:7]
	v_mov_b64_e32 v[4:5], v[16:17]
.LBB113_530:
	v_cmp_ne_u32_e32 vcc, 17, v0
	s_and_saveexec_b64 s[6:7], vcc
	s_cbranch_execz .LBB113_534
; %bb.531:
	v_mov_b32_e32 v7, 0
	v_add_u32_e32 v6, 0x330, v112
	v_add3_u32 v7, v112, v7, 24
	s_mov_b64 s[8:9], 0
	v_mov_b32_e32 v159, v0
.LBB113_532:                            ; =>This Inner Loop Header: Depth=1
	v_add_u32_e32 v16, -8, v7
	scratch_load_dwordx4 v[160:163], v16, off
	ds_read_b128 v[164:167], v6
	v_add_u32_e32 v159, 1, v159
	v_cmp_lt_u32_e32 vcc, 16, v159
	v_add_u32_e32 v6, 16, v6
	v_add_u32_e32 v7, 16, v7
	s_or_b64 s[8:9], vcc, s[8:9]
	s_waitcnt vmcnt(0) lgkmcnt(0)
	v_mul_f64 v[16:17], v[166:167], v[162:163]
	v_mul_f64 v[114:115], v[164:165], v[162:163]
	v_fma_f64 v[16:17], v[164:165], v[160:161], -v[16:17]
	v_fmac_f64_e32 v[114:115], v[166:167], v[160:161]
	v_add_f64 v[2:3], v[2:3], v[16:17]
	v_add_f64 v[4:5], v[4:5], v[114:115]
	s_andn2_b64 exec, exec, s[8:9]
	s_cbranch_execnz .LBB113_532
; %bb.533:
	s_or_b64 exec, exec, s[8:9]
.LBB113_534:
	s_or_b64 exec, exec, s[6:7]
	v_mov_b32_e32 v6, 0
	ds_read_b128 v[160:163], v6 offset:288
	s_waitcnt lgkmcnt(0)
	v_mul_f64 v[6:7], v[4:5], v[162:163]
	v_mul_f64 v[164:165], v[2:3], v[162:163]
	v_fma_f64 v[162:163], v[2:3], v[160:161], -v[6:7]
	v_fmac_f64_e32 v[164:165], v[4:5], v[160:161]
	scratch_store_dwordx4 off, v[162:165], off offset:288
.LBB113_535:
	s_or_b64 exec, exec, s[2:3]
	scratch_load_dwordx4 v[2:5], v140, off
	v_cmp_gt_u32_e32 vcc, 19, v0
	s_waitcnt vmcnt(0)
	ds_write_b128 v9, v[2:5]
	s_waitcnt lgkmcnt(0)
	; wave barrier
	s_waitcnt lgkmcnt(0)
	s_and_saveexec_b64 s[2:3], vcc
	s_cbranch_execz .LBB113_543
; %bb.536:
	ds_read_b128 v[2:5], v9
	s_and_b64 vcc, exec, s[0:1]
	s_cbranch_vccnz .LBB113_538
; %bb.537:
	scratch_load_dwordx4 v[160:163], v8, off
	s_waitcnt vmcnt(0) lgkmcnt(0)
	v_mul_f64 v[16:17], v[2:3], v[162:163]
	v_mul_f64 v[6:7], v[4:5], v[162:163]
	v_fmac_f64_e32 v[16:17], v[4:5], v[160:161]
	v_fma_f64 v[2:3], v[2:3], v[160:161], -v[6:7]
	v_mov_b64_e32 v[4:5], v[16:17]
.LBB113_538:
	v_cmp_ne_u32_e32 vcc, 18, v0
	s_and_saveexec_b64 s[6:7], vcc
	s_cbranch_execz .LBB113_542
; %bb.539:
	v_mov_b32_e32 v7, 0
	v_add_u32_e32 v6, 0x330, v112
	v_add3_u32 v7, v112, v7, 24
	s_mov_b64 s[8:9], 0
	v_mov_b32_e32 v159, v0
.LBB113_540:                            ; =>This Inner Loop Header: Depth=1
	v_add_u32_e32 v16, -8, v7
	scratch_load_dwordx4 v[160:163], v16, off
	ds_read_b128 v[164:167], v6
	v_add_u32_e32 v159, 1, v159
	v_cmp_lt_u32_e32 vcc, 17, v159
	v_add_u32_e32 v6, 16, v6
	v_add_u32_e32 v7, 16, v7
	s_or_b64 s[8:9], vcc, s[8:9]
	s_waitcnt vmcnt(0) lgkmcnt(0)
	v_mul_f64 v[16:17], v[166:167], v[162:163]
	v_mul_f64 v[114:115], v[164:165], v[162:163]
	v_fma_f64 v[16:17], v[164:165], v[160:161], -v[16:17]
	v_fmac_f64_e32 v[114:115], v[166:167], v[160:161]
	v_add_f64 v[2:3], v[2:3], v[16:17]
	v_add_f64 v[4:5], v[4:5], v[114:115]
	s_andn2_b64 exec, exec, s[8:9]
	s_cbranch_execnz .LBB113_540
; %bb.541:
	s_or_b64 exec, exec, s[8:9]
.LBB113_542:
	s_or_b64 exec, exec, s[6:7]
	v_mov_b32_e32 v6, 0
	ds_read_b128 v[160:163], v6 offset:304
	s_waitcnt lgkmcnt(0)
	v_mul_f64 v[6:7], v[4:5], v[162:163]
	v_mul_f64 v[164:165], v[2:3], v[162:163]
	v_fma_f64 v[162:163], v[2:3], v[160:161], -v[6:7]
	v_fmac_f64_e32 v[164:165], v[4:5], v[160:161]
	scratch_store_dwordx4 off, v[162:165], off offset:304
.LBB113_543:
	s_or_b64 exec, exec, s[2:3]
	scratch_load_dwordx4 v[2:5], v139, off
	v_cmp_gt_u32_e32 vcc, 20, v0
	s_waitcnt vmcnt(0)
	ds_write_b128 v9, v[2:5]
	s_waitcnt lgkmcnt(0)
	; wave barrier
	s_waitcnt lgkmcnt(0)
	s_and_saveexec_b64 s[2:3], vcc
	s_cbranch_execz .LBB113_551
; %bb.544:
	ds_read_b128 v[2:5], v9
	s_and_b64 vcc, exec, s[0:1]
	s_cbranch_vccnz .LBB113_546
; %bb.545:
	scratch_load_dwordx4 v[160:163], v8, off
	s_waitcnt vmcnt(0) lgkmcnt(0)
	v_mul_f64 v[16:17], v[2:3], v[162:163]
	v_mul_f64 v[6:7], v[4:5], v[162:163]
	v_fmac_f64_e32 v[16:17], v[4:5], v[160:161]
	v_fma_f64 v[2:3], v[2:3], v[160:161], -v[6:7]
	v_mov_b64_e32 v[4:5], v[16:17]
.LBB113_546:
	v_cmp_ne_u32_e32 vcc, 19, v0
	s_and_saveexec_b64 s[6:7], vcc
	s_cbranch_execz .LBB113_550
; %bb.547:
	v_mov_b32_e32 v7, 0
	v_add_u32_e32 v6, 0x330, v112
	v_add3_u32 v7, v112, v7, 24
	s_mov_b64 s[8:9], 0
	v_mov_b32_e32 v159, v0
.LBB113_548:                            ; =>This Inner Loop Header: Depth=1
	v_add_u32_e32 v16, -8, v7
	scratch_load_dwordx4 v[160:163], v16, off
	ds_read_b128 v[164:167], v6
	v_add_u32_e32 v159, 1, v159
	v_cmp_lt_u32_e32 vcc, 18, v159
	v_add_u32_e32 v6, 16, v6
	v_add_u32_e32 v7, 16, v7
	s_or_b64 s[8:9], vcc, s[8:9]
	s_waitcnt vmcnt(0) lgkmcnt(0)
	v_mul_f64 v[16:17], v[166:167], v[162:163]
	v_mul_f64 v[114:115], v[164:165], v[162:163]
	v_fma_f64 v[16:17], v[164:165], v[160:161], -v[16:17]
	v_fmac_f64_e32 v[114:115], v[166:167], v[160:161]
	v_add_f64 v[2:3], v[2:3], v[16:17]
	v_add_f64 v[4:5], v[4:5], v[114:115]
	s_andn2_b64 exec, exec, s[8:9]
	s_cbranch_execnz .LBB113_548
; %bb.549:
	s_or_b64 exec, exec, s[8:9]
.LBB113_550:
	s_or_b64 exec, exec, s[6:7]
	v_mov_b32_e32 v6, 0
	ds_read_b128 v[160:163], v6 offset:320
	s_waitcnt lgkmcnt(0)
	v_mul_f64 v[6:7], v[4:5], v[162:163]
	v_mul_f64 v[164:165], v[2:3], v[162:163]
	v_fma_f64 v[162:163], v[2:3], v[160:161], -v[6:7]
	v_fmac_f64_e32 v[164:165], v[4:5], v[160:161]
	scratch_store_dwordx4 off, v[162:165], off offset:320
.LBB113_551:
	s_or_b64 exec, exec, s[2:3]
	scratch_load_dwordx4 v[2:5], v138, off
	v_cmp_gt_u32_e32 vcc, 21, v0
	s_waitcnt vmcnt(0)
	ds_write_b128 v9, v[2:5]
	s_waitcnt lgkmcnt(0)
	; wave barrier
	s_waitcnt lgkmcnt(0)
	s_and_saveexec_b64 s[2:3], vcc
	s_cbranch_execz .LBB113_559
; %bb.552:
	ds_read_b128 v[2:5], v9
	s_and_b64 vcc, exec, s[0:1]
	s_cbranch_vccnz .LBB113_554
; %bb.553:
	scratch_load_dwordx4 v[160:163], v8, off
	s_waitcnt vmcnt(0) lgkmcnt(0)
	v_mul_f64 v[16:17], v[2:3], v[162:163]
	v_mul_f64 v[6:7], v[4:5], v[162:163]
	v_fmac_f64_e32 v[16:17], v[4:5], v[160:161]
	v_fma_f64 v[2:3], v[2:3], v[160:161], -v[6:7]
	v_mov_b64_e32 v[4:5], v[16:17]
.LBB113_554:
	v_cmp_ne_u32_e32 vcc, 20, v0
	s_and_saveexec_b64 s[6:7], vcc
	s_cbranch_execz .LBB113_558
; %bb.555:
	v_mov_b32_e32 v7, 0
	v_add_u32_e32 v6, 0x330, v112
	v_add3_u32 v7, v112, v7, 24
	s_mov_b64 s[8:9], 0
	v_mov_b32_e32 v159, v0
.LBB113_556:                            ; =>This Inner Loop Header: Depth=1
	v_add_u32_e32 v16, -8, v7
	scratch_load_dwordx4 v[160:163], v16, off
	ds_read_b128 v[164:167], v6
	v_add_u32_e32 v159, 1, v159
	v_cmp_lt_u32_e32 vcc, 19, v159
	v_add_u32_e32 v6, 16, v6
	v_add_u32_e32 v7, 16, v7
	s_or_b64 s[8:9], vcc, s[8:9]
	s_waitcnt vmcnt(0) lgkmcnt(0)
	v_mul_f64 v[16:17], v[166:167], v[162:163]
	v_mul_f64 v[114:115], v[164:165], v[162:163]
	v_fma_f64 v[16:17], v[164:165], v[160:161], -v[16:17]
	v_fmac_f64_e32 v[114:115], v[166:167], v[160:161]
	v_add_f64 v[2:3], v[2:3], v[16:17]
	v_add_f64 v[4:5], v[4:5], v[114:115]
	s_andn2_b64 exec, exec, s[8:9]
	s_cbranch_execnz .LBB113_556
; %bb.557:
	s_or_b64 exec, exec, s[8:9]
.LBB113_558:
	s_or_b64 exec, exec, s[6:7]
	v_mov_b32_e32 v6, 0
	ds_read_b128 v[160:163], v6 offset:336
	s_waitcnt lgkmcnt(0)
	v_mul_f64 v[6:7], v[4:5], v[162:163]
	v_mul_f64 v[164:165], v[2:3], v[162:163]
	v_fma_f64 v[162:163], v[2:3], v[160:161], -v[6:7]
	v_fmac_f64_e32 v[164:165], v[4:5], v[160:161]
	scratch_store_dwordx4 off, v[162:165], off offset:336
.LBB113_559:
	s_or_b64 exec, exec, s[2:3]
	scratch_load_dwordx4 v[2:5], v137, off
	v_cmp_gt_u32_e32 vcc, 22, v0
	s_waitcnt vmcnt(0)
	ds_write_b128 v9, v[2:5]
	s_waitcnt lgkmcnt(0)
	; wave barrier
	s_waitcnt lgkmcnt(0)
	s_and_saveexec_b64 s[2:3], vcc
	s_cbranch_execz .LBB113_567
; %bb.560:
	ds_read_b128 v[2:5], v9
	s_and_b64 vcc, exec, s[0:1]
	s_cbranch_vccnz .LBB113_562
; %bb.561:
	scratch_load_dwordx4 v[160:163], v8, off
	s_waitcnt vmcnt(0) lgkmcnt(0)
	v_mul_f64 v[16:17], v[2:3], v[162:163]
	v_mul_f64 v[6:7], v[4:5], v[162:163]
	v_fmac_f64_e32 v[16:17], v[4:5], v[160:161]
	v_fma_f64 v[2:3], v[2:3], v[160:161], -v[6:7]
	v_mov_b64_e32 v[4:5], v[16:17]
.LBB113_562:
	v_cmp_ne_u32_e32 vcc, 21, v0
	s_and_saveexec_b64 s[6:7], vcc
	s_cbranch_execz .LBB113_566
; %bb.563:
	v_mov_b32_e32 v7, 0
	v_add_u32_e32 v6, 0x330, v112
	v_add3_u32 v7, v112, v7, 24
	s_mov_b64 s[8:9], 0
	v_mov_b32_e32 v159, v0
.LBB113_564:                            ; =>This Inner Loop Header: Depth=1
	v_add_u32_e32 v16, -8, v7
	scratch_load_dwordx4 v[160:163], v16, off
	ds_read_b128 v[164:167], v6
	v_add_u32_e32 v159, 1, v159
	v_cmp_lt_u32_e32 vcc, 20, v159
	v_add_u32_e32 v6, 16, v6
	v_add_u32_e32 v7, 16, v7
	s_or_b64 s[8:9], vcc, s[8:9]
	s_waitcnt vmcnt(0) lgkmcnt(0)
	v_mul_f64 v[16:17], v[166:167], v[162:163]
	v_mul_f64 v[114:115], v[164:165], v[162:163]
	v_fma_f64 v[16:17], v[164:165], v[160:161], -v[16:17]
	v_fmac_f64_e32 v[114:115], v[166:167], v[160:161]
	v_add_f64 v[2:3], v[2:3], v[16:17]
	v_add_f64 v[4:5], v[4:5], v[114:115]
	s_andn2_b64 exec, exec, s[8:9]
	s_cbranch_execnz .LBB113_564
; %bb.565:
	s_or_b64 exec, exec, s[8:9]
.LBB113_566:
	s_or_b64 exec, exec, s[6:7]
	v_mov_b32_e32 v6, 0
	ds_read_b128 v[160:163], v6 offset:352
	s_waitcnt lgkmcnt(0)
	v_mul_f64 v[6:7], v[4:5], v[162:163]
	v_mul_f64 v[164:165], v[2:3], v[162:163]
	v_fma_f64 v[162:163], v[2:3], v[160:161], -v[6:7]
	v_fmac_f64_e32 v[164:165], v[4:5], v[160:161]
	scratch_store_dwordx4 off, v[162:165], off offset:352
.LBB113_567:
	s_or_b64 exec, exec, s[2:3]
	scratch_load_dwordx4 v[2:5], v136, off
	v_cmp_gt_u32_e32 vcc, 23, v0
	s_waitcnt vmcnt(0)
	ds_write_b128 v9, v[2:5]
	s_waitcnt lgkmcnt(0)
	; wave barrier
	s_waitcnt lgkmcnt(0)
	s_and_saveexec_b64 s[2:3], vcc
	s_cbranch_execz .LBB113_575
; %bb.568:
	ds_read_b128 v[2:5], v9
	s_and_b64 vcc, exec, s[0:1]
	s_cbranch_vccnz .LBB113_570
; %bb.569:
	scratch_load_dwordx4 v[160:163], v8, off
	s_waitcnt vmcnt(0) lgkmcnt(0)
	v_mul_f64 v[16:17], v[2:3], v[162:163]
	v_mul_f64 v[6:7], v[4:5], v[162:163]
	v_fmac_f64_e32 v[16:17], v[4:5], v[160:161]
	v_fma_f64 v[2:3], v[2:3], v[160:161], -v[6:7]
	v_mov_b64_e32 v[4:5], v[16:17]
.LBB113_570:
	v_cmp_ne_u32_e32 vcc, 22, v0
	s_and_saveexec_b64 s[6:7], vcc
	s_cbranch_execz .LBB113_574
; %bb.571:
	v_mov_b32_e32 v7, 0
	v_add_u32_e32 v6, 0x330, v112
	v_add3_u32 v7, v112, v7, 24
	s_mov_b64 s[8:9], 0
	v_mov_b32_e32 v159, v0
.LBB113_572:                            ; =>This Inner Loop Header: Depth=1
	v_add_u32_e32 v16, -8, v7
	scratch_load_dwordx4 v[160:163], v16, off
	ds_read_b128 v[164:167], v6
	v_add_u32_e32 v159, 1, v159
	v_cmp_lt_u32_e32 vcc, 21, v159
	v_add_u32_e32 v6, 16, v6
	v_add_u32_e32 v7, 16, v7
	s_or_b64 s[8:9], vcc, s[8:9]
	s_waitcnt vmcnt(0) lgkmcnt(0)
	v_mul_f64 v[16:17], v[166:167], v[162:163]
	v_mul_f64 v[114:115], v[164:165], v[162:163]
	v_fma_f64 v[16:17], v[164:165], v[160:161], -v[16:17]
	v_fmac_f64_e32 v[114:115], v[166:167], v[160:161]
	v_add_f64 v[2:3], v[2:3], v[16:17]
	v_add_f64 v[4:5], v[4:5], v[114:115]
	s_andn2_b64 exec, exec, s[8:9]
	s_cbranch_execnz .LBB113_572
; %bb.573:
	s_or_b64 exec, exec, s[8:9]
.LBB113_574:
	s_or_b64 exec, exec, s[6:7]
	v_mov_b32_e32 v6, 0
	ds_read_b128 v[160:163], v6 offset:368
	s_waitcnt lgkmcnt(0)
	v_mul_f64 v[6:7], v[4:5], v[162:163]
	v_mul_f64 v[164:165], v[2:3], v[162:163]
	v_fma_f64 v[162:163], v[2:3], v[160:161], -v[6:7]
	v_fmac_f64_e32 v[164:165], v[4:5], v[160:161]
	scratch_store_dwordx4 off, v[162:165], off offset:368
.LBB113_575:
	s_or_b64 exec, exec, s[2:3]
	scratch_load_dwordx4 v[2:5], v135, off
	v_cmp_gt_u32_e32 vcc, 24, v0
	s_waitcnt vmcnt(0)
	ds_write_b128 v9, v[2:5]
	s_waitcnt lgkmcnt(0)
	; wave barrier
	s_waitcnt lgkmcnt(0)
	s_and_saveexec_b64 s[2:3], vcc
	s_cbranch_execz .LBB113_583
; %bb.576:
	ds_read_b128 v[2:5], v9
	s_and_b64 vcc, exec, s[0:1]
	s_cbranch_vccnz .LBB113_578
; %bb.577:
	scratch_load_dwordx4 v[160:163], v8, off
	s_waitcnt vmcnt(0) lgkmcnt(0)
	v_mul_f64 v[16:17], v[2:3], v[162:163]
	v_mul_f64 v[6:7], v[4:5], v[162:163]
	v_fmac_f64_e32 v[16:17], v[4:5], v[160:161]
	v_fma_f64 v[2:3], v[2:3], v[160:161], -v[6:7]
	v_mov_b64_e32 v[4:5], v[16:17]
.LBB113_578:
	v_cmp_ne_u32_e32 vcc, 23, v0
	s_and_saveexec_b64 s[6:7], vcc
	s_cbranch_execz .LBB113_582
; %bb.579:
	v_mov_b32_e32 v7, 0
	v_add_u32_e32 v6, 0x330, v112
	v_add3_u32 v7, v112, v7, 24
	s_mov_b64 s[8:9], 0
	v_mov_b32_e32 v159, v0
.LBB113_580:                            ; =>This Inner Loop Header: Depth=1
	v_add_u32_e32 v16, -8, v7
	scratch_load_dwordx4 v[160:163], v16, off
	ds_read_b128 v[164:167], v6
	v_add_u32_e32 v159, 1, v159
	v_cmp_lt_u32_e32 vcc, 22, v159
	v_add_u32_e32 v6, 16, v6
	v_add_u32_e32 v7, 16, v7
	s_or_b64 s[8:9], vcc, s[8:9]
	s_waitcnt vmcnt(0) lgkmcnt(0)
	v_mul_f64 v[16:17], v[166:167], v[162:163]
	v_mul_f64 v[114:115], v[164:165], v[162:163]
	v_fma_f64 v[16:17], v[164:165], v[160:161], -v[16:17]
	v_fmac_f64_e32 v[114:115], v[166:167], v[160:161]
	v_add_f64 v[2:3], v[2:3], v[16:17]
	v_add_f64 v[4:5], v[4:5], v[114:115]
	s_andn2_b64 exec, exec, s[8:9]
	s_cbranch_execnz .LBB113_580
; %bb.581:
	s_or_b64 exec, exec, s[8:9]
.LBB113_582:
	s_or_b64 exec, exec, s[6:7]
	v_mov_b32_e32 v6, 0
	ds_read_b128 v[160:163], v6 offset:384
	s_waitcnt lgkmcnt(0)
	v_mul_f64 v[6:7], v[4:5], v[162:163]
	v_mul_f64 v[164:165], v[2:3], v[162:163]
	v_fma_f64 v[162:163], v[2:3], v[160:161], -v[6:7]
	v_fmac_f64_e32 v[164:165], v[4:5], v[160:161]
	scratch_store_dwordx4 off, v[162:165], off offset:384
.LBB113_583:
	s_or_b64 exec, exec, s[2:3]
	scratch_load_dwordx4 v[2:5], v134, off
	v_cmp_gt_u32_e32 vcc, 25, v0
	s_waitcnt vmcnt(0)
	ds_write_b128 v9, v[2:5]
	s_waitcnt lgkmcnt(0)
	; wave barrier
	s_waitcnt lgkmcnt(0)
	s_and_saveexec_b64 s[2:3], vcc
	s_cbranch_execz .LBB113_591
; %bb.584:
	ds_read_b128 v[2:5], v9
	s_and_b64 vcc, exec, s[0:1]
	s_cbranch_vccnz .LBB113_586
; %bb.585:
	scratch_load_dwordx4 v[160:163], v8, off
	s_waitcnt vmcnt(0) lgkmcnt(0)
	v_mul_f64 v[16:17], v[2:3], v[162:163]
	v_mul_f64 v[6:7], v[4:5], v[162:163]
	v_fmac_f64_e32 v[16:17], v[4:5], v[160:161]
	v_fma_f64 v[2:3], v[2:3], v[160:161], -v[6:7]
	v_mov_b64_e32 v[4:5], v[16:17]
.LBB113_586:
	v_cmp_ne_u32_e32 vcc, 24, v0
	s_and_saveexec_b64 s[6:7], vcc
	s_cbranch_execz .LBB113_590
; %bb.587:
	v_mov_b32_e32 v7, 0
	v_add_u32_e32 v6, 0x330, v112
	v_add3_u32 v7, v112, v7, 24
	s_mov_b64 s[8:9], 0
	v_mov_b32_e32 v159, v0
.LBB113_588:                            ; =>This Inner Loop Header: Depth=1
	v_add_u32_e32 v16, -8, v7
	scratch_load_dwordx4 v[160:163], v16, off
	ds_read_b128 v[164:167], v6
	v_add_u32_e32 v159, 1, v159
	v_cmp_lt_u32_e32 vcc, 23, v159
	v_add_u32_e32 v6, 16, v6
	v_add_u32_e32 v7, 16, v7
	s_or_b64 s[8:9], vcc, s[8:9]
	s_waitcnt vmcnt(0) lgkmcnt(0)
	v_mul_f64 v[16:17], v[166:167], v[162:163]
	v_mul_f64 v[114:115], v[164:165], v[162:163]
	v_fma_f64 v[16:17], v[164:165], v[160:161], -v[16:17]
	v_fmac_f64_e32 v[114:115], v[166:167], v[160:161]
	v_add_f64 v[2:3], v[2:3], v[16:17]
	v_add_f64 v[4:5], v[4:5], v[114:115]
	s_andn2_b64 exec, exec, s[8:9]
	s_cbranch_execnz .LBB113_588
; %bb.589:
	s_or_b64 exec, exec, s[8:9]
.LBB113_590:
	s_or_b64 exec, exec, s[6:7]
	v_mov_b32_e32 v6, 0
	ds_read_b128 v[160:163], v6 offset:400
	s_waitcnt lgkmcnt(0)
	v_mul_f64 v[6:7], v[4:5], v[162:163]
	v_mul_f64 v[164:165], v[2:3], v[162:163]
	v_fma_f64 v[162:163], v[2:3], v[160:161], -v[6:7]
	v_fmac_f64_e32 v[164:165], v[4:5], v[160:161]
	scratch_store_dwordx4 off, v[162:165], off offset:400
.LBB113_591:
	s_or_b64 exec, exec, s[2:3]
	scratch_load_dwordx4 v[2:5], v133, off
	v_cmp_gt_u32_e32 vcc, 26, v0
	s_waitcnt vmcnt(0)
	ds_write_b128 v9, v[2:5]
	s_waitcnt lgkmcnt(0)
	; wave barrier
	s_waitcnt lgkmcnt(0)
	s_and_saveexec_b64 s[2:3], vcc
	s_cbranch_execz .LBB113_599
; %bb.592:
	ds_read_b128 v[2:5], v9
	s_and_b64 vcc, exec, s[0:1]
	s_cbranch_vccnz .LBB113_594
; %bb.593:
	scratch_load_dwordx4 v[160:163], v8, off
	s_waitcnt vmcnt(0) lgkmcnt(0)
	v_mul_f64 v[16:17], v[2:3], v[162:163]
	v_mul_f64 v[6:7], v[4:5], v[162:163]
	v_fmac_f64_e32 v[16:17], v[4:5], v[160:161]
	v_fma_f64 v[2:3], v[2:3], v[160:161], -v[6:7]
	v_mov_b64_e32 v[4:5], v[16:17]
.LBB113_594:
	v_cmp_ne_u32_e32 vcc, 25, v0
	s_and_saveexec_b64 s[6:7], vcc
	s_cbranch_execz .LBB113_598
; %bb.595:
	v_mov_b32_e32 v7, 0
	v_add_u32_e32 v6, 0x330, v112
	v_add3_u32 v7, v112, v7, 24
	s_mov_b64 s[8:9], 0
	v_mov_b32_e32 v159, v0
.LBB113_596:                            ; =>This Inner Loop Header: Depth=1
	v_add_u32_e32 v16, -8, v7
	scratch_load_dwordx4 v[160:163], v16, off
	ds_read_b128 v[164:167], v6
	v_add_u32_e32 v159, 1, v159
	v_cmp_lt_u32_e32 vcc, 24, v159
	v_add_u32_e32 v6, 16, v6
	v_add_u32_e32 v7, 16, v7
	s_or_b64 s[8:9], vcc, s[8:9]
	s_waitcnt vmcnt(0) lgkmcnt(0)
	v_mul_f64 v[16:17], v[166:167], v[162:163]
	v_mul_f64 v[114:115], v[164:165], v[162:163]
	v_fma_f64 v[16:17], v[164:165], v[160:161], -v[16:17]
	v_fmac_f64_e32 v[114:115], v[166:167], v[160:161]
	v_add_f64 v[2:3], v[2:3], v[16:17]
	v_add_f64 v[4:5], v[4:5], v[114:115]
	s_andn2_b64 exec, exec, s[8:9]
	s_cbranch_execnz .LBB113_596
; %bb.597:
	s_or_b64 exec, exec, s[8:9]
.LBB113_598:
	s_or_b64 exec, exec, s[6:7]
	v_mov_b32_e32 v6, 0
	ds_read_b128 v[160:163], v6 offset:416
	s_waitcnt lgkmcnt(0)
	v_mul_f64 v[6:7], v[4:5], v[162:163]
	v_mul_f64 v[164:165], v[2:3], v[162:163]
	v_fma_f64 v[162:163], v[2:3], v[160:161], -v[6:7]
	v_fmac_f64_e32 v[164:165], v[4:5], v[160:161]
	scratch_store_dwordx4 off, v[162:165], off offset:416
.LBB113_599:
	s_or_b64 exec, exec, s[2:3]
	scratch_load_dwordx4 v[2:5], v132, off
	v_cmp_gt_u32_e32 vcc, 27, v0
	s_waitcnt vmcnt(0)
	ds_write_b128 v9, v[2:5]
	s_waitcnt lgkmcnt(0)
	; wave barrier
	s_waitcnt lgkmcnt(0)
	s_and_saveexec_b64 s[2:3], vcc
	s_cbranch_execz .LBB113_607
; %bb.600:
	ds_read_b128 v[2:5], v9
	s_and_b64 vcc, exec, s[0:1]
	s_cbranch_vccnz .LBB113_602
; %bb.601:
	scratch_load_dwordx4 v[160:163], v8, off
	s_waitcnt vmcnt(0) lgkmcnt(0)
	v_mul_f64 v[16:17], v[2:3], v[162:163]
	v_mul_f64 v[6:7], v[4:5], v[162:163]
	v_fmac_f64_e32 v[16:17], v[4:5], v[160:161]
	v_fma_f64 v[2:3], v[2:3], v[160:161], -v[6:7]
	v_mov_b64_e32 v[4:5], v[16:17]
.LBB113_602:
	v_cmp_ne_u32_e32 vcc, 26, v0
	s_and_saveexec_b64 s[6:7], vcc
	s_cbranch_execz .LBB113_606
; %bb.603:
	v_mov_b32_e32 v7, 0
	v_add_u32_e32 v6, 0x330, v112
	v_add3_u32 v7, v112, v7, 24
	s_mov_b64 s[8:9], 0
	v_mov_b32_e32 v159, v0
.LBB113_604:                            ; =>This Inner Loop Header: Depth=1
	v_add_u32_e32 v16, -8, v7
	scratch_load_dwordx4 v[160:163], v16, off
	ds_read_b128 v[164:167], v6
	v_add_u32_e32 v159, 1, v159
	v_cmp_lt_u32_e32 vcc, 25, v159
	v_add_u32_e32 v6, 16, v6
	v_add_u32_e32 v7, 16, v7
	s_or_b64 s[8:9], vcc, s[8:9]
	s_waitcnt vmcnt(0) lgkmcnt(0)
	v_mul_f64 v[16:17], v[166:167], v[162:163]
	v_mul_f64 v[114:115], v[164:165], v[162:163]
	v_fma_f64 v[16:17], v[164:165], v[160:161], -v[16:17]
	v_fmac_f64_e32 v[114:115], v[166:167], v[160:161]
	v_add_f64 v[2:3], v[2:3], v[16:17]
	v_add_f64 v[4:5], v[4:5], v[114:115]
	s_andn2_b64 exec, exec, s[8:9]
	s_cbranch_execnz .LBB113_604
; %bb.605:
	s_or_b64 exec, exec, s[8:9]
.LBB113_606:
	s_or_b64 exec, exec, s[6:7]
	v_mov_b32_e32 v6, 0
	ds_read_b128 v[160:163], v6 offset:432
	s_waitcnt lgkmcnt(0)
	v_mul_f64 v[6:7], v[4:5], v[162:163]
	v_mul_f64 v[164:165], v[2:3], v[162:163]
	v_fma_f64 v[162:163], v[2:3], v[160:161], -v[6:7]
	v_fmac_f64_e32 v[164:165], v[4:5], v[160:161]
	scratch_store_dwordx4 off, v[162:165], off offset:432
.LBB113_607:
	s_or_b64 exec, exec, s[2:3]
	scratch_load_dwordx4 v[2:5], v131, off
	v_cmp_gt_u32_e32 vcc, 28, v0
	s_waitcnt vmcnt(0)
	ds_write_b128 v9, v[2:5]
	s_waitcnt lgkmcnt(0)
	; wave barrier
	s_waitcnt lgkmcnt(0)
	s_and_saveexec_b64 s[2:3], vcc
	s_cbranch_execz .LBB113_615
; %bb.608:
	ds_read_b128 v[2:5], v9
	s_and_b64 vcc, exec, s[0:1]
	s_cbranch_vccnz .LBB113_610
; %bb.609:
	scratch_load_dwordx4 v[160:163], v8, off
	s_waitcnt vmcnt(0) lgkmcnt(0)
	v_mul_f64 v[16:17], v[2:3], v[162:163]
	v_mul_f64 v[6:7], v[4:5], v[162:163]
	v_fmac_f64_e32 v[16:17], v[4:5], v[160:161]
	v_fma_f64 v[2:3], v[2:3], v[160:161], -v[6:7]
	v_mov_b64_e32 v[4:5], v[16:17]
.LBB113_610:
	v_cmp_ne_u32_e32 vcc, 27, v0
	s_and_saveexec_b64 s[6:7], vcc
	s_cbranch_execz .LBB113_614
; %bb.611:
	v_mov_b32_e32 v7, 0
	v_add_u32_e32 v6, 0x330, v112
	v_add3_u32 v7, v112, v7, 24
	s_mov_b64 s[8:9], 0
	v_mov_b32_e32 v159, v0
.LBB113_612:                            ; =>This Inner Loop Header: Depth=1
	v_add_u32_e32 v16, -8, v7
	scratch_load_dwordx4 v[160:163], v16, off
	ds_read_b128 v[164:167], v6
	v_add_u32_e32 v159, 1, v159
	v_cmp_lt_u32_e32 vcc, 26, v159
	v_add_u32_e32 v6, 16, v6
	v_add_u32_e32 v7, 16, v7
	s_or_b64 s[8:9], vcc, s[8:9]
	s_waitcnt vmcnt(0) lgkmcnt(0)
	v_mul_f64 v[16:17], v[166:167], v[162:163]
	v_mul_f64 v[114:115], v[164:165], v[162:163]
	v_fma_f64 v[16:17], v[164:165], v[160:161], -v[16:17]
	v_fmac_f64_e32 v[114:115], v[166:167], v[160:161]
	v_add_f64 v[2:3], v[2:3], v[16:17]
	v_add_f64 v[4:5], v[4:5], v[114:115]
	s_andn2_b64 exec, exec, s[8:9]
	s_cbranch_execnz .LBB113_612
; %bb.613:
	s_or_b64 exec, exec, s[8:9]
.LBB113_614:
	s_or_b64 exec, exec, s[6:7]
	v_mov_b32_e32 v6, 0
	ds_read_b128 v[160:163], v6 offset:448
	s_waitcnt lgkmcnt(0)
	v_mul_f64 v[6:7], v[4:5], v[162:163]
	v_mul_f64 v[164:165], v[2:3], v[162:163]
	v_fma_f64 v[162:163], v[2:3], v[160:161], -v[6:7]
	v_fmac_f64_e32 v[164:165], v[4:5], v[160:161]
	scratch_store_dwordx4 off, v[162:165], off offset:448
.LBB113_615:
	s_or_b64 exec, exec, s[2:3]
	scratch_load_dwordx4 v[2:5], v130, off
	v_cmp_gt_u32_e32 vcc, 29, v0
	s_waitcnt vmcnt(0)
	ds_write_b128 v9, v[2:5]
	s_waitcnt lgkmcnt(0)
	; wave barrier
	s_waitcnt lgkmcnt(0)
	s_and_saveexec_b64 s[2:3], vcc
	s_cbranch_execz .LBB113_623
; %bb.616:
	ds_read_b128 v[2:5], v9
	s_and_b64 vcc, exec, s[0:1]
	s_cbranch_vccnz .LBB113_618
; %bb.617:
	scratch_load_dwordx4 v[160:163], v8, off
	s_waitcnt vmcnt(0) lgkmcnt(0)
	v_mul_f64 v[16:17], v[2:3], v[162:163]
	v_mul_f64 v[6:7], v[4:5], v[162:163]
	v_fmac_f64_e32 v[16:17], v[4:5], v[160:161]
	v_fma_f64 v[2:3], v[2:3], v[160:161], -v[6:7]
	v_mov_b64_e32 v[4:5], v[16:17]
.LBB113_618:
	v_cmp_ne_u32_e32 vcc, 28, v0
	s_and_saveexec_b64 s[6:7], vcc
	s_cbranch_execz .LBB113_622
; %bb.619:
	v_mov_b32_e32 v7, 0
	v_add_u32_e32 v6, 0x330, v112
	v_add3_u32 v7, v112, v7, 24
	s_mov_b64 s[8:9], 0
	v_mov_b32_e32 v159, v0
.LBB113_620:                            ; =>This Inner Loop Header: Depth=1
	v_add_u32_e32 v16, -8, v7
	scratch_load_dwordx4 v[160:163], v16, off
	ds_read_b128 v[164:167], v6
	v_add_u32_e32 v159, 1, v159
	v_cmp_lt_u32_e32 vcc, 27, v159
	v_add_u32_e32 v6, 16, v6
	v_add_u32_e32 v7, 16, v7
	s_or_b64 s[8:9], vcc, s[8:9]
	s_waitcnt vmcnt(0) lgkmcnt(0)
	v_mul_f64 v[16:17], v[166:167], v[162:163]
	v_mul_f64 v[114:115], v[164:165], v[162:163]
	v_fma_f64 v[16:17], v[164:165], v[160:161], -v[16:17]
	v_fmac_f64_e32 v[114:115], v[166:167], v[160:161]
	v_add_f64 v[2:3], v[2:3], v[16:17]
	v_add_f64 v[4:5], v[4:5], v[114:115]
	s_andn2_b64 exec, exec, s[8:9]
	s_cbranch_execnz .LBB113_620
; %bb.621:
	s_or_b64 exec, exec, s[8:9]
.LBB113_622:
	s_or_b64 exec, exec, s[6:7]
	v_mov_b32_e32 v6, 0
	ds_read_b128 v[160:163], v6 offset:464
	s_waitcnt lgkmcnt(0)
	v_mul_f64 v[6:7], v[4:5], v[162:163]
	v_mul_f64 v[164:165], v[2:3], v[162:163]
	v_fma_f64 v[162:163], v[2:3], v[160:161], -v[6:7]
	v_fmac_f64_e32 v[164:165], v[4:5], v[160:161]
	scratch_store_dwordx4 off, v[162:165], off offset:464
.LBB113_623:
	s_or_b64 exec, exec, s[2:3]
	scratch_load_dwordx4 v[2:5], v129, off
	v_cmp_gt_u32_e32 vcc, 30, v0
	s_waitcnt vmcnt(0)
	ds_write_b128 v9, v[2:5]
	s_waitcnt lgkmcnt(0)
	; wave barrier
	s_waitcnt lgkmcnt(0)
	s_and_saveexec_b64 s[2:3], vcc
	s_cbranch_execz .LBB113_631
; %bb.624:
	ds_read_b128 v[2:5], v9
	s_and_b64 vcc, exec, s[0:1]
	s_cbranch_vccnz .LBB113_626
; %bb.625:
	scratch_load_dwordx4 v[160:163], v8, off
	s_waitcnt vmcnt(0) lgkmcnt(0)
	v_mul_f64 v[16:17], v[2:3], v[162:163]
	v_mul_f64 v[6:7], v[4:5], v[162:163]
	v_fmac_f64_e32 v[16:17], v[4:5], v[160:161]
	v_fma_f64 v[2:3], v[2:3], v[160:161], -v[6:7]
	v_mov_b64_e32 v[4:5], v[16:17]
.LBB113_626:
	v_cmp_ne_u32_e32 vcc, 29, v0
	s_and_saveexec_b64 s[6:7], vcc
	s_cbranch_execz .LBB113_630
; %bb.627:
	v_mov_b32_e32 v7, 0
	v_add_u32_e32 v6, 0x330, v112
	v_add3_u32 v7, v112, v7, 24
	s_mov_b64 s[8:9], 0
	v_mov_b32_e32 v159, v0
.LBB113_628:                            ; =>This Inner Loop Header: Depth=1
	v_add_u32_e32 v16, -8, v7
	scratch_load_dwordx4 v[160:163], v16, off
	ds_read_b128 v[164:167], v6
	v_add_u32_e32 v159, 1, v159
	v_cmp_lt_u32_e32 vcc, 28, v159
	v_add_u32_e32 v6, 16, v6
	v_add_u32_e32 v7, 16, v7
	s_or_b64 s[8:9], vcc, s[8:9]
	s_waitcnt vmcnt(0) lgkmcnt(0)
	v_mul_f64 v[16:17], v[166:167], v[162:163]
	v_mul_f64 v[114:115], v[164:165], v[162:163]
	v_fma_f64 v[16:17], v[164:165], v[160:161], -v[16:17]
	v_fmac_f64_e32 v[114:115], v[166:167], v[160:161]
	v_add_f64 v[2:3], v[2:3], v[16:17]
	v_add_f64 v[4:5], v[4:5], v[114:115]
	s_andn2_b64 exec, exec, s[8:9]
	s_cbranch_execnz .LBB113_628
; %bb.629:
	s_or_b64 exec, exec, s[8:9]
.LBB113_630:
	s_or_b64 exec, exec, s[6:7]
	v_mov_b32_e32 v6, 0
	ds_read_b128 v[160:163], v6 offset:480
	s_waitcnt lgkmcnt(0)
	v_mul_f64 v[6:7], v[4:5], v[162:163]
	v_mul_f64 v[164:165], v[2:3], v[162:163]
	v_fma_f64 v[162:163], v[2:3], v[160:161], -v[6:7]
	v_fmac_f64_e32 v[164:165], v[4:5], v[160:161]
	scratch_store_dwordx4 off, v[162:165], off offset:480
.LBB113_631:
	s_or_b64 exec, exec, s[2:3]
	scratch_load_dwordx4 v[2:5], v128, off
	v_cmp_gt_u32_e32 vcc, 31, v0
	s_waitcnt vmcnt(0)
	ds_write_b128 v9, v[2:5]
	s_waitcnt lgkmcnt(0)
	; wave barrier
	s_waitcnt lgkmcnt(0)
	s_and_saveexec_b64 s[2:3], vcc
	s_cbranch_execz .LBB113_639
; %bb.632:
	ds_read_b128 v[2:5], v9
	s_and_b64 vcc, exec, s[0:1]
	s_cbranch_vccnz .LBB113_634
; %bb.633:
	scratch_load_dwordx4 v[160:163], v8, off
	s_waitcnt vmcnt(0) lgkmcnt(0)
	v_mul_f64 v[16:17], v[2:3], v[162:163]
	v_mul_f64 v[6:7], v[4:5], v[162:163]
	v_fmac_f64_e32 v[16:17], v[4:5], v[160:161]
	v_fma_f64 v[2:3], v[2:3], v[160:161], -v[6:7]
	v_mov_b64_e32 v[4:5], v[16:17]
.LBB113_634:
	v_cmp_ne_u32_e32 vcc, 30, v0
	s_and_saveexec_b64 s[6:7], vcc
	s_cbranch_execz .LBB113_638
; %bb.635:
	v_mov_b32_e32 v7, 0
	v_add_u32_e32 v6, 0x330, v112
	v_add3_u32 v7, v112, v7, 24
	s_mov_b64 s[8:9], 0
	v_mov_b32_e32 v159, v0
.LBB113_636:                            ; =>This Inner Loop Header: Depth=1
	v_add_u32_e32 v16, -8, v7
	scratch_load_dwordx4 v[160:163], v16, off
	ds_read_b128 v[164:167], v6
	v_add_u32_e32 v159, 1, v159
	v_cmp_lt_u32_e32 vcc, 29, v159
	v_add_u32_e32 v6, 16, v6
	v_add_u32_e32 v7, 16, v7
	s_or_b64 s[8:9], vcc, s[8:9]
	s_waitcnt vmcnt(0) lgkmcnt(0)
	v_mul_f64 v[16:17], v[166:167], v[162:163]
	v_mul_f64 v[114:115], v[164:165], v[162:163]
	v_fma_f64 v[16:17], v[164:165], v[160:161], -v[16:17]
	v_fmac_f64_e32 v[114:115], v[166:167], v[160:161]
	v_add_f64 v[2:3], v[2:3], v[16:17]
	v_add_f64 v[4:5], v[4:5], v[114:115]
	s_andn2_b64 exec, exec, s[8:9]
	s_cbranch_execnz .LBB113_636
; %bb.637:
	s_or_b64 exec, exec, s[8:9]
.LBB113_638:
	s_or_b64 exec, exec, s[6:7]
	v_mov_b32_e32 v6, 0
	ds_read_b128 v[160:163], v6 offset:496
	s_waitcnt lgkmcnt(0)
	v_mul_f64 v[6:7], v[4:5], v[162:163]
	v_mul_f64 v[164:165], v[2:3], v[162:163]
	v_fma_f64 v[162:163], v[2:3], v[160:161], -v[6:7]
	v_fmac_f64_e32 v[164:165], v[4:5], v[160:161]
	scratch_store_dwordx4 off, v[162:165], off offset:496
.LBB113_639:
	s_or_b64 exec, exec, s[2:3]
	scratch_load_dwordx4 v[2:5], v127, off
	v_cmp_gt_u32_e32 vcc, 32, v0
	s_waitcnt vmcnt(0)
	ds_write_b128 v9, v[2:5]
	s_waitcnt lgkmcnt(0)
	; wave barrier
	s_waitcnt lgkmcnt(0)
	s_and_saveexec_b64 s[2:3], vcc
	s_cbranch_execz .LBB113_647
; %bb.640:
	ds_read_b128 v[2:5], v9
	s_and_b64 vcc, exec, s[0:1]
	s_cbranch_vccnz .LBB113_642
; %bb.641:
	scratch_load_dwordx4 v[160:163], v8, off
	s_waitcnt vmcnt(0) lgkmcnt(0)
	v_mul_f64 v[16:17], v[2:3], v[162:163]
	v_mul_f64 v[6:7], v[4:5], v[162:163]
	v_fmac_f64_e32 v[16:17], v[4:5], v[160:161]
	v_fma_f64 v[2:3], v[2:3], v[160:161], -v[6:7]
	v_mov_b64_e32 v[4:5], v[16:17]
.LBB113_642:
	v_cmp_ne_u32_e32 vcc, 31, v0
	s_and_saveexec_b64 s[6:7], vcc
	s_cbranch_execz .LBB113_646
; %bb.643:
	v_mov_b32_e32 v7, 0
	v_add_u32_e32 v6, 0x330, v112
	v_add3_u32 v7, v112, v7, 24
	s_mov_b64 s[8:9], 0
	v_mov_b32_e32 v159, v0
.LBB113_644:                            ; =>This Inner Loop Header: Depth=1
	v_add_u32_e32 v16, -8, v7
	scratch_load_dwordx4 v[160:163], v16, off
	ds_read_b128 v[164:167], v6
	v_add_u32_e32 v159, 1, v159
	v_cmp_lt_u32_e32 vcc, 30, v159
	v_add_u32_e32 v6, 16, v6
	v_add_u32_e32 v7, 16, v7
	s_or_b64 s[8:9], vcc, s[8:9]
	s_waitcnt vmcnt(0) lgkmcnt(0)
	v_mul_f64 v[16:17], v[166:167], v[162:163]
	v_mul_f64 v[114:115], v[164:165], v[162:163]
	v_fma_f64 v[16:17], v[164:165], v[160:161], -v[16:17]
	v_fmac_f64_e32 v[114:115], v[166:167], v[160:161]
	v_add_f64 v[2:3], v[2:3], v[16:17]
	v_add_f64 v[4:5], v[4:5], v[114:115]
	s_andn2_b64 exec, exec, s[8:9]
	s_cbranch_execnz .LBB113_644
; %bb.645:
	s_or_b64 exec, exec, s[8:9]
.LBB113_646:
	s_or_b64 exec, exec, s[6:7]
	v_mov_b32_e32 v6, 0
	ds_read_b128 v[160:163], v6 offset:512
	s_waitcnt lgkmcnt(0)
	v_mul_f64 v[6:7], v[4:5], v[162:163]
	v_mul_f64 v[164:165], v[2:3], v[162:163]
	v_fma_f64 v[162:163], v[2:3], v[160:161], -v[6:7]
	v_fmac_f64_e32 v[164:165], v[4:5], v[160:161]
	scratch_store_dwordx4 off, v[162:165], off offset:512
.LBB113_647:
	s_or_b64 exec, exec, s[2:3]
	scratch_load_dwordx4 v[2:5], v126, off
	v_cmp_gt_u32_e32 vcc, 33, v0
	s_waitcnt vmcnt(0)
	ds_write_b128 v9, v[2:5]
	s_waitcnt lgkmcnt(0)
	; wave barrier
	s_waitcnt lgkmcnt(0)
	s_and_saveexec_b64 s[2:3], vcc
	s_cbranch_execz .LBB113_655
; %bb.648:
	ds_read_b128 v[2:5], v9
	s_and_b64 vcc, exec, s[0:1]
	s_cbranch_vccnz .LBB113_650
; %bb.649:
	scratch_load_dwordx4 v[160:163], v8, off
	s_waitcnt vmcnt(0) lgkmcnt(0)
	v_mul_f64 v[16:17], v[2:3], v[162:163]
	v_mul_f64 v[6:7], v[4:5], v[162:163]
	v_fmac_f64_e32 v[16:17], v[4:5], v[160:161]
	v_fma_f64 v[2:3], v[2:3], v[160:161], -v[6:7]
	v_mov_b64_e32 v[4:5], v[16:17]
.LBB113_650:
	v_cmp_ne_u32_e32 vcc, 32, v0
	s_and_saveexec_b64 s[6:7], vcc
	s_cbranch_execz .LBB113_654
; %bb.651:
	v_mov_b32_e32 v7, 0
	v_add_u32_e32 v6, 0x330, v112
	v_add3_u32 v7, v112, v7, 24
	s_mov_b64 s[8:9], 0
	v_mov_b32_e32 v159, v0
.LBB113_652:                            ; =>This Inner Loop Header: Depth=1
	v_add_u32_e32 v16, -8, v7
	scratch_load_dwordx4 v[160:163], v16, off
	ds_read_b128 v[164:167], v6
	v_add_u32_e32 v159, 1, v159
	v_cmp_lt_u32_e32 vcc, 31, v159
	v_add_u32_e32 v6, 16, v6
	v_add_u32_e32 v7, 16, v7
	s_or_b64 s[8:9], vcc, s[8:9]
	s_waitcnt vmcnt(0) lgkmcnt(0)
	v_mul_f64 v[16:17], v[166:167], v[162:163]
	v_mul_f64 v[114:115], v[164:165], v[162:163]
	v_fma_f64 v[16:17], v[164:165], v[160:161], -v[16:17]
	v_fmac_f64_e32 v[114:115], v[166:167], v[160:161]
	v_add_f64 v[2:3], v[2:3], v[16:17]
	v_add_f64 v[4:5], v[4:5], v[114:115]
	s_andn2_b64 exec, exec, s[8:9]
	s_cbranch_execnz .LBB113_652
; %bb.653:
	s_or_b64 exec, exec, s[8:9]
.LBB113_654:
	s_or_b64 exec, exec, s[6:7]
	v_mov_b32_e32 v6, 0
	ds_read_b128 v[160:163], v6 offset:528
	s_waitcnt lgkmcnt(0)
	v_mul_f64 v[6:7], v[4:5], v[162:163]
	v_mul_f64 v[164:165], v[2:3], v[162:163]
	v_fma_f64 v[162:163], v[2:3], v[160:161], -v[6:7]
	v_fmac_f64_e32 v[164:165], v[4:5], v[160:161]
	scratch_store_dwordx4 off, v[162:165], off offset:528
.LBB113_655:
	s_or_b64 exec, exec, s[2:3]
	scratch_load_dwordx4 v[2:5], v125, off
	v_cmp_gt_u32_e32 vcc, 34, v0
	s_waitcnt vmcnt(0)
	ds_write_b128 v9, v[2:5]
	s_waitcnt lgkmcnt(0)
	; wave barrier
	s_waitcnt lgkmcnt(0)
	s_and_saveexec_b64 s[2:3], vcc
	s_cbranch_execz .LBB113_663
; %bb.656:
	ds_read_b128 v[2:5], v9
	s_and_b64 vcc, exec, s[0:1]
	s_cbranch_vccnz .LBB113_658
; %bb.657:
	scratch_load_dwordx4 v[160:163], v8, off
	s_waitcnt vmcnt(0) lgkmcnt(0)
	v_mul_f64 v[16:17], v[2:3], v[162:163]
	v_mul_f64 v[6:7], v[4:5], v[162:163]
	v_fmac_f64_e32 v[16:17], v[4:5], v[160:161]
	v_fma_f64 v[2:3], v[2:3], v[160:161], -v[6:7]
	v_mov_b64_e32 v[4:5], v[16:17]
.LBB113_658:
	v_cmp_ne_u32_e32 vcc, 33, v0
	s_and_saveexec_b64 s[6:7], vcc
	s_cbranch_execz .LBB113_662
; %bb.659:
	v_mov_b32_e32 v7, 0
	v_add_u32_e32 v6, 0x330, v112
	v_add3_u32 v7, v112, v7, 24
	s_mov_b64 s[8:9], 0
	v_mov_b32_e32 v159, v0
.LBB113_660:                            ; =>This Inner Loop Header: Depth=1
	v_add_u32_e32 v16, -8, v7
	scratch_load_dwordx4 v[160:163], v16, off
	ds_read_b128 v[164:167], v6
	v_add_u32_e32 v159, 1, v159
	v_cmp_lt_u32_e32 vcc, 32, v159
	v_add_u32_e32 v6, 16, v6
	v_add_u32_e32 v7, 16, v7
	s_or_b64 s[8:9], vcc, s[8:9]
	s_waitcnt vmcnt(0) lgkmcnt(0)
	v_mul_f64 v[16:17], v[166:167], v[162:163]
	v_mul_f64 v[114:115], v[164:165], v[162:163]
	v_fma_f64 v[16:17], v[164:165], v[160:161], -v[16:17]
	v_fmac_f64_e32 v[114:115], v[166:167], v[160:161]
	v_add_f64 v[2:3], v[2:3], v[16:17]
	v_add_f64 v[4:5], v[4:5], v[114:115]
	s_andn2_b64 exec, exec, s[8:9]
	s_cbranch_execnz .LBB113_660
; %bb.661:
	s_or_b64 exec, exec, s[8:9]
.LBB113_662:
	s_or_b64 exec, exec, s[6:7]
	v_mov_b32_e32 v6, 0
	ds_read_b128 v[160:163], v6 offset:544
	s_waitcnt lgkmcnt(0)
	v_mul_f64 v[6:7], v[4:5], v[162:163]
	v_mul_f64 v[164:165], v[2:3], v[162:163]
	v_fma_f64 v[162:163], v[2:3], v[160:161], -v[6:7]
	v_fmac_f64_e32 v[164:165], v[4:5], v[160:161]
	scratch_store_dwordx4 off, v[162:165], off offset:544
.LBB113_663:
	s_or_b64 exec, exec, s[2:3]
	scratch_load_dwordx4 v[2:5], v124, off
	v_cmp_gt_u32_e32 vcc, 35, v0
	s_waitcnt vmcnt(0)
	ds_write_b128 v9, v[2:5]
	s_waitcnt lgkmcnt(0)
	; wave barrier
	s_waitcnt lgkmcnt(0)
	s_and_saveexec_b64 s[2:3], vcc
	s_cbranch_execz .LBB113_671
; %bb.664:
	ds_read_b128 v[2:5], v9
	s_and_b64 vcc, exec, s[0:1]
	s_cbranch_vccnz .LBB113_666
; %bb.665:
	scratch_load_dwordx4 v[160:163], v8, off
	s_waitcnt vmcnt(0) lgkmcnt(0)
	v_mul_f64 v[16:17], v[2:3], v[162:163]
	v_mul_f64 v[6:7], v[4:5], v[162:163]
	v_fmac_f64_e32 v[16:17], v[4:5], v[160:161]
	v_fma_f64 v[2:3], v[2:3], v[160:161], -v[6:7]
	v_mov_b64_e32 v[4:5], v[16:17]
.LBB113_666:
	v_cmp_ne_u32_e32 vcc, 34, v0
	s_and_saveexec_b64 s[6:7], vcc
	s_cbranch_execz .LBB113_670
; %bb.667:
	v_mov_b32_e32 v7, 0
	v_add_u32_e32 v6, 0x330, v112
	v_add3_u32 v7, v112, v7, 24
	s_mov_b64 s[8:9], 0
	v_mov_b32_e32 v159, v0
.LBB113_668:                            ; =>This Inner Loop Header: Depth=1
	v_add_u32_e32 v16, -8, v7
	scratch_load_dwordx4 v[160:163], v16, off
	ds_read_b128 v[164:167], v6
	v_add_u32_e32 v159, 1, v159
	v_cmp_lt_u32_e32 vcc, 33, v159
	v_add_u32_e32 v6, 16, v6
	v_add_u32_e32 v7, 16, v7
	s_or_b64 s[8:9], vcc, s[8:9]
	s_waitcnt vmcnt(0) lgkmcnt(0)
	v_mul_f64 v[16:17], v[166:167], v[162:163]
	v_mul_f64 v[114:115], v[164:165], v[162:163]
	v_fma_f64 v[16:17], v[164:165], v[160:161], -v[16:17]
	v_fmac_f64_e32 v[114:115], v[166:167], v[160:161]
	v_add_f64 v[2:3], v[2:3], v[16:17]
	v_add_f64 v[4:5], v[4:5], v[114:115]
	s_andn2_b64 exec, exec, s[8:9]
	s_cbranch_execnz .LBB113_668
; %bb.669:
	s_or_b64 exec, exec, s[8:9]
.LBB113_670:
	s_or_b64 exec, exec, s[6:7]
	v_mov_b32_e32 v6, 0
	ds_read_b128 v[160:163], v6 offset:560
	s_waitcnt lgkmcnt(0)
	v_mul_f64 v[6:7], v[4:5], v[162:163]
	v_mul_f64 v[164:165], v[2:3], v[162:163]
	v_fma_f64 v[162:163], v[2:3], v[160:161], -v[6:7]
	v_fmac_f64_e32 v[164:165], v[4:5], v[160:161]
	scratch_store_dwordx4 off, v[162:165], off offset:560
.LBB113_671:
	s_or_b64 exec, exec, s[2:3]
	scratch_load_dwordx4 v[2:5], v123, off
	v_cmp_gt_u32_e32 vcc, 36, v0
	s_waitcnt vmcnt(0)
	ds_write_b128 v9, v[2:5]
	s_waitcnt lgkmcnt(0)
	; wave barrier
	s_waitcnt lgkmcnt(0)
	s_and_saveexec_b64 s[2:3], vcc
	s_cbranch_execz .LBB113_679
; %bb.672:
	ds_read_b128 v[2:5], v9
	s_and_b64 vcc, exec, s[0:1]
	s_cbranch_vccnz .LBB113_674
; %bb.673:
	scratch_load_dwordx4 v[160:163], v8, off
	s_waitcnt vmcnt(0) lgkmcnt(0)
	v_mul_f64 v[16:17], v[2:3], v[162:163]
	v_mul_f64 v[6:7], v[4:5], v[162:163]
	v_fmac_f64_e32 v[16:17], v[4:5], v[160:161]
	v_fma_f64 v[2:3], v[2:3], v[160:161], -v[6:7]
	v_mov_b64_e32 v[4:5], v[16:17]
.LBB113_674:
	v_cmp_ne_u32_e32 vcc, 35, v0
	s_and_saveexec_b64 s[6:7], vcc
	s_cbranch_execz .LBB113_678
; %bb.675:
	v_mov_b32_e32 v7, 0
	v_add_u32_e32 v6, 0x330, v112
	v_add3_u32 v7, v112, v7, 24
	s_mov_b64 s[8:9], 0
	v_mov_b32_e32 v159, v0
.LBB113_676:                            ; =>This Inner Loop Header: Depth=1
	v_add_u32_e32 v16, -8, v7
	scratch_load_dwordx4 v[160:163], v16, off
	ds_read_b128 v[164:167], v6
	v_add_u32_e32 v159, 1, v159
	v_cmp_lt_u32_e32 vcc, 34, v159
	v_add_u32_e32 v6, 16, v6
	v_add_u32_e32 v7, 16, v7
	s_or_b64 s[8:9], vcc, s[8:9]
	s_waitcnt vmcnt(0) lgkmcnt(0)
	v_mul_f64 v[16:17], v[166:167], v[162:163]
	v_mul_f64 v[114:115], v[164:165], v[162:163]
	v_fma_f64 v[16:17], v[164:165], v[160:161], -v[16:17]
	v_fmac_f64_e32 v[114:115], v[166:167], v[160:161]
	v_add_f64 v[2:3], v[2:3], v[16:17]
	v_add_f64 v[4:5], v[4:5], v[114:115]
	s_andn2_b64 exec, exec, s[8:9]
	s_cbranch_execnz .LBB113_676
; %bb.677:
	s_or_b64 exec, exec, s[8:9]
.LBB113_678:
	s_or_b64 exec, exec, s[6:7]
	v_mov_b32_e32 v6, 0
	ds_read_b128 v[160:163], v6 offset:576
	s_waitcnt lgkmcnt(0)
	v_mul_f64 v[6:7], v[4:5], v[162:163]
	v_mul_f64 v[164:165], v[2:3], v[162:163]
	v_fma_f64 v[162:163], v[2:3], v[160:161], -v[6:7]
	v_fmac_f64_e32 v[164:165], v[4:5], v[160:161]
	scratch_store_dwordx4 off, v[162:165], off offset:576
.LBB113_679:
	s_or_b64 exec, exec, s[2:3]
	scratch_load_dwordx4 v[2:5], v122, off
	v_cmp_gt_u32_e32 vcc, 37, v0
	s_waitcnt vmcnt(0)
	ds_write_b128 v9, v[2:5]
	s_waitcnt lgkmcnt(0)
	; wave barrier
	s_waitcnt lgkmcnt(0)
	s_and_saveexec_b64 s[2:3], vcc
	s_cbranch_execz .LBB113_687
; %bb.680:
	ds_read_b128 v[2:5], v9
	s_and_b64 vcc, exec, s[0:1]
	s_cbranch_vccnz .LBB113_682
; %bb.681:
	scratch_load_dwordx4 v[160:163], v8, off
	s_waitcnt vmcnt(0) lgkmcnt(0)
	v_mul_f64 v[16:17], v[2:3], v[162:163]
	v_mul_f64 v[6:7], v[4:5], v[162:163]
	v_fmac_f64_e32 v[16:17], v[4:5], v[160:161]
	v_fma_f64 v[2:3], v[2:3], v[160:161], -v[6:7]
	v_mov_b64_e32 v[4:5], v[16:17]
.LBB113_682:
	v_cmp_ne_u32_e32 vcc, 36, v0
	s_and_saveexec_b64 s[6:7], vcc
	s_cbranch_execz .LBB113_686
; %bb.683:
	v_mov_b32_e32 v7, 0
	v_add_u32_e32 v6, 0x330, v112
	v_add3_u32 v7, v112, v7, 24
	s_mov_b64 s[8:9], 0
	v_mov_b32_e32 v159, v0
.LBB113_684:                            ; =>This Inner Loop Header: Depth=1
	v_add_u32_e32 v16, -8, v7
	scratch_load_dwordx4 v[160:163], v16, off
	ds_read_b128 v[164:167], v6
	v_add_u32_e32 v159, 1, v159
	v_cmp_lt_u32_e32 vcc, 35, v159
	v_add_u32_e32 v6, 16, v6
	v_add_u32_e32 v7, 16, v7
	s_or_b64 s[8:9], vcc, s[8:9]
	s_waitcnt vmcnt(0) lgkmcnt(0)
	v_mul_f64 v[16:17], v[166:167], v[162:163]
	v_mul_f64 v[114:115], v[164:165], v[162:163]
	v_fma_f64 v[16:17], v[164:165], v[160:161], -v[16:17]
	v_fmac_f64_e32 v[114:115], v[166:167], v[160:161]
	v_add_f64 v[2:3], v[2:3], v[16:17]
	v_add_f64 v[4:5], v[4:5], v[114:115]
	s_andn2_b64 exec, exec, s[8:9]
	s_cbranch_execnz .LBB113_684
; %bb.685:
	s_or_b64 exec, exec, s[8:9]
.LBB113_686:
	s_or_b64 exec, exec, s[6:7]
	v_mov_b32_e32 v6, 0
	ds_read_b128 v[160:163], v6 offset:592
	s_waitcnt lgkmcnt(0)
	v_mul_f64 v[6:7], v[4:5], v[162:163]
	v_mul_f64 v[164:165], v[2:3], v[162:163]
	v_fma_f64 v[162:163], v[2:3], v[160:161], -v[6:7]
	v_fmac_f64_e32 v[164:165], v[4:5], v[160:161]
	scratch_store_dwordx4 off, v[162:165], off offset:592
.LBB113_687:
	s_or_b64 exec, exec, s[2:3]
	scratch_load_dwordx4 v[2:5], v121, off
	v_cmp_gt_u32_e32 vcc, 38, v0
	s_waitcnt vmcnt(0)
	ds_write_b128 v9, v[2:5]
	s_waitcnt lgkmcnt(0)
	; wave barrier
	s_waitcnt lgkmcnt(0)
	s_and_saveexec_b64 s[2:3], vcc
	s_cbranch_execz .LBB113_695
; %bb.688:
	ds_read_b128 v[2:5], v9
	s_and_b64 vcc, exec, s[0:1]
	s_cbranch_vccnz .LBB113_690
; %bb.689:
	scratch_load_dwordx4 v[160:163], v8, off
	s_waitcnt vmcnt(0) lgkmcnt(0)
	v_mul_f64 v[16:17], v[2:3], v[162:163]
	v_mul_f64 v[6:7], v[4:5], v[162:163]
	v_fmac_f64_e32 v[16:17], v[4:5], v[160:161]
	v_fma_f64 v[2:3], v[2:3], v[160:161], -v[6:7]
	v_mov_b64_e32 v[4:5], v[16:17]
.LBB113_690:
	v_cmp_ne_u32_e32 vcc, 37, v0
	s_and_saveexec_b64 s[6:7], vcc
	s_cbranch_execz .LBB113_694
; %bb.691:
	v_mov_b32_e32 v7, 0
	v_add_u32_e32 v6, 0x330, v112
	v_add3_u32 v7, v112, v7, 24
	s_mov_b64 s[8:9], 0
	v_mov_b32_e32 v159, v0
.LBB113_692:                            ; =>This Inner Loop Header: Depth=1
	v_add_u32_e32 v16, -8, v7
	scratch_load_dwordx4 v[160:163], v16, off
	ds_read_b128 v[164:167], v6
	v_add_u32_e32 v159, 1, v159
	v_cmp_lt_u32_e32 vcc, 36, v159
	v_add_u32_e32 v6, 16, v6
	v_add_u32_e32 v7, 16, v7
	s_or_b64 s[8:9], vcc, s[8:9]
	s_waitcnt vmcnt(0) lgkmcnt(0)
	v_mul_f64 v[16:17], v[166:167], v[162:163]
	v_mul_f64 v[114:115], v[164:165], v[162:163]
	v_fma_f64 v[16:17], v[164:165], v[160:161], -v[16:17]
	v_fmac_f64_e32 v[114:115], v[166:167], v[160:161]
	v_add_f64 v[2:3], v[2:3], v[16:17]
	v_add_f64 v[4:5], v[4:5], v[114:115]
	s_andn2_b64 exec, exec, s[8:9]
	s_cbranch_execnz .LBB113_692
; %bb.693:
	s_or_b64 exec, exec, s[8:9]
.LBB113_694:
	s_or_b64 exec, exec, s[6:7]
	v_mov_b32_e32 v6, 0
	ds_read_b128 v[160:163], v6 offset:608
	s_waitcnt lgkmcnt(0)
	v_mul_f64 v[6:7], v[4:5], v[162:163]
	v_mul_f64 v[164:165], v[2:3], v[162:163]
	v_fma_f64 v[162:163], v[2:3], v[160:161], -v[6:7]
	v_fmac_f64_e32 v[164:165], v[4:5], v[160:161]
	scratch_store_dwordx4 off, v[162:165], off offset:608
.LBB113_695:
	s_or_b64 exec, exec, s[2:3]
	scratch_load_dwordx4 v[2:5], v120, off
	v_cmp_gt_u32_e32 vcc, 39, v0
	s_waitcnt vmcnt(0)
	ds_write_b128 v9, v[2:5]
	s_waitcnt lgkmcnt(0)
	; wave barrier
	s_waitcnt lgkmcnt(0)
	s_and_saveexec_b64 s[2:3], vcc
	s_cbranch_execz .LBB113_703
; %bb.696:
	ds_read_b128 v[2:5], v9
	s_and_b64 vcc, exec, s[0:1]
	s_cbranch_vccnz .LBB113_698
; %bb.697:
	scratch_load_dwordx4 v[160:163], v8, off
	s_waitcnt vmcnt(0) lgkmcnt(0)
	v_mul_f64 v[16:17], v[2:3], v[162:163]
	v_mul_f64 v[6:7], v[4:5], v[162:163]
	v_fmac_f64_e32 v[16:17], v[4:5], v[160:161]
	v_fma_f64 v[2:3], v[2:3], v[160:161], -v[6:7]
	v_mov_b64_e32 v[4:5], v[16:17]
.LBB113_698:
	v_cmp_ne_u32_e32 vcc, 38, v0
	s_and_saveexec_b64 s[6:7], vcc
	s_cbranch_execz .LBB113_702
; %bb.699:
	v_mov_b32_e32 v7, 0
	v_add_u32_e32 v6, 0x330, v112
	v_add3_u32 v7, v112, v7, 24
	s_mov_b64 s[8:9], 0
	v_mov_b32_e32 v159, v0
.LBB113_700:                            ; =>This Inner Loop Header: Depth=1
	v_add_u32_e32 v16, -8, v7
	scratch_load_dwordx4 v[160:163], v16, off
	ds_read_b128 v[164:167], v6
	v_add_u32_e32 v159, 1, v159
	v_cmp_lt_u32_e32 vcc, 37, v159
	v_add_u32_e32 v6, 16, v6
	v_add_u32_e32 v7, 16, v7
	s_or_b64 s[8:9], vcc, s[8:9]
	s_waitcnt vmcnt(0) lgkmcnt(0)
	v_mul_f64 v[16:17], v[166:167], v[162:163]
	v_mul_f64 v[114:115], v[164:165], v[162:163]
	v_fma_f64 v[16:17], v[164:165], v[160:161], -v[16:17]
	v_fmac_f64_e32 v[114:115], v[166:167], v[160:161]
	v_add_f64 v[2:3], v[2:3], v[16:17]
	v_add_f64 v[4:5], v[4:5], v[114:115]
	s_andn2_b64 exec, exec, s[8:9]
	s_cbranch_execnz .LBB113_700
; %bb.701:
	s_or_b64 exec, exec, s[8:9]
.LBB113_702:
	s_or_b64 exec, exec, s[6:7]
	v_mov_b32_e32 v6, 0
	ds_read_b128 v[160:163], v6 offset:624
	s_waitcnt lgkmcnt(0)
	v_mul_f64 v[6:7], v[4:5], v[162:163]
	v_mul_f64 v[164:165], v[2:3], v[162:163]
	v_fma_f64 v[162:163], v[2:3], v[160:161], -v[6:7]
	v_fmac_f64_e32 v[164:165], v[4:5], v[160:161]
	scratch_store_dwordx4 off, v[162:165], off offset:624
.LBB113_703:
	s_or_b64 exec, exec, s[2:3]
	scratch_load_dwordx4 v[2:5], v10, off
	v_cmp_gt_u32_e32 vcc, 40, v0
	s_waitcnt vmcnt(0)
	ds_write_b128 v9, v[2:5]
	s_waitcnt lgkmcnt(0)
	; wave barrier
	s_waitcnt lgkmcnt(0)
	s_and_saveexec_b64 s[2:3], vcc
	s_cbranch_execz .LBB113_711
; %bb.704:
	ds_read_b128 v[2:5], v9
	s_and_b64 vcc, exec, s[0:1]
	s_cbranch_vccnz .LBB113_706
; %bb.705:
	scratch_load_dwordx4 v[160:163], v8, off
	s_waitcnt vmcnt(0) lgkmcnt(0)
	v_mul_f64 v[16:17], v[2:3], v[162:163]
	v_mul_f64 v[6:7], v[4:5], v[162:163]
	v_fmac_f64_e32 v[16:17], v[4:5], v[160:161]
	v_fma_f64 v[2:3], v[2:3], v[160:161], -v[6:7]
	v_mov_b64_e32 v[4:5], v[16:17]
.LBB113_706:
	v_cmp_ne_u32_e32 vcc, 39, v0
	s_and_saveexec_b64 s[6:7], vcc
	s_cbranch_execz .LBB113_710
; %bb.707:
	v_mov_b32_e32 v7, 0
	v_add_u32_e32 v6, 0x330, v112
	v_add3_u32 v7, v112, v7, 24
	s_mov_b64 s[8:9], 0
	v_mov_b32_e32 v159, v0
.LBB113_708:                            ; =>This Inner Loop Header: Depth=1
	v_add_u32_e32 v16, -8, v7
	scratch_load_dwordx4 v[160:163], v16, off
	ds_read_b128 v[164:167], v6
	v_add_u32_e32 v159, 1, v159
	v_cmp_lt_u32_e32 vcc, 38, v159
	v_add_u32_e32 v6, 16, v6
	v_add_u32_e32 v7, 16, v7
	s_or_b64 s[8:9], vcc, s[8:9]
	s_waitcnt vmcnt(0) lgkmcnt(0)
	v_mul_f64 v[16:17], v[166:167], v[162:163]
	v_mul_f64 v[114:115], v[164:165], v[162:163]
	v_fma_f64 v[16:17], v[164:165], v[160:161], -v[16:17]
	v_fmac_f64_e32 v[114:115], v[166:167], v[160:161]
	v_add_f64 v[2:3], v[2:3], v[16:17]
	v_add_f64 v[4:5], v[4:5], v[114:115]
	s_andn2_b64 exec, exec, s[8:9]
	s_cbranch_execnz .LBB113_708
; %bb.709:
	s_or_b64 exec, exec, s[8:9]
.LBB113_710:
	s_or_b64 exec, exec, s[6:7]
	v_mov_b32_e32 v6, 0
	ds_read_b128 v[160:163], v6 offset:640
	s_waitcnt lgkmcnt(0)
	v_mul_f64 v[6:7], v[4:5], v[162:163]
	v_mul_f64 v[164:165], v[2:3], v[162:163]
	v_fma_f64 v[162:163], v[2:3], v[160:161], -v[6:7]
	v_fmac_f64_e32 v[164:165], v[4:5], v[160:161]
	scratch_store_dwordx4 off, v[162:165], off offset:640
.LBB113_711:
	s_or_b64 exec, exec, s[2:3]
	scratch_load_dwordx4 v[2:5], v13, off
	v_cmp_gt_u32_e32 vcc, 41, v0
	s_waitcnt vmcnt(0)
	ds_write_b128 v9, v[2:5]
	s_waitcnt lgkmcnt(0)
	; wave barrier
	s_waitcnt lgkmcnt(0)
	s_and_saveexec_b64 s[2:3], vcc
	s_cbranch_execz .LBB113_719
; %bb.712:
	ds_read_b128 v[2:5], v9
	s_and_b64 vcc, exec, s[0:1]
	s_cbranch_vccnz .LBB113_714
; %bb.713:
	scratch_load_dwordx4 v[160:163], v8, off
	s_waitcnt vmcnt(0) lgkmcnt(0)
	v_mul_f64 v[16:17], v[2:3], v[162:163]
	v_mul_f64 v[6:7], v[4:5], v[162:163]
	v_fmac_f64_e32 v[16:17], v[4:5], v[160:161]
	v_fma_f64 v[2:3], v[2:3], v[160:161], -v[6:7]
	v_mov_b64_e32 v[4:5], v[16:17]
.LBB113_714:
	v_cmp_ne_u32_e32 vcc, 40, v0
	s_and_saveexec_b64 s[6:7], vcc
	s_cbranch_execz .LBB113_718
; %bb.715:
	v_mov_b32_e32 v7, 0
	v_add_u32_e32 v6, 0x330, v112
	v_add3_u32 v7, v112, v7, 24
	s_mov_b64 s[8:9], 0
	v_mov_b32_e32 v159, v0
.LBB113_716:                            ; =>This Inner Loop Header: Depth=1
	v_add_u32_e32 v16, -8, v7
	scratch_load_dwordx4 v[160:163], v16, off
	ds_read_b128 v[164:167], v6
	v_add_u32_e32 v159, 1, v159
	v_cmp_lt_u32_e32 vcc, 39, v159
	v_add_u32_e32 v6, 16, v6
	v_add_u32_e32 v7, 16, v7
	s_or_b64 s[8:9], vcc, s[8:9]
	s_waitcnt vmcnt(0) lgkmcnt(0)
	v_mul_f64 v[16:17], v[166:167], v[162:163]
	v_mul_f64 v[114:115], v[164:165], v[162:163]
	v_fma_f64 v[16:17], v[164:165], v[160:161], -v[16:17]
	v_fmac_f64_e32 v[114:115], v[166:167], v[160:161]
	v_add_f64 v[2:3], v[2:3], v[16:17]
	v_add_f64 v[4:5], v[4:5], v[114:115]
	s_andn2_b64 exec, exec, s[8:9]
	s_cbranch_execnz .LBB113_716
; %bb.717:
	s_or_b64 exec, exec, s[8:9]
.LBB113_718:
	s_or_b64 exec, exec, s[6:7]
	v_mov_b32_e32 v6, 0
	ds_read_b128 v[160:163], v6 offset:656
	s_waitcnt lgkmcnt(0)
	v_mul_f64 v[6:7], v[4:5], v[162:163]
	v_mul_f64 v[164:165], v[2:3], v[162:163]
	v_fma_f64 v[162:163], v[2:3], v[160:161], -v[6:7]
	v_fmac_f64_e32 v[164:165], v[4:5], v[160:161]
	scratch_store_dwordx4 off, v[162:165], off offset:656
.LBB113_719:
	s_or_b64 exec, exec, s[2:3]
	scratch_load_dwordx4 v[2:5], v12, off
	v_cmp_gt_u32_e32 vcc, 42, v0
	s_waitcnt vmcnt(0)
	ds_write_b128 v9, v[2:5]
	s_waitcnt lgkmcnt(0)
	; wave barrier
	s_waitcnt lgkmcnt(0)
	s_and_saveexec_b64 s[2:3], vcc
	s_cbranch_execz .LBB113_727
; %bb.720:
	ds_read_b128 v[2:5], v9
	s_and_b64 vcc, exec, s[0:1]
	s_cbranch_vccnz .LBB113_722
; %bb.721:
	scratch_load_dwordx4 v[160:163], v8, off
	s_waitcnt vmcnt(0) lgkmcnt(0)
	v_mul_f64 v[16:17], v[2:3], v[162:163]
	v_mul_f64 v[6:7], v[4:5], v[162:163]
	v_fmac_f64_e32 v[16:17], v[4:5], v[160:161]
	v_fma_f64 v[2:3], v[2:3], v[160:161], -v[6:7]
	v_mov_b64_e32 v[4:5], v[16:17]
.LBB113_722:
	v_cmp_ne_u32_e32 vcc, 41, v0
	s_and_saveexec_b64 s[6:7], vcc
	s_cbranch_execz .LBB113_726
; %bb.723:
	v_mov_b32_e32 v7, 0
	v_add_u32_e32 v6, 0x330, v112
	v_add3_u32 v7, v112, v7, 24
	s_mov_b64 s[8:9], 0
	v_mov_b32_e32 v159, v0
.LBB113_724:                            ; =>This Inner Loop Header: Depth=1
	v_add_u32_e32 v16, -8, v7
	scratch_load_dwordx4 v[160:163], v16, off
	ds_read_b128 v[164:167], v6
	v_add_u32_e32 v159, 1, v159
	v_cmp_lt_u32_e32 vcc, 40, v159
	v_add_u32_e32 v6, 16, v6
	v_add_u32_e32 v7, 16, v7
	s_or_b64 s[8:9], vcc, s[8:9]
	s_waitcnt vmcnt(0) lgkmcnt(0)
	v_mul_f64 v[16:17], v[166:167], v[162:163]
	v_mul_f64 v[114:115], v[164:165], v[162:163]
	v_fma_f64 v[16:17], v[164:165], v[160:161], -v[16:17]
	v_fmac_f64_e32 v[114:115], v[166:167], v[160:161]
	v_add_f64 v[2:3], v[2:3], v[16:17]
	v_add_f64 v[4:5], v[4:5], v[114:115]
	s_andn2_b64 exec, exec, s[8:9]
	s_cbranch_execnz .LBB113_724
; %bb.725:
	s_or_b64 exec, exec, s[8:9]
.LBB113_726:
	s_or_b64 exec, exec, s[6:7]
	v_mov_b32_e32 v6, 0
	ds_read_b128 v[160:163], v6 offset:672
	s_waitcnt lgkmcnt(0)
	v_mul_f64 v[6:7], v[4:5], v[162:163]
	v_mul_f64 v[164:165], v[2:3], v[162:163]
	v_fma_f64 v[162:163], v[2:3], v[160:161], -v[6:7]
	v_fmac_f64_e32 v[164:165], v[4:5], v[160:161]
	scratch_store_dwordx4 off, v[162:165], off offset:672
.LBB113_727:
	s_or_b64 exec, exec, s[2:3]
	scratch_load_dwordx4 v[2:5], v11, off
	v_cmp_gt_u32_e32 vcc, 43, v0
	s_waitcnt vmcnt(0)
	ds_write_b128 v9, v[2:5]
	s_waitcnt lgkmcnt(0)
	; wave barrier
	s_waitcnt lgkmcnt(0)
	s_and_saveexec_b64 s[2:3], vcc
	s_cbranch_execz .LBB113_735
; %bb.728:
	ds_read_b128 v[2:5], v9
	s_and_b64 vcc, exec, s[0:1]
	s_cbranch_vccnz .LBB113_730
; %bb.729:
	scratch_load_dwordx4 v[160:163], v8, off
	s_waitcnt vmcnt(0) lgkmcnt(0)
	v_mul_f64 v[16:17], v[2:3], v[162:163]
	v_mul_f64 v[6:7], v[4:5], v[162:163]
	v_fmac_f64_e32 v[16:17], v[4:5], v[160:161]
	v_fma_f64 v[2:3], v[2:3], v[160:161], -v[6:7]
	v_mov_b64_e32 v[4:5], v[16:17]
.LBB113_730:
	v_cmp_ne_u32_e32 vcc, 42, v0
	s_and_saveexec_b64 s[6:7], vcc
	s_cbranch_execz .LBB113_734
; %bb.731:
	v_mov_b32_e32 v7, 0
	v_add_u32_e32 v6, 0x330, v112
	v_add3_u32 v7, v112, v7, 24
	s_mov_b64 s[8:9], 0
	v_mov_b32_e32 v159, v0
.LBB113_732:                            ; =>This Inner Loop Header: Depth=1
	v_add_u32_e32 v16, -8, v7
	scratch_load_dwordx4 v[160:163], v16, off
	ds_read_b128 v[164:167], v6
	v_add_u32_e32 v159, 1, v159
	v_cmp_lt_u32_e32 vcc, 41, v159
	v_add_u32_e32 v6, 16, v6
	v_add_u32_e32 v7, 16, v7
	s_or_b64 s[8:9], vcc, s[8:9]
	s_waitcnt vmcnt(0) lgkmcnt(0)
	v_mul_f64 v[16:17], v[166:167], v[162:163]
	v_mul_f64 v[114:115], v[164:165], v[162:163]
	v_fma_f64 v[16:17], v[164:165], v[160:161], -v[16:17]
	v_fmac_f64_e32 v[114:115], v[166:167], v[160:161]
	v_add_f64 v[2:3], v[2:3], v[16:17]
	v_add_f64 v[4:5], v[4:5], v[114:115]
	s_andn2_b64 exec, exec, s[8:9]
	s_cbranch_execnz .LBB113_732
; %bb.733:
	s_or_b64 exec, exec, s[8:9]
.LBB113_734:
	s_or_b64 exec, exec, s[6:7]
	v_mov_b32_e32 v6, 0
	ds_read_b128 v[160:163], v6 offset:688
	s_waitcnt lgkmcnt(0)
	v_mul_f64 v[6:7], v[4:5], v[162:163]
	v_mul_f64 v[164:165], v[2:3], v[162:163]
	v_fma_f64 v[162:163], v[2:3], v[160:161], -v[6:7]
	v_fmac_f64_e32 v[164:165], v[4:5], v[160:161]
	scratch_store_dwordx4 off, v[162:165], off offset:688
.LBB113_735:
	s_or_b64 exec, exec, s[2:3]
	scratch_load_dwordx4 v[2:5], v119, off
	v_cmp_gt_u32_e32 vcc, 44, v0
	s_waitcnt vmcnt(0)
	ds_write_b128 v9, v[2:5]
	s_waitcnt lgkmcnt(0)
	; wave barrier
	s_waitcnt lgkmcnt(0)
	s_and_saveexec_b64 s[2:3], vcc
	s_cbranch_execz .LBB113_743
; %bb.736:
	ds_read_b128 v[2:5], v9
	s_and_b64 vcc, exec, s[0:1]
	s_cbranch_vccnz .LBB113_738
; %bb.737:
	scratch_load_dwordx4 v[160:163], v8, off
	s_waitcnt vmcnt(0) lgkmcnt(0)
	v_mul_f64 v[16:17], v[2:3], v[162:163]
	v_mul_f64 v[6:7], v[4:5], v[162:163]
	v_fmac_f64_e32 v[16:17], v[4:5], v[160:161]
	v_fma_f64 v[2:3], v[2:3], v[160:161], -v[6:7]
	v_mov_b64_e32 v[4:5], v[16:17]
.LBB113_738:
	v_cmp_ne_u32_e32 vcc, 43, v0
	s_and_saveexec_b64 s[6:7], vcc
	s_cbranch_execz .LBB113_742
; %bb.739:
	v_mov_b32_e32 v7, 0
	v_add_u32_e32 v6, 0x330, v112
	v_add3_u32 v7, v112, v7, 24
	s_mov_b64 s[8:9], 0
	v_mov_b32_e32 v159, v0
.LBB113_740:                            ; =>This Inner Loop Header: Depth=1
	v_add_u32_e32 v16, -8, v7
	scratch_load_dwordx4 v[160:163], v16, off
	ds_read_b128 v[164:167], v6
	v_add_u32_e32 v159, 1, v159
	v_cmp_lt_u32_e32 vcc, 42, v159
	v_add_u32_e32 v6, 16, v6
	v_add_u32_e32 v7, 16, v7
	s_or_b64 s[8:9], vcc, s[8:9]
	s_waitcnt vmcnt(0) lgkmcnt(0)
	v_mul_f64 v[16:17], v[166:167], v[162:163]
	v_mul_f64 v[114:115], v[164:165], v[162:163]
	v_fma_f64 v[16:17], v[164:165], v[160:161], -v[16:17]
	v_fmac_f64_e32 v[114:115], v[166:167], v[160:161]
	v_add_f64 v[2:3], v[2:3], v[16:17]
	v_add_f64 v[4:5], v[4:5], v[114:115]
	s_andn2_b64 exec, exec, s[8:9]
	s_cbranch_execnz .LBB113_740
; %bb.741:
	s_or_b64 exec, exec, s[8:9]
.LBB113_742:
	s_or_b64 exec, exec, s[6:7]
	v_mov_b32_e32 v6, 0
	ds_read_b128 v[160:163], v6 offset:704
	s_waitcnt lgkmcnt(0)
	v_mul_f64 v[6:7], v[4:5], v[162:163]
	v_mul_f64 v[164:165], v[2:3], v[162:163]
	v_fma_f64 v[162:163], v[2:3], v[160:161], -v[6:7]
	v_fmac_f64_e32 v[164:165], v[4:5], v[160:161]
	scratch_store_dwordx4 off, v[162:165], off offset:704
.LBB113_743:
	s_or_b64 exec, exec, s[2:3]
	scratch_load_dwordx4 v[2:5], v118, off
	v_cmp_gt_u32_e32 vcc, 45, v0
	s_waitcnt vmcnt(0)
	ds_write_b128 v9, v[2:5]
	s_waitcnt lgkmcnt(0)
	; wave barrier
	s_waitcnt lgkmcnt(0)
	s_and_saveexec_b64 s[2:3], vcc
	s_cbranch_execz .LBB113_751
; %bb.744:
	ds_read_b128 v[2:5], v9
	s_and_b64 vcc, exec, s[0:1]
	s_cbranch_vccnz .LBB113_746
; %bb.745:
	scratch_load_dwordx4 v[160:163], v8, off
	s_waitcnt vmcnt(0) lgkmcnt(0)
	v_mul_f64 v[16:17], v[2:3], v[162:163]
	v_mul_f64 v[6:7], v[4:5], v[162:163]
	v_fmac_f64_e32 v[16:17], v[4:5], v[160:161]
	v_fma_f64 v[2:3], v[2:3], v[160:161], -v[6:7]
	v_mov_b64_e32 v[4:5], v[16:17]
.LBB113_746:
	v_cmp_ne_u32_e32 vcc, 44, v0
	s_and_saveexec_b64 s[6:7], vcc
	s_cbranch_execz .LBB113_750
; %bb.747:
	v_mov_b32_e32 v7, 0
	v_add_u32_e32 v6, 0x330, v112
	v_add3_u32 v7, v112, v7, 24
	s_mov_b64 s[8:9], 0
	v_mov_b32_e32 v159, v0
.LBB113_748:                            ; =>This Inner Loop Header: Depth=1
	v_add_u32_e32 v16, -8, v7
	scratch_load_dwordx4 v[160:163], v16, off
	ds_read_b128 v[164:167], v6
	v_add_u32_e32 v159, 1, v159
	v_cmp_lt_u32_e32 vcc, 43, v159
	v_add_u32_e32 v6, 16, v6
	v_add_u32_e32 v7, 16, v7
	s_or_b64 s[8:9], vcc, s[8:9]
	s_waitcnt vmcnt(0) lgkmcnt(0)
	v_mul_f64 v[16:17], v[166:167], v[162:163]
	v_mul_f64 v[114:115], v[164:165], v[162:163]
	v_fma_f64 v[16:17], v[164:165], v[160:161], -v[16:17]
	v_fmac_f64_e32 v[114:115], v[166:167], v[160:161]
	v_add_f64 v[2:3], v[2:3], v[16:17]
	v_add_f64 v[4:5], v[4:5], v[114:115]
	s_andn2_b64 exec, exec, s[8:9]
	s_cbranch_execnz .LBB113_748
; %bb.749:
	s_or_b64 exec, exec, s[8:9]
.LBB113_750:
	s_or_b64 exec, exec, s[6:7]
	v_mov_b32_e32 v6, 0
	ds_read_b128 v[160:163], v6 offset:720
	s_waitcnt lgkmcnt(0)
	v_mul_f64 v[6:7], v[4:5], v[162:163]
	v_mul_f64 v[164:165], v[2:3], v[162:163]
	v_fma_f64 v[162:163], v[2:3], v[160:161], -v[6:7]
	v_fmac_f64_e32 v[164:165], v[4:5], v[160:161]
	scratch_store_dwordx4 off, v[162:165], off offset:720
.LBB113_751:
	s_or_b64 exec, exec, s[2:3]
	scratch_load_dwordx4 v[2:5], v117, off
	v_cmp_gt_u32_e32 vcc, 46, v0
	s_waitcnt vmcnt(0)
	ds_write_b128 v9, v[2:5]
	s_waitcnt lgkmcnt(0)
	; wave barrier
	s_waitcnt lgkmcnt(0)
	s_and_saveexec_b64 s[2:3], vcc
	s_cbranch_execz .LBB113_759
; %bb.752:
	ds_read_b128 v[2:5], v9
	s_and_b64 vcc, exec, s[0:1]
	s_cbranch_vccnz .LBB113_754
; %bb.753:
	scratch_load_dwordx4 v[160:163], v8, off
	s_waitcnt vmcnt(0) lgkmcnt(0)
	v_mul_f64 v[16:17], v[2:3], v[162:163]
	v_mul_f64 v[6:7], v[4:5], v[162:163]
	v_fmac_f64_e32 v[16:17], v[4:5], v[160:161]
	v_fma_f64 v[2:3], v[2:3], v[160:161], -v[6:7]
	v_mov_b64_e32 v[4:5], v[16:17]
.LBB113_754:
	v_cmp_ne_u32_e32 vcc, 45, v0
	s_and_saveexec_b64 s[6:7], vcc
	s_cbranch_execz .LBB113_758
; %bb.755:
	v_mov_b32_e32 v7, 0
	v_add_u32_e32 v6, 0x330, v112
	v_add3_u32 v7, v112, v7, 24
	s_mov_b64 s[8:9], 0
	v_mov_b32_e32 v159, v0
.LBB113_756:                            ; =>This Inner Loop Header: Depth=1
	v_add_u32_e32 v16, -8, v7
	scratch_load_dwordx4 v[160:163], v16, off
	ds_read_b128 v[164:167], v6
	v_add_u32_e32 v159, 1, v159
	v_cmp_lt_u32_e32 vcc, 44, v159
	v_add_u32_e32 v6, 16, v6
	v_add_u32_e32 v7, 16, v7
	s_or_b64 s[8:9], vcc, s[8:9]
	s_waitcnt vmcnt(0) lgkmcnt(0)
	v_mul_f64 v[16:17], v[166:167], v[162:163]
	v_mul_f64 v[114:115], v[164:165], v[162:163]
	v_fma_f64 v[16:17], v[164:165], v[160:161], -v[16:17]
	v_fmac_f64_e32 v[114:115], v[166:167], v[160:161]
	v_add_f64 v[2:3], v[2:3], v[16:17]
	v_add_f64 v[4:5], v[4:5], v[114:115]
	s_andn2_b64 exec, exec, s[8:9]
	s_cbranch_execnz .LBB113_756
; %bb.757:
	s_or_b64 exec, exec, s[8:9]
.LBB113_758:
	s_or_b64 exec, exec, s[6:7]
	v_mov_b32_e32 v6, 0
	ds_read_b128 v[160:163], v6 offset:736
	s_waitcnt lgkmcnt(0)
	v_mul_f64 v[6:7], v[4:5], v[162:163]
	v_mul_f64 v[164:165], v[2:3], v[162:163]
	v_fma_f64 v[162:163], v[2:3], v[160:161], -v[6:7]
	v_fmac_f64_e32 v[164:165], v[4:5], v[160:161]
	scratch_store_dwordx4 off, v[162:165], off offset:736
.LBB113_759:
	s_or_b64 exec, exec, s[2:3]
	scratch_load_dwordx4 v[2:5], v116, off
	v_cmp_gt_u32_e32 vcc, 47, v0
	s_waitcnt vmcnt(0)
	ds_write_b128 v9, v[2:5]
	s_waitcnt lgkmcnt(0)
	; wave barrier
	s_waitcnt lgkmcnt(0)
	s_and_saveexec_b64 s[2:3], vcc
	s_cbranch_execz .LBB113_767
; %bb.760:
	ds_read_b128 v[2:5], v9
	s_and_b64 vcc, exec, s[0:1]
	s_cbranch_vccnz .LBB113_762
; %bb.761:
	scratch_load_dwordx4 v[160:163], v8, off
	s_waitcnt vmcnt(0) lgkmcnt(0)
	v_mul_f64 v[16:17], v[2:3], v[162:163]
	v_mul_f64 v[6:7], v[4:5], v[162:163]
	v_fmac_f64_e32 v[16:17], v[4:5], v[160:161]
	v_fma_f64 v[2:3], v[2:3], v[160:161], -v[6:7]
	v_mov_b64_e32 v[4:5], v[16:17]
.LBB113_762:
	v_cmp_ne_u32_e32 vcc, 46, v0
	s_and_saveexec_b64 s[6:7], vcc
	s_cbranch_execz .LBB113_766
; %bb.763:
	v_mov_b32_e32 v7, 0
	v_add_u32_e32 v6, 0x330, v112
	v_add3_u32 v7, v112, v7, 24
	s_mov_b64 s[8:9], 0
	v_mov_b32_e32 v159, v0
.LBB113_764:                            ; =>This Inner Loop Header: Depth=1
	v_add_u32_e32 v16, -8, v7
	scratch_load_dwordx4 v[160:163], v16, off
	ds_read_b128 v[164:167], v6
	v_add_u32_e32 v159, 1, v159
	v_cmp_lt_u32_e32 vcc, 45, v159
	v_add_u32_e32 v6, 16, v6
	v_add_u32_e32 v7, 16, v7
	s_or_b64 s[8:9], vcc, s[8:9]
	s_waitcnt vmcnt(0) lgkmcnt(0)
	v_mul_f64 v[16:17], v[166:167], v[162:163]
	v_mul_f64 v[114:115], v[164:165], v[162:163]
	v_fma_f64 v[16:17], v[164:165], v[160:161], -v[16:17]
	v_fmac_f64_e32 v[114:115], v[166:167], v[160:161]
	v_add_f64 v[2:3], v[2:3], v[16:17]
	v_add_f64 v[4:5], v[4:5], v[114:115]
	s_andn2_b64 exec, exec, s[8:9]
	s_cbranch_execnz .LBB113_764
; %bb.765:
	s_or_b64 exec, exec, s[8:9]
.LBB113_766:
	s_or_b64 exec, exec, s[6:7]
	v_mov_b32_e32 v6, 0
	ds_read_b128 v[160:163], v6 offset:752
	s_waitcnt lgkmcnt(0)
	v_mul_f64 v[6:7], v[4:5], v[162:163]
	v_mul_f64 v[164:165], v[2:3], v[162:163]
	v_fma_f64 v[162:163], v[2:3], v[160:161], -v[6:7]
	v_fmac_f64_e32 v[164:165], v[4:5], v[160:161]
	scratch_store_dwordx4 off, v[162:165], off offset:752
.LBB113_767:
	s_or_b64 exec, exec, s[2:3]
	scratch_load_dwordx4 v[2:5], v113, off
	v_cmp_gt_u32_e64 s[2:3], 48, v0
	s_waitcnt vmcnt(0)
	ds_write_b128 v9, v[2:5]
	s_waitcnt lgkmcnt(0)
	; wave barrier
	s_waitcnt lgkmcnt(0)
	s_and_saveexec_b64 s[6:7], s[2:3]
	s_cbranch_execz .LBB113_775
; %bb.768:
	ds_read_b128 v[2:5], v9
	s_and_b64 vcc, exec, s[0:1]
	s_cbranch_vccnz .LBB113_770
; %bb.769:
	scratch_load_dwordx4 v[160:163], v8, off
	s_waitcnt vmcnt(0) lgkmcnt(0)
	v_mul_f64 v[16:17], v[2:3], v[162:163]
	v_mul_f64 v[6:7], v[4:5], v[162:163]
	v_fmac_f64_e32 v[16:17], v[4:5], v[160:161]
	v_fma_f64 v[2:3], v[2:3], v[160:161], -v[6:7]
	v_mov_b64_e32 v[4:5], v[16:17]
.LBB113_770:
	v_cmp_ne_u32_e32 vcc, 47, v0
	s_and_saveexec_b64 s[8:9], vcc
	s_cbranch_execz .LBB113_774
; %bb.771:
	v_mov_b32_e32 v7, 0
	v_add_u32_e32 v6, 0x330, v112
	v_add3_u32 v7, v112, v7, 24
	s_mov_b64 s[10:11], 0
	v_mov_b32_e32 v159, v0
.LBB113_772:                            ; =>This Inner Loop Header: Depth=1
	v_add_u32_e32 v16, -8, v7
	scratch_load_dwordx4 v[160:163], v16, off
	ds_read_b128 v[164:167], v6
	v_add_u32_e32 v159, 1, v159
	v_cmp_lt_u32_e32 vcc, 46, v159
	v_add_u32_e32 v6, 16, v6
	v_add_u32_e32 v7, 16, v7
	s_or_b64 s[10:11], vcc, s[10:11]
	s_waitcnt vmcnt(0) lgkmcnt(0)
	v_mul_f64 v[16:17], v[166:167], v[162:163]
	v_mul_f64 v[114:115], v[164:165], v[162:163]
	v_fma_f64 v[16:17], v[164:165], v[160:161], -v[16:17]
	v_fmac_f64_e32 v[114:115], v[166:167], v[160:161]
	v_add_f64 v[2:3], v[2:3], v[16:17]
	v_add_f64 v[4:5], v[4:5], v[114:115]
	s_andn2_b64 exec, exec, s[10:11]
	s_cbranch_execnz .LBB113_772
; %bb.773:
	s_or_b64 exec, exec, s[10:11]
.LBB113_774:
	s_or_b64 exec, exec, s[8:9]
	v_mov_b32_e32 v6, 0
	ds_read_b128 v[160:163], v6 offset:768
	s_waitcnt lgkmcnt(0)
	v_mul_f64 v[6:7], v[4:5], v[162:163]
	v_mul_f64 v[164:165], v[2:3], v[162:163]
	v_fma_f64 v[162:163], v[2:3], v[160:161], -v[6:7]
	v_fmac_f64_e32 v[164:165], v[4:5], v[160:161]
	scratch_store_dwordx4 off, v[162:165], off offset:768
.LBB113_775:
	s_or_b64 exec, exec, s[6:7]
	scratch_load_dwordx4 v[2:5], v1, off
	v_cmp_ne_u32_e32 vcc, 49, v0
                                        ; implicit-def: $vgpr6_vgpr7
                                        ; implicit-def: $vgpr159
	s_waitcnt vmcnt(0)
	ds_write_b128 v9, v[2:5]
	s_waitcnt lgkmcnt(0)
	; wave barrier
	s_waitcnt lgkmcnt(0)
	s_and_saveexec_b64 s[6:7], vcc
	s_cbranch_execz .LBB113_783
; %bb.776:
	ds_read_b128 v[2:5], v9
	s_and_b64 vcc, exec, s[0:1]
	s_cbranch_vccnz .LBB113_778
; %bb.777:
	scratch_load_dwordx4 v[6:9], v8, off
	s_waitcnt vmcnt(0) lgkmcnt(0)
	v_mul_f64 v[16:17], v[4:5], v[8:9]
	v_mul_f64 v[8:9], v[2:3], v[8:9]
	v_fmac_f64_e32 v[8:9], v[4:5], v[6:7]
	v_fma_f64 v[2:3], v[2:3], v[6:7], -v[16:17]
	v_mov_b64_e32 v[4:5], v[8:9]
.LBB113_778:
	s_and_saveexec_b64 s[0:1], s[2:3]
	s_cbranch_execz .LBB113_782
; %bb.779:
	v_mov_b32_e32 v7, 0
	v_add_u32_e32 v6, 0x330, v112
	v_add3_u32 v7, v112, v7, 24
	s_mov_b64 s[2:3], 0
.LBB113_780:                            ; =>This Inner Loop Header: Depth=1
	v_add_u32_e32 v8, -8, v7
	scratch_load_dwordx4 v[160:163], v8, off
	ds_read_b128 v[164:167], v6
	v_add_u32_e32 v0, 1, v0
	v_cmp_lt_u32_e32 vcc, 47, v0
	v_add_u32_e32 v6, 16, v6
	v_add_u32_e32 v7, 16, v7
	s_or_b64 s[2:3], vcc, s[2:3]
	s_waitcnt vmcnt(0) lgkmcnt(0)
	v_mul_f64 v[8:9], v[166:167], v[162:163]
	v_mul_f64 v[16:17], v[164:165], v[162:163]
	v_fma_f64 v[8:9], v[164:165], v[160:161], -v[8:9]
	v_fmac_f64_e32 v[16:17], v[166:167], v[160:161]
	v_add_f64 v[2:3], v[2:3], v[8:9]
	v_add_f64 v[4:5], v[4:5], v[16:17]
	s_andn2_b64 exec, exec, s[2:3]
	s_cbranch_execnz .LBB113_780
; %bb.781:
	s_or_b64 exec, exec, s[2:3]
.LBB113_782:
	s_or_b64 exec, exec, s[0:1]
	v_mov_b32_e32 v0, 0
	ds_read_b128 v[160:163], v0 offset:784
	v_mov_b32_e32 v0, 0
	v_add_u32_e32 v159, 0x318, v0
	s_or_b64 s[4:5], s[4:5], exec
	s_waitcnt lgkmcnt(0)
	v_mul_f64 v[8:9], v[4:5], v[162:163]
	v_mul_f64 v[6:7], v[2:3], v[162:163]
	v_fma_f64 v[2:3], v[2:3], v[160:161], -v[8:9]
	v_fmac_f64_e32 v[6:7], v[4:5], v[160:161]
	scratch_store_dwordx2 off, v[2:3], off offset:784
.LBB113_783:
	s_or_b64 exec, exec, s[6:7]
.LBB113_784:
	v_accvgpr_write_b32 a3, v119
	v_accvgpr_write_b32 a2, v118
	v_mov_b32_e32 v17, v117
	v_mov_b32_e32 v16, v116
	;; [unrolled: 1-line block ×3, first 2 shown]
	s_and_saveexec_b64 s[0:1], s[4:5]
	s_cbranch_execz .LBB113_786
; %bb.785:
	scratch_store_dwordx2 v159, v[6:7], off
.LBB113_786:
	s_or_b64 exec, exec, s[0:1]
	scratch_load_dwordx4 v[2:5], off, off
	scratch_load_dwordx4 v[6:9], v158, off
	s_nop 0
	scratch_load_dwordx4 v[158:161], v157, off
	scratch_load_dwordx4 v[162:165], v156, off
	scratch_load_dwordx4 v[166:169], v155, off
	s_nop 0
	scratch_load_dwordx4 v[154:157], v154, off
	s_nop 0
	scratch_load_dwordx4 v[170:173], v153, off
	scratch_load_dwordx4 v[174:177], v152, off
	scratch_load_dwordx4 v[178:181], v151, off
	s_nop 0
	;; [unrolled: 6-line block ×8, first 2 shown]
	scratch_load_dwordx4 v[126:129], v126, off
	s_waitcnt vmcnt(33)
	global_store_dwordx4 v[36:37], v[2:5], off
	scratch_load_dwordx4 v[2:5], v125, off
	s_nop 0
	scratch_load_dwordx4 v[112:115], v124, off
	s_waitcnt vmcnt(35)
	global_store_dwordx4 v[30:31], v[6:9], off
	scratch_load_dwordx4 v[6:9], v123, off
	s_nop 0
	scratch_load_dwordx4 v[122:125], v122, off
	s_waitcnt vmcnt(37)
	global_store_dwordx4 v[18:19], v[158:161], off
	scratch_load_dwordx4 v[158:161], v121, off
	s_nop 0
	scratch_load_dwordx4 v[116:119], v120, off
	s_waitcnt vmcnt(39)
	global_store_dwordx4 v[28:29], v[162:165], off
	scratch_load_dwordx4 v[28:31], v10, off
	s_nop 0
	scratch_load_dwordx4 v[162:165], v13, off
	v_accvgpr_read_b32 v10, a3
	s_waitcnt vmcnt(41)
	global_store_dwordx4 v[20:21], v[166:169], off
	scratch_load_dwordx4 v[18:21], v12, off
	s_nop 0
	scratch_load_dwordx4 v[166:169], v11, off
	s_waitcnt vmcnt(43)
	global_store_dwordx4 v[22:23], v[154:157], off
	scratch_load_dwordx4 v[154:157], v10, off
	v_accvgpr_read_b32 v10, a2
	s_waitcnt vmcnt(44)
	global_store_dwordx4 v[14:15], v[170:173], off
	scratch_load_dwordx4 v[10:13], v10, off
	s_nop 0
	scratch_load_dwordx4 v[170:173], v17, off
	s_nop 0
	scratch_load_dwordx4 v[14:17], v16, off
	s_waitcnt vmcnt(47)
	global_store_dwordx4 v[24:25], v[174:177], off
	scratch_load_dwordx4 v[174:177], v0, off
	s_nop 0
	scratch_load_dwordx4 v[22:25], v1, off
	v_accvgpr_read_b32 v0, a0
	v_accvgpr_read_b32 v1, a1
	s_waitcnt vmcnt(49)
	global_store_dwordx4 v[0:1], v[178:181], off
	s_waitcnt vmcnt(49)
	global_store_dwordx4 v[254:255], v[150:153], off
	;; [unrolled: 2-line block ×42, first 2 shown]
.LBB113_787:
	s_endpgm
	.section	.rodata,"a",@progbits
	.p2align	6, 0x0
	.amdhsa_kernel _ZN9rocsolver6v33100L18trti2_kernel_smallILi50E19rocblas_complex_numIdEPKPS3_EEv13rocblas_fill_17rocblas_diagonal_T1_iil
		.amdhsa_group_segment_fixed_size 1600
		.amdhsa_private_segment_fixed_size 816
		.amdhsa_kernarg_size 32
		.amdhsa_user_sgpr_count 2
		.amdhsa_user_sgpr_dispatch_ptr 0
		.amdhsa_user_sgpr_queue_ptr 0
		.amdhsa_user_sgpr_kernarg_segment_ptr 1
		.amdhsa_user_sgpr_dispatch_id 0
		.amdhsa_user_sgpr_kernarg_preload_length 0
		.amdhsa_user_sgpr_kernarg_preload_offset 0
		.amdhsa_user_sgpr_private_segment_size 0
		.amdhsa_uses_dynamic_stack 0
		.amdhsa_enable_private_segment 1
		.amdhsa_system_sgpr_workgroup_id_x 1
		.amdhsa_system_sgpr_workgroup_id_y 0
		.amdhsa_system_sgpr_workgroup_id_z 0
		.amdhsa_system_sgpr_workgroup_info 0
		.amdhsa_system_vgpr_workitem_id 0
		.amdhsa_next_free_vgpr 260
		.amdhsa_next_free_sgpr 12
		.amdhsa_accum_offset 256
		.amdhsa_reserve_vcc 1
		.amdhsa_float_round_mode_32 0
		.amdhsa_float_round_mode_16_64 0
		.amdhsa_float_denorm_mode_32 3
		.amdhsa_float_denorm_mode_16_64 3
		.amdhsa_dx10_clamp 1
		.amdhsa_ieee_mode 1
		.amdhsa_fp16_overflow 0
		.amdhsa_tg_split 0
		.amdhsa_exception_fp_ieee_invalid_op 0
		.amdhsa_exception_fp_denorm_src 0
		.amdhsa_exception_fp_ieee_div_zero 0
		.amdhsa_exception_fp_ieee_overflow 0
		.amdhsa_exception_fp_ieee_underflow 0
		.amdhsa_exception_fp_ieee_inexact 0
		.amdhsa_exception_int_div_zero 0
	.end_amdhsa_kernel
	.section	.text._ZN9rocsolver6v33100L18trti2_kernel_smallILi50E19rocblas_complex_numIdEPKPS3_EEv13rocblas_fill_17rocblas_diagonal_T1_iil,"axG",@progbits,_ZN9rocsolver6v33100L18trti2_kernel_smallILi50E19rocblas_complex_numIdEPKPS3_EEv13rocblas_fill_17rocblas_diagonal_T1_iil,comdat
.Lfunc_end113:
	.size	_ZN9rocsolver6v33100L18trti2_kernel_smallILi50E19rocblas_complex_numIdEPKPS3_EEv13rocblas_fill_17rocblas_diagonal_T1_iil, .Lfunc_end113-_ZN9rocsolver6v33100L18trti2_kernel_smallILi50E19rocblas_complex_numIdEPKPS3_EEv13rocblas_fill_17rocblas_diagonal_T1_iil
                                        ; -- End function
	.section	.AMDGPU.csdata,"",@progbits
; Kernel info:
; codeLenInByte = 33068
; NumSgprs: 18
; NumVgprs: 256
; NumAgprs: 4
; TotalNumVgprs: 260
; ScratchSize: 816
; MemoryBound: 0
; FloatMode: 240
; IeeeMode: 1
; LDSByteSize: 1600 bytes/workgroup (compile time only)
; SGPRBlocks: 2
; VGPRBlocks: 32
; NumSGPRsForWavesPerEU: 18
; NumVGPRsForWavesPerEU: 260
; AccumOffset: 256
; Occupancy: 1
; WaveLimiterHint : 1
; COMPUTE_PGM_RSRC2:SCRATCH_EN: 1
; COMPUTE_PGM_RSRC2:USER_SGPR: 2
; COMPUTE_PGM_RSRC2:TRAP_HANDLER: 0
; COMPUTE_PGM_RSRC2:TGID_X_EN: 1
; COMPUTE_PGM_RSRC2:TGID_Y_EN: 0
; COMPUTE_PGM_RSRC2:TGID_Z_EN: 0
; COMPUTE_PGM_RSRC2:TIDIG_COMP_CNT: 0
; COMPUTE_PGM_RSRC3_GFX90A:ACCUM_OFFSET: 63
; COMPUTE_PGM_RSRC3_GFX90A:TG_SPLIT: 0
	.section	.text._ZN9rocsolver6v33100L18trti2_kernel_smallILi51E19rocblas_complex_numIdEPKPS3_EEv13rocblas_fill_17rocblas_diagonal_T1_iil,"axG",@progbits,_ZN9rocsolver6v33100L18trti2_kernel_smallILi51E19rocblas_complex_numIdEPKPS3_EEv13rocblas_fill_17rocblas_diagonal_T1_iil,comdat
	.globl	_ZN9rocsolver6v33100L18trti2_kernel_smallILi51E19rocblas_complex_numIdEPKPS3_EEv13rocblas_fill_17rocblas_diagonal_T1_iil ; -- Begin function _ZN9rocsolver6v33100L18trti2_kernel_smallILi51E19rocblas_complex_numIdEPKPS3_EEv13rocblas_fill_17rocblas_diagonal_T1_iil
	.p2align	8
	.type	_ZN9rocsolver6v33100L18trti2_kernel_smallILi51E19rocblas_complex_numIdEPKPS3_EEv13rocblas_fill_17rocblas_diagonal_T1_iil,@function
_ZN9rocsolver6v33100L18trti2_kernel_smallILi51E19rocblas_complex_numIdEPKPS3_EEv13rocblas_fill_17rocblas_diagonal_T1_iil: ; @_ZN9rocsolver6v33100L18trti2_kernel_smallILi51E19rocblas_complex_numIdEPKPS3_EEv13rocblas_fill_17rocblas_diagonal_T1_iil
; %bb.0:
	v_cmp_gt_u32_e32 vcc, 51, v0
	s_and_saveexec_b64 s[4:5], vcc
	s_cbranch_execz .LBB114_803
; %bb.1:
	s_load_dwordx2 s[8:9], s[0:1], 0x10
	s_load_dwordx4 s[4:7], s[0:1], 0x0
	s_ashr_i32 s3, s2, 31
	s_lshl_b64 s[0:1], s[2:3], 3
	v_lshlrev_b32_e32 v68, 4, v0
	s_waitcnt lgkmcnt(0)
	s_ashr_i32 s3, s8, 31
	s_add_u32 s0, s6, s0
	s_addc_u32 s1, s7, s1
	s_load_dwordx2 s[0:1], s[0:1], 0x0
	s_mov_b32 s2, s8
	s_lshl_b64 s[2:3], s[2:3], 4
	v_mov_b32_e32 v69, 0
	v_mov_b32_e32 v1, 0
	s_waitcnt lgkmcnt(0)
	s_add_u32 s0, s0, s2
	s_addc_u32 s1, s1, s3
	v_lshl_add_u64 v[18:19], s[0:1], 0, v[68:69]
	s_ashr_i32 s3, s9, 31
	s_mov_b32 s2, s9
	v_lshl_add_u64 v[20:21], s[2:3], 4, v[18:19]
	s_add_i32 s2, s9, s9
	v_add_u32_e32 v2, s2, v0
	v_ashrrev_i32_e32 v3, 31, v2
	v_lshl_add_u64 v[22:23], v[2:3], 4, s[0:1]
	v_add_u32_e32 v2, s9, v2
	v_ashrrev_i32_e32 v3, 31, v2
	v_lshl_add_u64 v[24:25], v[2:3], 4, s[0:1]
	;; [unrolled: 3-line block ×6, first 2 shown]
	v_add_u32_e32 v2, s9, v2
	v_ashrrev_i32_e32 v3, 31, v2
	v_add_u32_e32 v4, s9, v2
	v_lshl_add_u64 v[34:35], v[2:3], 4, s[0:1]
	v_ashrrev_i32_e32 v5, 31, v4
	v_add_u32_e32 v2, s9, v4
	v_lshl_add_u64 v[6:7], v[4:5], 4, s[0:1]
	;; [unrolled: 3-line block ×6, first 2 shown]
	v_ashrrev_i32_e32 v3, 31, v2
	global_load_dwordx4 v[60:63], v68, s[0:1]
	global_load_dwordx4 v[64:67], v[20:21], off
	global_load_dwordx4 v[70:73], v[22:23], off
	;; [unrolled: 1-line block ×12, first 2 shown]
	v_lshl_add_u64 v[46:47], v[2:3], 4, s[0:1]
	global_load_dwordx4 v[114:117], v[44:45], off
	global_load_dwordx4 v[118:121], v[46:47], off
	v_add_u32_e32 v2, s9, v2
	v_add_u32_e32 v4, s9, v2
	;; [unrolled: 1-line block ×5, first 2 shown]
	v_ashrrev_i32_e32 v37, 31, v36
	v_add_u32_e32 v130, s9, v36
	v_ashrrev_i32_e32 v3, 31, v2
	v_ashrrev_i32_e32 v11, 31, v10
	v_lshl_add_u64 v[56:57], v[36:37], 4, s[0:1]
	v_add_u32_e32 v36, s9, v130
	v_accvgpr_write_b32 a0, v6
	v_lshl_add_u64 v[48:49], v[2:3], 4, s[0:1]
	v_ashrrev_i32_e32 v5, 31, v4
	v_lshl_add_u64 v[52:53], v[10:11], 4, s[0:1]
	v_ashrrev_i32_e32 v13, 31, v12
	v_ashrrev_i32_e32 v37, 31, v36
	v_accvgpr_write_b32 a1, v7
	v_lshl_add_u64 v[50:51], v[4:5], 4, s[0:1]
	global_load_dwordx4 v[2:5], v[48:49], off
	global_load_dwordx4 v[6:9], v[50:51], off
	v_lshl_add_u64 v[54:55], v[12:13], 4, s[0:1]
	global_load_dwordx4 v[10:13], v[52:53], off
	global_load_dwordx4 v[14:17], v[54:55], off
	v_ashrrev_i32_e32 v131, 31, v130
	v_lshl_add_u64 v[58:59], v[130:131], 4, s[0:1]
	s_cmpk_lg_i32 s5, 0x84
	s_cselect_b64 s[6:7], -1, 0
	s_cmpk_eq_i32 s5, 0x84
	s_waitcnt vmcnt(18)
	scratch_store_dwordx4 off, v[60:63], off
	s_waitcnt vmcnt(18)
	scratch_store_dwordx4 off, v[64:67], off offset:16
	s_waitcnt vmcnt(18)
	scratch_store_dwordx4 off, v[70:73], off offset:32
	;; [unrolled: 2-line block ×14, first 2 shown]
	v_lshl_add_u64 v[60:61], v[36:37], 4, s[0:1]
	v_add_u32_e32 v36, s9, v36
	v_ashrrev_i32_e32 v37, 31, v36
	v_lshl_add_u64 v[62:63], v[36:37], 4, s[0:1]
	v_add_u32_e32 v36, s9, v36
	v_ashrrev_i32_e32 v37, 31, v36
	;; [unrolled: 3-line block ×29, first 2 shown]
	global_load_dwordx4 v[122:125], v[56:57], off
	global_load_dwordx4 v[126:129], v[58:59], off
	;; [unrolled: 1-line block ×30, first 2 shown]
	v_lshl_add_u64 v[120:121], v[36:37], 4, s[0:1]
	global_load_dwordx4 v[242:245], v[118:119], off
	global_load_dwordx4 v[246:249], v[120:121], off
	s_waitcnt vmcnt(50)
	scratch_store_dwordx4 off, v[2:5], off offset:240
	s_waitcnt vmcnt(50)
	scratch_store_dwordx4 off, v[6:9], off offset:256
	;; [unrolled: 2-line block ×36, first 2 shown]
	s_cbranch_scc1 .LBB114_7
; %bb.2:
	scratch_load_dwordx4 v[8:11], v68, off
                                        ; implicit-def: $vgpr6_vgpr7
	s_waitcnt vmcnt(0)
	v_xor_b32_e32 v3, 0x80000000, v9
	v_cmp_gt_f64_e32 vcc, 0, v[8:9]
	v_xor_b32_e32 v4, 0x80000000, v11
	v_mov_b32_e32 v2, v8
	v_cndmask_b32_e32 v3, v9, v3, vcc
	v_cmp_gt_f64_e32 vcc, 0, v[10:11]
	s_nop 1
	v_cndmask_b32_e32 v5, v11, v4, vcc
	v_mov_b32_e32 v4, v10
	v_cmp_ngt_f64_e32 vcc, v[2:3], v[4:5]
                                        ; implicit-def: $vgpr2_vgpr3
	s_and_saveexec_b64 s[0:1], vcc
	s_xor_b64 s[0:1], exec, s[0:1]
	s_cbranch_execz .LBB114_4
; %bb.3:
	v_div_scale_f64 v[2:3], s[2:3], v[10:11], v[10:11], v[8:9]
	v_rcp_f64_e32 v[4:5], v[2:3]
	v_div_scale_f64 v[6:7], vcc, v[8:9], v[10:11], v[8:9]
	v_fma_f64 v[12:13], -v[2:3], v[4:5], 1.0
	v_fmac_f64_e32 v[4:5], v[4:5], v[12:13]
	v_fma_f64 v[12:13], -v[2:3], v[4:5], 1.0
	v_fmac_f64_e32 v[4:5], v[4:5], v[12:13]
	v_mul_f64 v[12:13], v[6:7], v[4:5]
	v_fma_f64 v[2:3], -v[2:3], v[12:13], v[6:7]
	v_div_fmas_f64 v[2:3], v[2:3], v[4:5], v[12:13]
	v_div_fixup_f64 v[2:3], v[2:3], v[10:11], v[8:9]
	v_fmac_f64_e32 v[10:11], v[8:9], v[2:3]
	v_div_scale_f64 v[4:5], s[2:3], v[10:11], v[10:11], 1.0
	v_rcp_f64_e32 v[6:7], v[4:5]
	s_nop 0
	v_fma_f64 v[8:9], -v[4:5], v[6:7], 1.0
	v_fmac_f64_e32 v[6:7], v[6:7], v[8:9]
	v_fma_f64 v[8:9], -v[4:5], v[6:7], 1.0
	v_fmac_f64_e32 v[6:7], v[6:7], v[8:9]
	v_div_scale_f64 v[8:9], vcc, 1.0, v[10:11], 1.0
	v_mul_f64 v[12:13], v[8:9], v[6:7]
	v_fma_f64 v[4:5], -v[4:5], v[12:13], v[8:9]
                                        ; implicit-def: $vgpr8_vgpr9
	s_nop 1
	v_div_fmas_f64 v[4:5], v[4:5], v[6:7], v[12:13]
	v_div_fixup_f64 v[4:5], v[4:5], v[10:11], 1.0
	v_mul_f64 v[2:3], v[2:3], v[4:5]
	v_xor_b32_e32 v5, 0x80000000, v5
	v_xor_b32_e32 v7, 0x80000000, v3
	v_mov_b32_e32 v6, v2
.LBB114_4:
	s_or_saveexec_b64 s[0:1], s[0:1]
	v_add_u32_e32 v12, 0, v68
	s_xor_b64 exec, exec, s[0:1]
	s_cbranch_execz .LBB114_6
; %bb.5:
	v_div_scale_f64 v[2:3], s[2:3], v[8:9], v[8:9], v[10:11]
	v_rcp_f64_e32 v[4:5], v[2:3]
	v_div_scale_f64 v[6:7], vcc, v[10:11], v[8:9], v[10:11]
	v_fma_f64 v[14:15], -v[2:3], v[4:5], 1.0
	v_fmac_f64_e32 v[4:5], v[4:5], v[14:15]
	v_fma_f64 v[14:15], -v[2:3], v[4:5], 1.0
	v_fmac_f64_e32 v[4:5], v[4:5], v[14:15]
	v_mul_f64 v[14:15], v[6:7], v[4:5]
	v_fma_f64 v[2:3], -v[2:3], v[14:15], v[6:7]
	v_div_fmas_f64 v[2:3], v[2:3], v[4:5], v[14:15]
	v_div_fixup_f64 v[4:5], v[2:3], v[8:9], v[10:11]
	v_fmac_f64_e32 v[8:9], v[10:11], v[4:5]
	v_div_scale_f64 v[2:3], s[2:3], v[8:9], v[8:9], 1.0
	v_rcp_f64_e32 v[6:7], v[2:3]
	s_nop 0
	v_fma_f64 v[10:11], -v[2:3], v[6:7], 1.0
	v_fmac_f64_e32 v[6:7], v[6:7], v[10:11]
	v_fma_f64 v[10:11], -v[2:3], v[6:7], 1.0
	v_fmac_f64_e32 v[6:7], v[6:7], v[10:11]
	v_div_scale_f64 v[10:11], vcc, 1.0, v[8:9], 1.0
	v_mul_f64 v[14:15], v[10:11], v[6:7]
	v_fma_f64 v[2:3], -v[2:3], v[14:15], v[10:11]
	s_nop 1
	v_div_fmas_f64 v[2:3], v[2:3], v[6:7], v[14:15]
	v_div_fixup_f64 v[2:3], v[2:3], v[8:9], 1.0
	v_xor_b32_e32 v7, 0x80000000, v3
	v_mov_b32_e32 v6, v2
	v_mul_f64 v[4:5], v[4:5], -v[2:3]
.LBB114_6:
	s_or_b64 exec, exec, s[0:1]
	scratch_store_dwordx4 v12, v[2:5], off
	s_nop 1
	v_xor_b32_e32 v5, 0x80000000, v5
	s_branch .LBB114_8
.LBB114_7:
	v_mov_b64_e32 v[4:5], 0
	v_mov_b64_e32 v[6:7], -1.0
.LBB114_8:
	v_mov_b32_e32 v8, v4
	v_mov_b32_e32 v9, v5
	v_add_u32_e32 v161, 16, v1
	v_add_u32_e32 v160, 32, v1
	;; [unrolled: 1-line block ×50, first 2 shown]
	ds_write_b128 v68, v[6:9]
	s_cmpk_eq_i32 s4, 0x79
	v_add_u32_e32 v9, 0x330, v68
	v_add_u32_e32 v8, 0, v68
	s_cbranch_scc1 .LBB114_404
; %bb.9:
	scratch_load_dwordx4 v[2:5], v36, off
	v_cmp_eq_u32_e64 s[0:1], 50, v0
	s_waitcnt vmcnt(0)
	ds_write_b128 v9, v[2:5]
	s_waitcnt lgkmcnt(0)
	; wave barrier
	s_waitcnt lgkmcnt(0)
	s_and_saveexec_b64 s[2:3], s[0:1]
	s_cbranch_execz .LBB114_13
; %bb.10:
	ds_read_b128 v[2:5], v9
	s_andn2_b64 vcc, exec, s[6:7]
	s_cbranch_vccnz .LBB114_12
; %bb.11:
	scratch_load_dwordx4 v[162:165], v8, off
	s_waitcnt vmcnt(0) lgkmcnt(0)
	v_mul_f64 v[10:11], v[2:3], v[164:165]
	v_mul_f64 v[6:7], v[4:5], v[164:165]
	v_fmac_f64_e32 v[10:11], v[4:5], v[162:163]
	v_fma_f64 v[2:3], v[2:3], v[162:163], -v[6:7]
	v_mov_b64_e32 v[4:5], v[10:11]
.LBB114_12:
	v_mov_b32_e32 v6, 0
	ds_read_b128 v[162:165], v6 offset:784
	s_waitcnt lgkmcnt(0)
	v_mul_f64 v[6:7], v[4:5], v[164:165]
	v_mul_f64 v[166:167], v[2:3], v[164:165]
	v_fma_f64 v[164:165], v[2:3], v[162:163], -v[6:7]
	v_fmac_f64_e32 v[166:167], v[4:5], v[162:163]
	scratch_store_dwordx4 off, v[164:167], off offset:784
.LBB114_13:
	s_or_b64 exec, exec, s[2:3]
	scratch_load_dwordx4 v[2:5], v37, off
	v_cmp_lt_u32_e64 s[2:3], 48, v0
	s_waitcnt vmcnt(0)
	ds_write_b128 v9, v[2:5]
	s_waitcnt lgkmcnt(0)
	; wave barrier
	s_waitcnt lgkmcnt(0)
	s_and_saveexec_b64 s[4:5], s[2:3]
	s_cbranch_execz .LBB114_19
; %bb.14:
	ds_read_b128 v[2:5], v9
	s_andn2_b64 vcc, exec, s[6:7]
	s_cbranch_vccnz .LBB114_16
; %bb.15:
	scratch_load_dwordx4 v[162:165], v8, off
	s_waitcnt vmcnt(0) lgkmcnt(0)
	v_mul_f64 v[10:11], v[2:3], v[164:165]
	v_mul_f64 v[6:7], v[4:5], v[164:165]
	v_fmac_f64_e32 v[10:11], v[4:5], v[162:163]
	v_fma_f64 v[2:3], v[2:3], v[162:163], -v[6:7]
	v_mov_b64_e32 v[4:5], v[10:11]
.LBB114_16:
	s_and_saveexec_b64 s[8:9], s[0:1]
	s_cbranch_execz .LBB114_18
; %bb.17:
	scratch_load_dwordx4 v[162:165], off, off offset:784
	v_mov_b32_e32 v6, 0
	ds_read_b128 v[166:169], v6 offset:1600
	s_waitcnt vmcnt(0) lgkmcnt(0)
	v_mul_f64 v[6:7], v[166:167], v[164:165]
	v_mul_f64 v[10:11], v[168:169], v[164:165]
	v_fmac_f64_e32 v[6:7], v[168:169], v[162:163]
	v_fma_f64 v[10:11], v[166:167], v[162:163], -v[10:11]
	v_add_f64 v[4:5], v[4:5], v[6:7]
	v_add_f64 v[2:3], v[2:3], v[10:11]
.LBB114_18:
	s_or_b64 exec, exec, s[8:9]
	v_mov_b32_e32 v6, 0
	ds_read_b128 v[162:165], v6 offset:768
	s_waitcnt lgkmcnt(0)
	v_mul_f64 v[6:7], v[4:5], v[164:165]
	v_mul_f64 v[166:167], v[2:3], v[164:165]
	v_fma_f64 v[164:165], v[2:3], v[162:163], -v[6:7]
	v_fmac_f64_e32 v[166:167], v[4:5], v[162:163]
	scratch_store_dwordx4 off, v[164:167], off offset:768
.LBB114_19:
	s_or_b64 exec, exec, s[4:5]
	scratch_load_dwordx4 v[2:5], v172, off
	v_cmp_lt_u32_e64 s[0:1], 47, v0
	s_waitcnt vmcnt(0)
	ds_write_b128 v9, v[2:5]
	s_waitcnt lgkmcnt(0)
	; wave barrier
	s_waitcnt lgkmcnt(0)
	s_and_saveexec_b64 s[4:5], s[0:1]
	s_cbranch_execz .LBB114_27
; %bb.20:
	ds_read_b128 v[2:5], v9
	s_andn2_b64 vcc, exec, s[6:7]
	s_cbranch_vccnz .LBB114_22
; %bb.21:
	scratch_load_dwordx4 v[162:165], v8, off
	s_waitcnt vmcnt(0) lgkmcnt(0)
	v_mul_f64 v[10:11], v[2:3], v[164:165]
	v_mul_f64 v[6:7], v[4:5], v[164:165]
	v_fmac_f64_e32 v[10:11], v[4:5], v[162:163]
	v_fma_f64 v[2:3], v[2:3], v[162:163], -v[6:7]
	v_mov_b64_e32 v[4:5], v[10:11]
.LBB114_22:
	s_and_saveexec_b64 s[8:9], s[2:3]
	s_cbranch_execz .LBB114_26
; %bb.23:
	v_mov_b32_e32 v7, 0
	v_subrev_u32_e32 v6, 48, v0
	v_add_u32_e32 v7, 0x308, v7
	s_movk_i32 s10, 0x630
	s_mov_b64 s[2:3], 0
.LBB114_24:                             ; =>This Inner Loop Header: Depth=1
	v_add_u32_e32 v10, -8, v7
	scratch_load_dwordx4 v[162:165], v10, off
	v_mov_b32_e32 v10, s10
	ds_read_b128 v[166:169], v10
	v_add_u32_e32 v6, -1, v6
	s_add_i32 s10, s10, 16
	v_cmp_eq_u32_e32 vcc, 0, v6
	v_add_u32_e32 v7, 16, v7
	s_or_b64 s[2:3], vcc, s[2:3]
	s_waitcnt vmcnt(0) lgkmcnt(0)
	v_mul_f64 v[10:11], v[168:169], v[164:165]
	v_mul_f64 v[12:13], v[166:167], v[164:165]
	v_fma_f64 v[10:11], v[166:167], v[162:163], -v[10:11]
	v_fmac_f64_e32 v[12:13], v[168:169], v[162:163]
	v_add_f64 v[2:3], v[2:3], v[10:11]
	v_add_f64 v[4:5], v[4:5], v[12:13]
	s_andn2_b64 exec, exec, s[2:3]
	s_cbranch_execnz .LBB114_24
; %bb.25:
	s_or_b64 exec, exec, s[2:3]
.LBB114_26:
	s_or_b64 exec, exec, s[8:9]
	v_mov_b32_e32 v6, 0
	ds_read_b128 v[162:165], v6 offset:752
	s_waitcnt lgkmcnt(0)
	v_mul_f64 v[6:7], v[4:5], v[164:165]
	v_mul_f64 v[166:167], v[2:3], v[164:165]
	v_fma_f64 v[164:165], v[2:3], v[162:163], -v[6:7]
	v_fmac_f64_e32 v[166:167], v[4:5], v[162:163]
	scratch_store_dwordx4 off, v[164:167], off offset:752
.LBB114_27:
	s_or_b64 exec, exec, s[4:5]
	scratch_load_dwordx4 v[2:5], v173, off
	v_cmp_lt_u32_e64 s[2:3], 46, v0
	s_waitcnt vmcnt(0)
	ds_write_b128 v9, v[2:5]
	s_waitcnt lgkmcnt(0)
	; wave barrier
	s_waitcnt lgkmcnt(0)
	s_and_saveexec_b64 s[4:5], s[2:3]
	s_cbranch_execz .LBB114_35
; %bb.28:
	ds_read_b128 v[2:5], v9
	s_andn2_b64 vcc, exec, s[6:7]
	s_cbranch_vccnz .LBB114_30
; %bb.29:
	scratch_load_dwordx4 v[162:165], v8, off
	s_waitcnt vmcnt(0) lgkmcnt(0)
	v_mul_f64 v[10:11], v[2:3], v[164:165]
	v_mul_f64 v[6:7], v[4:5], v[164:165]
	v_fmac_f64_e32 v[10:11], v[4:5], v[162:163]
	v_fma_f64 v[2:3], v[2:3], v[162:163], -v[6:7]
	v_mov_b64_e32 v[4:5], v[10:11]
.LBB114_30:
	s_and_saveexec_b64 s[8:9], s[0:1]
	s_cbranch_execz .LBB114_34
; %bb.31:
	v_mov_b32_e32 v7, 0
	v_subrev_u32_e32 v6, 47, v0
	v_add_u32_e32 v7, 0x2f8, v7
	s_movk_i32 s10, 0x620
	s_mov_b64 s[0:1], 0
.LBB114_32:                             ; =>This Inner Loop Header: Depth=1
	v_add_u32_e32 v10, -8, v7
	scratch_load_dwordx4 v[162:165], v10, off
	v_mov_b32_e32 v10, s10
	ds_read_b128 v[166:169], v10
	v_add_u32_e32 v6, -1, v6
	s_add_i32 s10, s10, 16
	v_cmp_eq_u32_e32 vcc, 0, v6
	v_add_u32_e32 v7, 16, v7
	s_or_b64 s[0:1], vcc, s[0:1]
	s_waitcnt vmcnt(0) lgkmcnt(0)
	v_mul_f64 v[10:11], v[168:169], v[164:165]
	v_mul_f64 v[12:13], v[166:167], v[164:165]
	v_fma_f64 v[10:11], v[166:167], v[162:163], -v[10:11]
	v_fmac_f64_e32 v[12:13], v[168:169], v[162:163]
	v_add_f64 v[2:3], v[2:3], v[10:11]
	v_add_f64 v[4:5], v[4:5], v[12:13]
	s_andn2_b64 exec, exec, s[0:1]
	s_cbranch_execnz .LBB114_32
; %bb.33:
	s_or_b64 exec, exec, s[0:1]
.LBB114_34:
	s_or_b64 exec, exec, s[8:9]
	v_mov_b32_e32 v6, 0
	ds_read_b128 v[162:165], v6 offset:736
	s_waitcnt lgkmcnt(0)
	v_mul_f64 v[6:7], v[4:5], v[164:165]
	v_mul_f64 v[166:167], v[2:3], v[164:165]
	v_fma_f64 v[164:165], v[2:3], v[162:163], -v[6:7]
	v_fmac_f64_e32 v[166:167], v[4:5], v[162:163]
	scratch_store_dwordx4 off, v[164:167], off offset:736
.LBB114_35:
	;; [unrolled: 63-line block ×10, first 2 shown]
	s_or_b64 exec, exec, s[4:5]
	scratch_load_dwordx4 v[2:5], v125, off
	v_cmp_lt_u32_e64 s[0:1], 37, v0
	s_waitcnt vmcnt(0)
	ds_write_b128 v9, v[2:5]
	s_waitcnt lgkmcnt(0)
	; wave barrier
	s_waitcnt lgkmcnt(0)
	s_and_saveexec_b64 s[4:5], s[0:1]
	s_cbranch_execz .LBB114_107
; %bb.100:
	ds_read_b128 v[2:5], v9
	s_andn2_b64 vcc, exec, s[6:7]
	s_cbranch_vccnz .LBB114_102
; %bb.101:
	scratch_load_dwordx4 v[162:165], v8, off
	s_waitcnt vmcnt(0) lgkmcnt(0)
	v_mul_f64 v[10:11], v[2:3], v[164:165]
	v_mul_f64 v[6:7], v[4:5], v[164:165]
	v_fmac_f64_e32 v[10:11], v[4:5], v[162:163]
	v_fma_f64 v[2:3], v[2:3], v[162:163], -v[6:7]
	v_mov_b64_e32 v[4:5], v[10:11]
.LBB114_102:
	s_and_saveexec_b64 s[8:9], s[2:3]
	s_cbranch_execz .LBB114_106
; %bb.103:
	v_mov_b32_e32 v7, 0
	v_subrev_u32_e32 v6, 38, v0
	v_add_u32_e32 v7, 0x268, v7
	s_movk_i32 s10, 0x590
	s_mov_b64 s[2:3], 0
.LBB114_104:                            ; =>This Inner Loop Header: Depth=1
	v_add_u32_e32 v10, -8, v7
	scratch_load_dwordx4 v[162:165], v10, off
	v_mov_b32_e32 v10, s10
	ds_read_b128 v[166:169], v10
	v_add_u32_e32 v6, -1, v6
	s_add_i32 s10, s10, 16
	v_cmp_eq_u32_e32 vcc, 0, v6
	v_add_u32_e32 v7, 16, v7
	s_or_b64 s[2:3], vcc, s[2:3]
	s_waitcnt vmcnt(0) lgkmcnt(0)
	v_mul_f64 v[10:11], v[168:169], v[164:165]
	v_mul_f64 v[12:13], v[166:167], v[164:165]
	v_fma_f64 v[10:11], v[166:167], v[162:163], -v[10:11]
	v_fmac_f64_e32 v[12:13], v[168:169], v[162:163]
	v_add_f64 v[2:3], v[2:3], v[10:11]
	v_add_f64 v[4:5], v[4:5], v[12:13]
	s_andn2_b64 exec, exec, s[2:3]
	s_cbranch_execnz .LBB114_104
; %bb.105:
	s_or_b64 exec, exec, s[2:3]
.LBB114_106:
	s_or_b64 exec, exec, s[8:9]
	v_mov_b32_e32 v6, 0
	ds_read_b128 v[162:165], v6 offset:592
	s_waitcnt lgkmcnt(0)
	v_mul_f64 v[6:7], v[4:5], v[164:165]
	v_mul_f64 v[166:167], v[2:3], v[164:165]
	v_fma_f64 v[164:165], v[2:3], v[162:163], -v[6:7]
	v_fmac_f64_e32 v[166:167], v[4:5], v[162:163]
	scratch_store_dwordx4 off, v[164:167], off offset:592
.LBB114_107:
	s_or_b64 exec, exec, s[4:5]
	scratch_load_dwordx4 v[2:5], v126, off
	v_cmp_lt_u32_e64 s[2:3], 36, v0
	s_waitcnt vmcnt(0)
	ds_write_b128 v9, v[2:5]
	s_waitcnt lgkmcnt(0)
	; wave barrier
	s_waitcnt lgkmcnt(0)
	s_and_saveexec_b64 s[4:5], s[2:3]
	s_cbranch_execz .LBB114_115
; %bb.108:
	ds_read_b128 v[2:5], v9
	s_andn2_b64 vcc, exec, s[6:7]
	s_cbranch_vccnz .LBB114_110
; %bb.109:
	scratch_load_dwordx4 v[162:165], v8, off
	s_waitcnt vmcnt(0) lgkmcnt(0)
	v_mul_f64 v[10:11], v[2:3], v[164:165]
	v_mul_f64 v[6:7], v[4:5], v[164:165]
	v_fmac_f64_e32 v[10:11], v[4:5], v[162:163]
	v_fma_f64 v[2:3], v[2:3], v[162:163], -v[6:7]
	v_mov_b64_e32 v[4:5], v[10:11]
.LBB114_110:
	s_and_saveexec_b64 s[8:9], s[0:1]
	s_cbranch_execz .LBB114_114
; %bb.111:
	v_mov_b32_e32 v7, 0
	v_subrev_u32_e32 v6, 37, v0
	v_add_u32_e32 v7, 0x258, v7
	s_movk_i32 s10, 0x580
	s_mov_b64 s[0:1], 0
.LBB114_112:                            ; =>This Inner Loop Header: Depth=1
	v_add_u32_e32 v10, -8, v7
	scratch_load_dwordx4 v[162:165], v10, off
	v_mov_b32_e32 v10, s10
	ds_read_b128 v[166:169], v10
	v_add_u32_e32 v6, -1, v6
	s_add_i32 s10, s10, 16
	v_cmp_eq_u32_e32 vcc, 0, v6
	v_add_u32_e32 v7, 16, v7
	s_or_b64 s[0:1], vcc, s[0:1]
	s_waitcnt vmcnt(0) lgkmcnt(0)
	v_mul_f64 v[10:11], v[168:169], v[164:165]
	v_mul_f64 v[12:13], v[166:167], v[164:165]
	v_fma_f64 v[10:11], v[166:167], v[162:163], -v[10:11]
	v_fmac_f64_e32 v[12:13], v[168:169], v[162:163]
	v_add_f64 v[2:3], v[2:3], v[10:11]
	v_add_f64 v[4:5], v[4:5], v[12:13]
	s_andn2_b64 exec, exec, s[0:1]
	s_cbranch_execnz .LBB114_112
; %bb.113:
	s_or_b64 exec, exec, s[0:1]
.LBB114_114:
	s_or_b64 exec, exec, s[8:9]
	v_mov_b32_e32 v6, 0
	ds_read_b128 v[162:165], v6 offset:576
	s_waitcnt lgkmcnt(0)
	v_mul_f64 v[6:7], v[4:5], v[164:165]
	v_mul_f64 v[166:167], v[2:3], v[164:165]
	v_fma_f64 v[164:165], v[2:3], v[162:163], -v[6:7]
	v_fmac_f64_e32 v[166:167], v[4:5], v[162:163]
	scratch_store_dwordx4 off, v[164:167], off offset:576
.LBB114_115:
	;; [unrolled: 63-line block ×22, first 2 shown]
	s_or_b64 exec, exec, s[4:5]
	scratch_load_dwordx4 v[2:5], v147, off
	v_cmp_lt_u32_e64 s[0:1], 15, v0
	s_waitcnt vmcnt(0)
	ds_write_b128 v9, v[2:5]
	s_waitcnt lgkmcnt(0)
	; wave barrier
	s_waitcnt lgkmcnt(0)
	s_and_saveexec_b64 s[4:5], s[0:1]
	s_cbranch_execz .LBB114_283
; %bb.276:
	ds_read_b128 v[2:5], v9
	s_andn2_b64 vcc, exec, s[6:7]
	s_cbranch_vccnz .LBB114_278
; %bb.277:
	scratch_load_dwordx4 v[162:165], v8, off
	s_waitcnt vmcnt(0) lgkmcnt(0)
	v_mul_f64 v[10:11], v[2:3], v[164:165]
	v_mul_f64 v[6:7], v[4:5], v[164:165]
	v_fmac_f64_e32 v[10:11], v[4:5], v[162:163]
	v_fma_f64 v[2:3], v[2:3], v[162:163], -v[6:7]
	v_mov_b64_e32 v[4:5], v[10:11]
.LBB114_278:
	s_and_saveexec_b64 s[8:9], s[2:3]
	s_cbranch_execz .LBB114_282
; %bb.279:
	v_mov_b32_e32 v7, 0
	v_add_u32_e32 v6, -16, v0
	v_add_u32_e32 v7, 0x108, v7
	s_movk_i32 s10, 0x430
	s_mov_b64 s[2:3], 0
.LBB114_280:                            ; =>This Inner Loop Header: Depth=1
	v_add_u32_e32 v10, -8, v7
	scratch_load_dwordx4 v[162:165], v10, off
	v_mov_b32_e32 v10, s10
	ds_read_b128 v[166:169], v10
	v_add_u32_e32 v6, -1, v6
	s_add_i32 s10, s10, 16
	v_cmp_eq_u32_e32 vcc, 0, v6
	v_add_u32_e32 v7, 16, v7
	s_or_b64 s[2:3], vcc, s[2:3]
	s_waitcnt vmcnt(0) lgkmcnt(0)
	v_mul_f64 v[10:11], v[168:169], v[164:165]
	v_mul_f64 v[12:13], v[166:167], v[164:165]
	v_fma_f64 v[10:11], v[166:167], v[162:163], -v[10:11]
	v_fmac_f64_e32 v[12:13], v[168:169], v[162:163]
	v_add_f64 v[2:3], v[2:3], v[10:11]
	v_add_f64 v[4:5], v[4:5], v[12:13]
	s_andn2_b64 exec, exec, s[2:3]
	s_cbranch_execnz .LBB114_280
; %bb.281:
	s_or_b64 exec, exec, s[2:3]
.LBB114_282:
	s_or_b64 exec, exec, s[8:9]
	v_mov_b32_e32 v6, 0
	ds_read_b128 v[162:165], v6 offset:240
	s_waitcnt lgkmcnt(0)
	v_mul_f64 v[6:7], v[4:5], v[164:165]
	v_mul_f64 v[166:167], v[2:3], v[164:165]
	v_fma_f64 v[164:165], v[2:3], v[162:163], -v[6:7]
	v_fmac_f64_e32 v[166:167], v[4:5], v[162:163]
	scratch_store_dwordx4 off, v[164:167], off offset:240
.LBB114_283:
	s_or_b64 exec, exec, s[4:5]
	scratch_load_dwordx4 v[2:5], v148, off
	v_cmp_lt_u32_e64 s[2:3], 14, v0
	s_waitcnt vmcnt(0)
	ds_write_b128 v9, v[2:5]
	s_waitcnt lgkmcnt(0)
	; wave barrier
	s_waitcnt lgkmcnt(0)
	s_and_saveexec_b64 s[4:5], s[2:3]
	s_cbranch_execz .LBB114_291
; %bb.284:
	ds_read_b128 v[2:5], v9
	s_andn2_b64 vcc, exec, s[6:7]
	s_cbranch_vccnz .LBB114_286
; %bb.285:
	scratch_load_dwordx4 v[162:165], v8, off
	s_waitcnt vmcnt(0) lgkmcnt(0)
	v_mul_f64 v[10:11], v[2:3], v[164:165]
	v_mul_f64 v[6:7], v[4:5], v[164:165]
	v_fmac_f64_e32 v[10:11], v[4:5], v[162:163]
	v_fma_f64 v[2:3], v[2:3], v[162:163], -v[6:7]
	v_mov_b64_e32 v[4:5], v[10:11]
.LBB114_286:
	s_and_saveexec_b64 s[8:9], s[0:1]
	s_cbranch_execz .LBB114_290
; %bb.287:
	v_mov_b32_e32 v7, 0
	v_add_u32_e32 v6, -15, v0
	v_add_u32_e32 v7, 0xf8, v7
	s_movk_i32 s10, 0x420
	s_mov_b64 s[0:1], 0
.LBB114_288:                            ; =>This Inner Loop Header: Depth=1
	v_add_u32_e32 v10, -8, v7
	scratch_load_dwordx4 v[162:165], v10, off
	v_mov_b32_e32 v10, s10
	ds_read_b128 v[166:169], v10
	v_add_u32_e32 v6, -1, v6
	s_add_i32 s10, s10, 16
	v_cmp_eq_u32_e32 vcc, 0, v6
	v_add_u32_e32 v7, 16, v7
	s_or_b64 s[0:1], vcc, s[0:1]
	s_waitcnt vmcnt(0) lgkmcnt(0)
	v_mul_f64 v[10:11], v[168:169], v[164:165]
	v_mul_f64 v[12:13], v[166:167], v[164:165]
	v_fma_f64 v[10:11], v[166:167], v[162:163], -v[10:11]
	v_fmac_f64_e32 v[12:13], v[168:169], v[162:163]
	v_add_f64 v[2:3], v[2:3], v[10:11]
	v_add_f64 v[4:5], v[4:5], v[12:13]
	s_andn2_b64 exec, exec, s[0:1]
	s_cbranch_execnz .LBB114_288
; %bb.289:
	s_or_b64 exec, exec, s[0:1]
.LBB114_290:
	s_or_b64 exec, exec, s[8:9]
	v_mov_b32_e32 v6, 0
	ds_read_b128 v[162:165], v6 offset:224
	s_waitcnt lgkmcnt(0)
	v_mul_f64 v[6:7], v[4:5], v[164:165]
	v_mul_f64 v[166:167], v[2:3], v[164:165]
	v_fma_f64 v[164:165], v[2:3], v[162:163], -v[6:7]
	v_fmac_f64_e32 v[166:167], v[4:5], v[162:163]
	scratch_store_dwordx4 off, v[164:167], off offset:224
.LBB114_291:
	s_or_b64 exec, exec, s[4:5]
	scratch_load_dwordx4 v[2:5], v149, off
	v_cmp_lt_u32_e64 s[0:1], 13, v0
	s_waitcnt vmcnt(0)
	ds_write_b128 v9, v[2:5]
	s_waitcnt lgkmcnt(0)
	; wave barrier
	s_waitcnt lgkmcnt(0)
	s_and_saveexec_b64 s[4:5], s[0:1]
	s_cbranch_execz .LBB114_299
; %bb.292:
	ds_read_b128 v[2:5], v9
	s_andn2_b64 vcc, exec, s[6:7]
	s_cbranch_vccnz .LBB114_294
; %bb.293:
	scratch_load_dwordx4 v[162:165], v8, off
	s_waitcnt vmcnt(0) lgkmcnt(0)
	v_mul_f64 v[10:11], v[2:3], v[164:165]
	v_mul_f64 v[6:7], v[4:5], v[164:165]
	v_fmac_f64_e32 v[10:11], v[4:5], v[162:163]
	v_fma_f64 v[2:3], v[2:3], v[162:163], -v[6:7]
	v_mov_b64_e32 v[4:5], v[10:11]
.LBB114_294:
	s_and_saveexec_b64 s[8:9], s[2:3]
	s_cbranch_execz .LBB114_298
; %bb.295:
	v_mov_b32_e32 v7, 0
	v_add_u32_e32 v6, -14, v0
	v_add_u32_e32 v7, 0xe8, v7
	s_movk_i32 s10, 0x410
	s_mov_b64 s[2:3], 0
.LBB114_296:                            ; =>This Inner Loop Header: Depth=1
	v_add_u32_e32 v10, -8, v7
	scratch_load_dwordx4 v[162:165], v10, off
	v_mov_b32_e32 v10, s10
	ds_read_b128 v[166:169], v10
	v_add_u32_e32 v6, -1, v6
	s_add_i32 s10, s10, 16
	v_cmp_eq_u32_e32 vcc, 0, v6
	v_add_u32_e32 v7, 16, v7
	s_or_b64 s[2:3], vcc, s[2:3]
	s_waitcnt vmcnt(0) lgkmcnt(0)
	v_mul_f64 v[10:11], v[168:169], v[164:165]
	v_mul_f64 v[12:13], v[166:167], v[164:165]
	v_fma_f64 v[10:11], v[166:167], v[162:163], -v[10:11]
	v_fmac_f64_e32 v[12:13], v[168:169], v[162:163]
	v_add_f64 v[2:3], v[2:3], v[10:11]
	v_add_f64 v[4:5], v[4:5], v[12:13]
	s_andn2_b64 exec, exec, s[2:3]
	s_cbranch_execnz .LBB114_296
; %bb.297:
	s_or_b64 exec, exec, s[2:3]
.LBB114_298:
	s_or_b64 exec, exec, s[8:9]
	v_mov_b32_e32 v6, 0
	ds_read_b128 v[162:165], v6 offset:208
	s_waitcnt lgkmcnt(0)
	v_mul_f64 v[6:7], v[4:5], v[164:165]
	v_mul_f64 v[166:167], v[2:3], v[164:165]
	v_fma_f64 v[164:165], v[2:3], v[162:163], -v[6:7]
	v_fmac_f64_e32 v[166:167], v[4:5], v[162:163]
	scratch_store_dwordx4 off, v[164:167], off offset:208
.LBB114_299:
	s_or_b64 exec, exec, s[4:5]
	scratch_load_dwordx4 v[2:5], v150, off
	v_cmp_lt_u32_e64 s[2:3], 12, v0
	s_waitcnt vmcnt(0)
	ds_write_b128 v9, v[2:5]
	s_waitcnt lgkmcnt(0)
	; wave barrier
	s_waitcnt lgkmcnt(0)
	s_and_saveexec_b64 s[4:5], s[2:3]
	s_cbranch_execz .LBB114_307
; %bb.300:
	ds_read_b128 v[2:5], v9
	s_andn2_b64 vcc, exec, s[6:7]
	s_cbranch_vccnz .LBB114_302
; %bb.301:
	scratch_load_dwordx4 v[162:165], v8, off
	s_waitcnt vmcnt(0) lgkmcnt(0)
	v_mul_f64 v[10:11], v[2:3], v[164:165]
	v_mul_f64 v[6:7], v[4:5], v[164:165]
	v_fmac_f64_e32 v[10:11], v[4:5], v[162:163]
	v_fma_f64 v[2:3], v[2:3], v[162:163], -v[6:7]
	v_mov_b64_e32 v[4:5], v[10:11]
.LBB114_302:
	s_and_saveexec_b64 s[8:9], s[0:1]
	s_cbranch_execz .LBB114_306
; %bb.303:
	v_mov_b32_e32 v7, 0
	v_add_u32_e32 v6, -13, v0
	v_add_u32_e32 v7, 0xd8, v7
	s_movk_i32 s10, 0x400
	s_mov_b64 s[0:1], 0
.LBB114_304:                            ; =>This Inner Loop Header: Depth=1
	v_add_u32_e32 v10, -8, v7
	scratch_load_dwordx4 v[162:165], v10, off
	v_mov_b32_e32 v10, s10
	ds_read_b128 v[166:169], v10
	v_add_u32_e32 v6, -1, v6
	s_add_i32 s10, s10, 16
	v_cmp_eq_u32_e32 vcc, 0, v6
	v_add_u32_e32 v7, 16, v7
	s_or_b64 s[0:1], vcc, s[0:1]
	s_waitcnt vmcnt(0) lgkmcnt(0)
	v_mul_f64 v[10:11], v[168:169], v[164:165]
	v_mul_f64 v[12:13], v[166:167], v[164:165]
	v_fma_f64 v[10:11], v[166:167], v[162:163], -v[10:11]
	v_fmac_f64_e32 v[12:13], v[168:169], v[162:163]
	v_add_f64 v[2:3], v[2:3], v[10:11]
	v_add_f64 v[4:5], v[4:5], v[12:13]
	s_andn2_b64 exec, exec, s[0:1]
	s_cbranch_execnz .LBB114_304
; %bb.305:
	s_or_b64 exec, exec, s[0:1]
.LBB114_306:
	s_or_b64 exec, exec, s[8:9]
	v_mov_b32_e32 v6, 0
	ds_read_b128 v[162:165], v6 offset:192
	s_waitcnt lgkmcnt(0)
	v_mul_f64 v[6:7], v[4:5], v[164:165]
	v_mul_f64 v[166:167], v[2:3], v[164:165]
	v_fma_f64 v[164:165], v[2:3], v[162:163], -v[6:7]
	v_fmac_f64_e32 v[166:167], v[4:5], v[162:163]
	scratch_store_dwordx4 off, v[164:167], off offset:192
.LBB114_307:
	s_or_b64 exec, exec, s[4:5]
	scratch_load_dwordx4 v[2:5], v151, off
	v_cmp_lt_u32_e64 s[0:1], 11, v0
	s_waitcnt vmcnt(0)
	ds_write_b128 v9, v[2:5]
	s_waitcnt lgkmcnt(0)
	; wave barrier
	s_waitcnt lgkmcnt(0)
	s_and_saveexec_b64 s[4:5], s[0:1]
	s_cbranch_execz .LBB114_315
; %bb.308:
	ds_read_b128 v[2:5], v9
	s_andn2_b64 vcc, exec, s[6:7]
	s_cbranch_vccnz .LBB114_310
; %bb.309:
	scratch_load_dwordx4 v[162:165], v8, off
	s_waitcnt vmcnt(0) lgkmcnt(0)
	v_mul_f64 v[10:11], v[2:3], v[164:165]
	v_mul_f64 v[6:7], v[4:5], v[164:165]
	v_fmac_f64_e32 v[10:11], v[4:5], v[162:163]
	v_fma_f64 v[2:3], v[2:3], v[162:163], -v[6:7]
	v_mov_b64_e32 v[4:5], v[10:11]
.LBB114_310:
	s_and_saveexec_b64 s[8:9], s[2:3]
	s_cbranch_execz .LBB114_314
; %bb.311:
	v_mov_b32_e32 v7, 0
	v_add_u32_e32 v6, -12, v0
	v_add_u32_e32 v7, 0xc8, v7
	s_movk_i32 s10, 0x3f0
	s_mov_b64 s[2:3], 0
.LBB114_312:                            ; =>This Inner Loop Header: Depth=1
	v_add_u32_e32 v10, -8, v7
	scratch_load_dwordx4 v[162:165], v10, off
	v_mov_b32_e32 v10, s10
	ds_read_b128 v[166:169], v10
	v_add_u32_e32 v6, -1, v6
	s_add_i32 s10, s10, 16
	v_cmp_eq_u32_e32 vcc, 0, v6
	v_add_u32_e32 v7, 16, v7
	s_or_b64 s[2:3], vcc, s[2:3]
	s_waitcnt vmcnt(0) lgkmcnt(0)
	v_mul_f64 v[10:11], v[168:169], v[164:165]
	v_mul_f64 v[12:13], v[166:167], v[164:165]
	v_fma_f64 v[10:11], v[166:167], v[162:163], -v[10:11]
	v_fmac_f64_e32 v[12:13], v[168:169], v[162:163]
	v_add_f64 v[2:3], v[2:3], v[10:11]
	v_add_f64 v[4:5], v[4:5], v[12:13]
	s_andn2_b64 exec, exec, s[2:3]
	s_cbranch_execnz .LBB114_312
; %bb.313:
	s_or_b64 exec, exec, s[2:3]
.LBB114_314:
	s_or_b64 exec, exec, s[8:9]
	v_mov_b32_e32 v6, 0
	ds_read_b128 v[162:165], v6 offset:176
	s_waitcnt lgkmcnt(0)
	v_mul_f64 v[6:7], v[4:5], v[164:165]
	v_mul_f64 v[166:167], v[2:3], v[164:165]
	v_fma_f64 v[164:165], v[2:3], v[162:163], -v[6:7]
	v_fmac_f64_e32 v[166:167], v[4:5], v[162:163]
	scratch_store_dwordx4 off, v[164:167], off offset:176
.LBB114_315:
	s_or_b64 exec, exec, s[4:5]
	scratch_load_dwordx4 v[2:5], v152, off
	v_cmp_lt_u32_e64 s[2:3], 10, v0
	s_waitcnt vmcnt(0)
	ds_write_b128 v9, v[2:5]
	s_waitcnt lgkmcnt(0)
	; wave barrier
	s_waitcnt lgkmcnt(0)
	s_and_saveexec_b64 s[4:5], s[2:3]
	s_cbranch_execz .LBB114_323
; %bb.316:
	ds_read_b128 v[2:5], v9
	s_andn2_b64 vcc, exec, s[6:7]
	s_cbranch_vccnz .LBB114_318
; %bb.317:
	scratch_load_dwordx4 v[162:165], v8, off
	s_waitcnt vmcnt(0) lgkmcnt(0)
	v_mul_f64 v[10:11], v[2:3], v[164:165]
	v_mul_f64 v[6:7], v[4:5], v[164:165]
	v_fmac_f64_e32 v[10:11], v[4:5], v[162:163]
	v_fma_f64 v[2:3], v[2:3], v[162:163], -v[6:7]
	v_mov_b64_e32 v[4:5], v[10:11]
.LBB114_318:
	s_and_saveexec_b64 s[8:9], s[0:1]
	s_cbranch_execz .LBB114_322
; %bb.319:
	v_mov_b32_e32 v7, 0
	v_add_u32_e32 v6, -11, v0
	v_add_u32_e32 v7, 0xb8, v7
	s_movk_i32 s10, 0x3e0
	s_mov_b64 s[0:1], 0
.LBB114_320:                            ; =>This Inner Loop Header: Depth=1
	v_add_u32_e32 v10, -8, v7
	scratch_load_dwordx4 v[162:165], v10, off
	v_mov_b32_e32 v10, s10
	ds_read_b128 v[166:169], v10
	v_add_u32_e32 v6, -1, v6
	s_add_i32 s10, s10, 16
	v_cmp_eq_u32_e32 vcc, 0, v6
	v_add_u32_e32 v7, 16, v7
	s_or_b64 s[0:1], vcc, s[0:1]
	s_waitcnt vmcnt(0) lgkmcnt(0)
	v_mul_f64 v[10:11], v[168:169], v[164:165]
	v_mul_f64 v[12:13], v[166:167], v[164:165]
	v_fma_f64 v[10:11], v[166:167], v[162:163], -v[10:11]
	v_fmac_f64_e32 v[12:13], v[168:169], v[162:163]
	v_add_f64 v[2:3], v[2:3], v[10:11]
	v_add_f64 v[4:5], v[4:5], v[12:13]
	s_andn2_b64 exec, exec, s[0:1]
	s_cbranch_execnz .LBB114_320
; %bb.321:
	s_or_b64 exec, exec, s[0:1]
.LBB114_322:
	s_or_b64 exec, exec, s[8:9]
	v_mov_b32_e32 v6, 0
	ds_read_b128 v[162:165], v6 offset:160
	s_waitcnt lgkmcnt(0)
	v_mul_f64 v[6:7], v[4:5], v[164:165]
	v_mul_f64 v[166:167], v[2:3], v[164:165]
	v_fma_f64 v[164:165], v[2:3], v[162:163], -v[6:7]
	v_fmac_f64_e32 v[166:167], v[4:5], v[162:163]
	scratch_store_dwordx4 off, v[164:167], off offset:160
.LBB114_323:
	s_or_b64 exec, exec, s[4:5]
	scratch_load_dwordx4 v[2:5], v153, off
	v_cmp_lt_u32_e64 s[0:1], 9, v0
	s_waitcnt vmcnt(0)
	ds_write_b128 v9, v[2:5]
	s_waitcnt lgkmcnt(0)
	; wave barrier
	s_waitcnt lgkmcnt(0)
	s_and_saveexec_b64 s[4:5], s[0:1]
	s_cbranch_execz .LBB114_331
; %bb.324:
	ds_read_b128 v[2:5], v9
	s_andn2_b64 vcc, exec, s[6:7]
	s_cbranch_vccnz .LBB114_326
; %bb.325:
	scratch_load_dwordx4 v[162:165], v8, off
	s_waitcnt vmcnt(0) lgkmcnt(0)
	v_mul_f64 v[10:11], v[2:3], v[164:165]
	v_mul_f64 v[6:7], v[4:5], v[164:165]
	v_fmac_f64_e32 v[10:11], v[4:5], v[162:163]
	v_fma_f64 v[2:3], v[2:3], v[162:163], -v[6:7]
	v_mov_b64_e32 v[4:5], v[10:11]
.LBB114_326:
	s_and_saveexec_b64 s[8:9], s[2:3]
	s_cbranch_execz .LBB114_330
; %bb.327:
	v_mov_b32_e32 v7, 0
	v_add_u32_e32 v6, -10, v0
	v_add_u32_e32 v7, 0xa8, v7
	s_movk_i32 s10, 0x3d0
	s_mov_b64 s[2:3], 0
.LBB114_328:                            ; =>This Inner Loop Header: Depth=1
	v_add_u32_e32 v10, -8, v7
	scratch_load_dwordx4 v[162:165], v10, off
	v_mov_b32_e32 v10, s10
	ds_read_b128 v[166:169], v10
	v_add_u32_e32 v6, -1, v6
	s_add_i32 s10, s10, 16
	v_cmp_eq_u32_e32 vcc, 0, v6
	v_add_u32_e32 v7, 16, v7
	s_or_b64 s[2:3], vcc, s[2:3]
	s_waitcnt vmcnt(0) lgkmcnt(0)
	v_mul_f64 v[10:11], v[168:169], v[164:165]
	v_mul_f64 v[12:13], v[166:167], v[164:165]
	v_fma_f64 v[10:11], v[166:167], v[162:163], -v[10:11]
	v_fmac_f64_e32 v[12:13], v[168:169], v[162:163]
	v_add_f64 v[2:3], v[2:3], v[10:11]
	v_add_f64 v[4:5], v[4:5], v[12:13]
	s_andn2_b64 exec, exec, s[2:3]
	s_cbranch_execnz .LBB114_328
; %bb.329:
	s_or_b64 exec, exec, s[2:3]
.LBB114_330:
	s_or_b64 exec, exec, s[8:9]
	v_mov_b32_e32 v6, 0
	ds_read_b128 v[162:165], v6 offset:144
	s_waitcnt lgkmcnt(0)
	v_mul_f64 v[6:7], v[4:5], v[164:165]
	v_mul_f64 v[166:167], v[2:3], v[164:165]
	v_fma_f64 v[164:165], v[2:3], v[162:163], -v[6:7]
	v_fmac_f64_e32 v[166:167], v[4:5], v[162:163]
	scratch_store_dwordx4 off, v[164:167], off offset:144
.LBB114_331:
	s_or_b64 exec, exec, s[4:5]
	scratch_load_dwordx4 v[2:5], v154, off
	v_cmp_lt_u32_e64 s[2:3], 8, v0
	s_waitcnt vmcnt(0)
	ds_write_b128 v9, v[2:5]
	s_waitcnt lgkmcnt(0)
	; wave barrier
	s_waitcnt lgkmcnt(0)
	s_and_saveexec_b64 s[4:5], s[2:3]
	s_cbranch_execz .LBB114_339
; %bb.332:
	ds_read_b128 v[2:5], v9
	s_andn2_b64 vcc, exec, s[6:7]
	s_cbranch_vccnz .LBB114_334
; %bb.333:
	scratch_load_dwordx4 v[162:165], v8, off
	s_waitcnt vmcnt(0) lgkmcnt(0)
	v_mul_f64 v[10:11], v[2:3], v[164:165]
	v_mul_f64 v[6:7], v[4:5], v[164:165]
	v_fmac_f64_e32 v[10:11], v[4:5], v[162:163]
	v_fma_f64 v[2:3], v[2:3], v[162:163], -v[6:7]
	v_mov_b64_e32 v[4:5], v[10:11]
.LBB114_334:
	s_and_saveexec_b64 s[8:9], s[0:1]
	s_cbranch_execz .LBB114_338
; %bb.335:
	v_mov_b32_e32 v7, 0
	v_add_u32_e32 v6, -9, v0
	v_add_u32_e32 v7, 0x98, v7
	s_movk_i32 s10, 0x3c0
	s_mov_b64 s[0:1], 0
.LBB114_336:                            ; =>This Inner Loop Header: Depth=1
	v_add_u32_e32 v10, -8, v7
	scratch_load_dwordx4 v[162:165], v10, off
	v_mov_b32_e32 v10, s10
	ds_read_b128 v[166:169], v10
	v_add_u32_e32 v6, -1, v6
	s_add_i32 s10, s10, 16
	v_cmp_eq_u32_e32 vcc, 0, v6
	v_add_u32_e32 v7, 16, v7
	s_or_b64 s[0:1], vcc, s[0:1]
	s_waitcnt vmcnt(0) lgkmcnt(0)
	v_mul_f64 v[10:11], v[168:169], v[164:165]
	v_mul_f64 v[12:13], v[166:167], v[164:165]
	v_fma_f64 v[10:11], v[166:167], v[162:163], -v[10:11]
	v_fmac_f64_e32 v[12:13], v[168:169], v[162:163]
	v_add_f64 v[2:3], v[2:3], v[10:11]
	v_add_f64 v[4:5], v[4:5], v[12:13]
	s_andn2_b64 exec, exec, s[0:1]
	s_cbranch_execnz .LBB114_336
; %bb.337:
	s_or_b64 exec, exec, s[0:1]
.LBB114_338:
	s_or_b64 exec, exec, s[8:9]
	v_mov_b32_e32 v6, 0
	ds_read_b128 v[162:165], v6 offset:128
	s_waitcnt lgkmcnt(0)
	v_mul_f64 v[6:7], v[4:5], v[164:165]
	v_mul_f64 v[166:167], v[2:3], v[164:165]
	v_fma_f64 v[164:165], v[2:3], v[162:163], -v[6:7]
	v_fmac_f64_e32 v[166:167], v[4:5], v[162:163]
	scratch_store_dwordx4 off, v[164:167], off offset:128
.LBB114_339:
	s_or_b64 exec, exec, s[4:5]
	scratch_load_dwordx4 v[2:5], v155, off
	v_cmp_lt_u32_e64 s[0:1], 7, v0
	s_waitcnt vmcnt(0)
	ds_write_b128 v9, v[2:5]
	s_waitcnt lgkmcnt(0)
	; wave barrier
	s_waitcnt lgkmcnt(0)
	s_and_saveexec_b64 s[4:5], s[0:1]
	s_cbranch_execz .LBB114_347
; %bb.340:
	ds_read_b128 v[2:5], v9
	s_andn2_b64 vcc, exec, s[6:7]
	s_cbranch_vccnz .LBB114_342
; %bb.341:
	scratch_load_dwordx4 v[162:165], v8, off
	s_waitcnt vmcnt(0) lgkmcnt(0)
	v_mul_f64 v[10:11], v[2:3], v[164:165]
	v_mul_f64 v[6:7], v[4:5], v[164:165]
	v_fmac_f64_e32 v[10:11], v[4:5], v[162:163]
	v_fma_f64 v[2:3], v[2:3], v[162:163], -v[6:7]
	v_mov_b64_e32 v[4:5], v[10:11]
.LBB114_342:
	s_and_saveexec_b64 s[8:9], s[2:3]
	s_cbranch_execz .LBB114_346
; %bb.343:
	v_mov_b32_e32 v7, 0
	v_add_u32_e32 v6, -8, v0
	v_add_u32_e32 v7, 0x88, v7
	s_movk_i32 s10, 0x3b0
	s_mov_b64 s[2:3], 0
.LBB114_344:                            ; =>This Inner Loop Header: Depth=1
	v_add_u32_e32 v10, -8, v7
	scratch_load_dwordx4 v[162:165], v10, off
	v_mov_b32_e32 v10, s10
	ds_read_b128 v[166:169], v10
	v_add_u32_e32 v6, -1, v6
	s_add_i32 s10, s10, 16
	v_cmp_eq_u32_e32 vcc, 0, v6
	v_add_u32_e32 v7, 16, v7
	s_or_b64 s[2:3], vcc, s[2:3]
	s_waitcnt vmcnt(0) lgkmcnt(0)
	v_mul_f64 v[10:11], v[168:169], v[164:165]
	v_mul_f64 v[12:13], v[166:167], v[164:165]
	v_fma_f64 v[10:11], v[166:167], v[162:163], -v[10:11]
	v_fmac_f64_e32 v[12:13], v[168:169], v[162:163]
	v_add_f64 v[2:3], v[2:3], v[10:11]
	v_add_f64 v[4:5], v[4:5], v[12:13]
	s_andn2_b64 exec, exec, s[2:3]
	s_cbranch_execnz .LBB114_344
; %bb.345:
	s_or_b64 exec, exec, s[2:3]
.LBB114_346:
	s_or_b64 exec, exec, s[8:9]
	v_mov_b32_e32 v6, 0
	ds_read_b128 v[162:165], v6 offset:112
	s_waitcnt lgkmcnt(0)
	v_mul_f64 v[6:7], v[4:5], v[164:165]
	v_mul_f64 v[166:167], v[2:3], v[164:165]
	v_fma_f64 v[164:165], v[2:3], v[162:163], -v[6:7]
	v_fmac_f64_e32 v[166:167], v[4:5], v[162:163]
	scratch_store_dwordx4 off, v[164:167], off offset:112
.LBB114_347:
	s_or_b64 exec, exec, s[4:5]
	scratch_load_dwordx4 v[2:5], v156, off
	v_cmp_lt_u32_e64 s[2:3], 6, v0
	s_waitcnt vmcnt(0)
	ds_write_b128 v9, v[2:5]
	s_waitcnt lgkmcnt(0)
	; wave barrier
	s_waitcnt lgkmcnt(0)
	s_and_saveexec_b64 s[4:5], s[2:3]
	s_cbranch_execz .LBB114_355
; %bb.348:
	ds_read_b128 v[2:5], v9
	s_andn2_b64 vcc, exec, s[6:7]
	s_cbranch_vccnz .LBB114_350
; %bb.349:
	scratch_load_dwordx4 v[162:165], v8, off
	s_waitcnt vmcnt(0) lgkmcnt(0)
	v_mul_f64 v[10:11], v[2:3], v[164:165]
	v_mul_f64 v[6:7], v[4:5], v[164:165]
	v_fmac_f64_e32 v[10:11], v[4:5], v[162:163]
	v_fma_f64 v[2:3], v[2:3], v[162:163], -v[6:7]
	v_mov_b64_e32 v[4:5], v[10:11]
.LBB114_350:
	s_and_saveexec_b64 s[8:9], s[0:1]
	s_cbranch_execz .LBB114_354
; %bb.351:
	v_mov_b32_e32 v7, 0
	v_add_u32_e32 v6, -7, v0
	v_add_u32_e32 v7, 0x78, v7
	s_movk_i32 s10, 0x3a0
	s_mov_b64 s[0:1], 0
.LBB114_352:                            ; =>This Inner Loop Header: Depth=1
	v_add_u32_e32 v10, -8, v7
	scratch_load_dwordx4 v[162:165], v10, off
	v_mov_b32_e32 v10, s10
	ds_read_b128 v[166:169], v10
	v_add_u32_e32 v6, -1, v6
	s_add_i32 s10, s10, 16
	v_cmp_eq_u32_e32 vcc, 0, v6
	v_add_u32_e32 v7, 16, v7
	s_or_b64 s[0:1], vcc, s[0:1]
	s_waitcnt vmcnt(0) lgkmcnt(0)
	v_mul_f64 v[10:11], v[168:169], v[164:165]
	v_mul_f64 v[12:13], v[166:167], v[164:165]
	v_fma_f64 v[10:11], v[166:167], v[162:163], -v[10:11]
	v_fmac_f64_e32 v[12:13], v[168:169], v[162:163]
	v_add_f64 v[2:3], v[2:3], v[10:11]
	v_add_f64 v[4:5], v[4:5], v[12:13]
	s_andn2_b64 exec, exec, s[0:1]
	s_cbranch_execnz .LBB114_352
; %bb.353:
	s_or_b64 exec, exec, s[0:1]
.LBB114_354:
	s_or_b64 exec, exec, s[8:9]
	v_mov_b32_e32 v6, 0
	ds_read_b128 v[162:165], v6 offset:96
	s_waitcnt lgkmcnt(0)
	v_mul_f64 v[6:7], v[4:5], v[164:165]
	v_mul_f64 v[166:167], v[2:3], v[164:165]
	v_fma_f64 v[164:165], v[2:3], v[162:163], -v[6:7]
	v_fmac_f64_e32 v[166:167], v[4:5], v[162:163]
	scratch_store_dwordx4 off, v[164:167], off offset:96
.LBB114_355:
	s_or_b64 exec, exec, s[4:5]
	scratch_load_dwordx4 v[2:5], v157, off
	v_cmp_lt_u32_e64 s[0:1], 5, v0
	s_waitcnt vmcnt(0)
	ds_write_b128 v9, v[2:5]
	s_waitcnt lgkmcnt(0)
	; wave barrier
	s_waitcnt lgkmcnt(0)
	s_and_saveexec_b64 s[4:5], s[0:1]
	s_cbranch_execz .LBB114_363
; %bb.356:
	ds_read_b128 v[2:5], v9
	s_andn2_b64 vcc, exec, s[6:7]
	s_cbranch_vccnz .LBB114_358
; %bb.357:
	scratch_load_dwordx4 v[162:165], v8, off
	s_waitcnt vmcnt(0) lgkmcnt(0)
	v_mul_f64 v[10:11], v[2:3], v[164:165]
	v_mul_f64 v[6:7], v[4:5], v[164:165]
	v_fmac_f64_e32 v[10:11], v[4:5], v[162:163]
	v_fma_f64 v[2:3], v[2:3], v[162:163], -v[6:7]
	v_mov_b64_e32 v[4:5], v[10:11]
.LBB114_358:
	s_and_saveexec_b64 s[8:9], s[2:3]
	s_cbranch_execz .LBB114_362
; %bb.359:
	v_mov_b32_e32 v7, 0
	v_add_u32_e32 v6, -6, v0
	v_add_u32_e32 v7, 0x68, v7
	s_movk_i32 s10, 0x390
	s_mov_b64 s[2:3], 0
.LBB114_360:                            ; =>This Inner Loop Header: Depth=1
	v_add_u32_e32 v10, -8, v7
	scratch_load_dwordx4 v[162:165], v10, off
	v_mov_b32_e32 v10, s10
	ds_read_b128 v[166:169], v10
	v_add_u32_e32 v6, -1, v6
	s_add_i32 s10, s10, 16
	v_cmp_eq_u32_e32 vcc, 0, v6
	v_add_u32_e32 v7, 16, v7
	s_or_b64 s[2:3], vcc, s[2:3]
	s_waitcnt vmcnt(0) lgkmcnt(0)
	v_mul_f64 v[10:11], v[168:169], v[164:165]
	v_mul_f64 v[12:13], v[166:167], v[164:165]
	v_fma_f64 v[10:11], v[166:167], v[162:163], -v[10:11]
	v_fmac_f64_e32 v[12:13], v[168:169], v[162:163]
	v_add_f64 v[2:3], v[2:3], v[10:11]
	v_add_f64 v[4:5], v[4:5], v[12:13]
	s_andn2_b64 exec, exec, s[2:3]
	s_cbranch_execnz .LBB114_360
; %bb.361:
	s_or_b64 exec, exec, s[2:3]
.LBB114_362:
	s_or_b64 exec, exec, s[8:9]
	v_mov_b32_e32 v6, 0
	ds_read_b128 v[162:165], v6 offset:80
	s_waitcnt lgkmcnt(0)
	v_mul_f64 v[6:7], v[4:5], v[164:165]
	v_mul_f64 v[166:167], v[2:3], v[164:165]
	v_fma_f64 v[164:165], v[2:3], v[162:163], -v[6:7]
	v_fmac_f64_e32 v[166:167], v[4:5], v[162:163]
	scratch_store_dwordx4 off, v[164:167], off offset:80
.LBB114_363:
	s_or_b64 exec, exec, s[4:5]
	scratch_load_dwordx4 v[2:5], v158, off
	v_cmp_lt_u32_e64 s[2:3], 4, v0
	s_waitcnt vmcnt(0)
	ds_write_b128 v9, v[2:5]
	s_waitcnt lgkmcnt(0)
	; wave barrier
	s_waitcnt lgkmcnt(0)
	s_and_saveexec_b64 s[4:5], s[2:3]
	s_cbranch_execz .LBB114_371
; %bb.364:
	ds_read_b128 v[2:5], v9
	s_andn2_b64 vcc, exec, s[6:7]
	s_cbranch_vccnz .LBB114_366
; %bb.365:
	scratch_load_dwordx4 v[162:165], v8, off
	s_waitcnt vmcnt(0) lgkmcnt(0)
	v_mul_f64 v[10:11], v[2:3], v[164:165]
	v_mul_f64 v[6:7], v[4:5], v[164:165]
	v_fmac_f64_e32 v[10:11], v[4:5], v[162:163]
	v_fma_f64 v[2:3], v[2:3], v[162:163], -v[6:7]
	v_mov_b64_e32 v[4:5], v[10:11]
.LBB114_366:
	s_and_saveexec_b64 s[8:9], s[0:1]
	s_cbranch_execz .LBB114_370
; %bb.367:
	v_mov_b32_e32 v7, 0
	v_add_u32_e32 v6, -5, v0
	v_add_u32_e32 v7, 0x58, v7
	s_movk_i32 s10, 0x380
	s_mov_b64 s[0:1], 0
.LBB114_368:                            ; =>This Inner Loop Header: Depth=1
	v_add_u32_e32 v10, -8, v7
	scratch_load_dwordx4 v[162:165], v10, off
	v_mov_b32_e32 v10, s10
	ds_read_b128 v[166:169], v10
	v_add_u32_e32 v6, -1, v6
	s_add_i32 s10, s10, 16
	v_cmp_eq_u32_e32 vcc, 0, v6
	v_add_u32_e32 v7, 16, v7
	s_or_b64 s[0:1], vcc, s[0:1]
	s_waitcnt vmcnt(0) lgkmcnt(0)
	v_mul_f64 v[10:11], v[168:169], v[164:165]
	v_mul_f64 v[12:13], v[166:167], v[164:165]
	v_fma_f64 v[10:11], v[166:167], v[162:163], -v[10:11]
	v_fmac_f64_e32 v[12:13], v[168:169], v[162:163]
	v_add_f64 v[2:3], v[2:3], v[10:11]
	v_add_f64 v[4:5], v[4:5], v[12:13]
	s_andn2_b64 exec, exec, s[0:1]
	s_cbranch_execnz .LBB114_368
; %bb.369:
	s_or_b64 exec, exec, s[0:1]
.LBB114_370:
	s_or_b64 exec, exec, s[8:9]
	v_mov_b32_e32 v6, 0
	ds_read_b128 v[162:165], v6 offset:64
	s_waitcnt lgkmcnt(0)
	v_mul_f64 v[6:7], v[4:5], v[164:165]
	v_mul_f64 v[166:167], v[2:3], v[164:165]
	v_fma_f64 v[164:165], v[2:3], v[162:163], -v[6:7]
	v_fmac_f64_e32 v[166:167], v[4:5], v[162:163]
	scratch_store_dwordx4 off, v[164:167], off offset:64
.LBB114_371:
	s_or_b64 exec, exec, s[4:5]
	scratch_load_dwordx4 v[2:5], v159, off
	v_cmp_lt_u32_e64 s[0:1], 3, v0
	s_waitcnt vmcnt(0)
	ds_write_b128 v9, v[2:5]
	s_waitcnt lgkmcnt(0)
	; wave barrier
	s_waitcnt lgkmcnt(0)
	s_and_saveexec_b64 s[4:5], s[0:1]
	s_cbranch_execz .LBB114_379
; %bb.372:
	ds_read_b128 v[2:5], v9
	s_andn2_b64 vcc, exec, s[6:7]
	s_cbranch_vccnz .LBB114_374
; %bb.373:
	scratch_load_dwordx4 v[162:165], v8, off
	s_waitcnt vmcnt(0) lgkmcnt(0)
	v_mul_f64 v[10:11], v[2:3], v[164:165]
	v_mul_f64 v[6:7], v[4:5], v[164:165]
	v_fmac_f64_e32 v[10:11], v[4:5], v[162:163]
	v_fma_f64 v[2:3], v[2:3], v[162:163], -v[6:7]
	v_mov_b64_e32 v[4:5], v[10:11]
.LBB114_374:
	s_and_saveexec_b64 s[8:9], s[2:3]
	s_cbranch_execz .LBB114_378
; %bb.375:
	v_mov_b32_e32 v7, 0
	v_add_u32_e32 v6, -4, v0
	v_add_u32_e32 v7, 0x48, v7
	s_movk_i32 s10, 0x370
	s_mov_b64 s[2:3], 0
.LBB114_376:                            ; =>This Inner Loop Header: Depth=1
	v_add_u32_e32 v10, -8, v7
	scratch_load_dwordx4 v[162:165], v10, off
	v_mov_b32_e32 v10, s10
	ds_read_b128 v[166:169], v10
	v_add_u32_e32 v6, -1, v6
	s_add_i32 s10, s10, 16
	v_cmp_eq_u32_e32 vcc, 0, v6
	v_add_u32_e32 v7, 16, v7
	s_or_b64 s[2:3], vcc, s[2:3]
	s_waitcnt vmcnt(0) lgkmcnt(0)
	v_mul_f64 v[10:11], v[168:169], v[164:165]
	v_mul_f64 v[12:13], v[166:167], v[164:165]
	v_fma_f64 v[10:11], v[166:167], v[162:163], -v[10:11]
	v_fmac_f64_e32 v[12:13], v[168:169], v[162:163]
	v_add_f64 v[2:3], v[2:3], v[10:11]
	v_add_f64 v[4:5], v[4:5], v[12:13]
	s_andn2_b64 exec, exec, s[2:3]
	s_cbranch_execnz .LBB114_376
; %bb.377:
	s_or_b64 exec, exec, s[2:3]
.LBB114_378:
	s_or_b64 exec, exec, s[8:9]
	v_mov_b32_e32 v6, 0
	ds_read_b128 v[162:165], v6 offset:48
	s_waitcnt lgkmcnt(0)
	v_mul_f64 v[6:7], v[4:5], v[164:165]
	v_mul_f64 v[166:167], v[2:3], v[164:165]
	v_fma_f64 v[164:165], v[2:3], v[162:163], -v[6:7]
	v_fmac_f64_e32 v[166:167], v[4:5], v[162:163]
	scratch_store_dwordx4 off, v[164:167], off offset:48
.LBB114_379:
	s_or_b64 exec, exec, s[4:5]
	scratch_load_dwordx4 v[2:5], v160, off
	v_cmp_lt_u32_e64 s[2:3], 2, v0
	s_waitcnt vmcnt(0)
	ds_write_b128 v9, v[2:5]
	s_waitcnt lgkmcnt(0)
	; wave barrier
	s_waitcnt lgkmcnt(0)
	s_and_saveexec_b64 s[4:5], s[2:3]
	s_cbranch_execz .LBB114_387
; %bb.380:
	ds_read_b128 v[2:5], v9
	s_andn2_b64 vcc, exec, s[6:7]
	s_cbranch_vccnz .LBB114_382
; %bb.381:
	scratch_load_dwordx4 v[162:165], v8, off
	s_waitcnt vmcnt(0) lgkmcnt(0)
	v_mul_f64 v[10:11], v[2:3], v[164:165]
	v_mul_f64 v[6:7], v[4:5], v[164:165]
	v_fmac_f64_e32 v[10:11], v[4:5], v[162:163]
	v_fma_f64 v[2:3], v[2:3], v[162:163], -v[6:7]
	v_mov_b64_e32 v[4:5], v[10:11]
.LBB114_382:
	s_and_saveexec_b64 s[8:9], s[0:1]
	s_cbranch_execz .LBB114_386
; %bb.383:
	v_mov_b32_e32 v7, 0
	v_add_u32_e32 v6, -3, v0
	v_add_u32_e32 v7, 56, v7
	s_movk_i32 s10, 0x360
	s_mov_b64 s[0:1], 0
.LBB114_384:                            ; =>This Inner Loop Header: Depth=1
	v_add_u32_e32 v10, -8, v7
	scratch_load_dwordx4 v[162:165], v10, off
	v_mov_b32_e32 v10, s10
	ds_read_b128 v[166:169], v10
	v_add_u32_e32 v6, -1, v6
	s_add_i32 s10, s10, 16
	v_cmp_eq_u32_e32 vcc, 0, v6
	v_add_u32_e32 v7, 16, v7
	s_or_b64 s[0:1], vcc, s[0:1]
	s_waitcnt vmcnt(0) lgkmcnt(0)
	v_mul_f64 v[10:11], v[168:169], v[164:165]
	v_mul_f64 v[12:13], v[166:167], v[164:165]
	v_fma_f64 v[10:11], v[166:167], v[162:163], -v[10:11]
	v_fmac_f64_e32 v[12:13], v[168:169], v[162:163]
	v_add_f64 v[2:3], v[2:3], v[10:11]
	v_add_f64 v[4:5], v[4:5], v[12:13]
	s_andn2_b64 exec, exec, s[0:1]
	s_cbranch_execnz .LBB114_384
; %bb.385:
	s_or_b64 exec, exec, s[0:1]
.LBB114_386:
	s_or_b64 exec, exec, s[8:9]
	v_mov_b32_e32 v6, 0
	ds_read_b128 v[162:165], v6 offset:32
	s_waitcnt lgkmcnt(0)
	v_mul_f64 v[6:7], v[4:5], v[164:165]
	v_mul_f64 v[166:167], v[2:3], v[164:165]
	v_fma_f64 v[164:165], v[2:3], v[162:163], -v[6:7]
	v_fmac_f64_e32 v[166:167], v[4:5], v[162:163]
	scratch_store_dwordx4 off, v[164:167], off offset:32
.LBB114_387:
	s_or_b64 exec, exec, s[4:5]
	scratch_load_dwordx4 v[2:5], v161, off
	v_cmp_lt_u32_e64 s[0:1], 1, v0
	s_waitcnt vmcnt(0)
	ds_write_b128 v9, v[2:5]
	s_waitcnt lgkmcnt(0)
	; wave barrier
	s_waitcnt lgkmcnt(0)
	s_and_saveexec_b64 s[4:5], s[0:1]
	s_cbranch_execz .LBB114_395
; %bb.388:
	ds_read_b128 v[2:5], v9
	s_andn2_b64 vcc, exec, s[6:7]
	s_cbranch_vccnz .LBB114_390
; %bb.389:
	scratch_load_dwordx4 v[162:165], v8, off
	s_waitcnt vmcnt(0) lgkmcnt(0)
	v_mul_f64 v[10:11], v[2:3], v[164:165]
	v_mul_f64 v[6:7], v[4:5], v[164:165]
	v_fmac_f64_e32 v[10:11], v[4:5], v[162:163]
	v_fma_f64 v[2:3], v[2:3], v[162:163], -v[6:7]
	v_mov_b64_e32 v[4:5], v[10:11]
.LBB114_390:
	s_and_saveexec_b64 s[8:9], s[2:3]
	s_cbranch_execz .LBB114_394
; %bb.391:
	v_mov_b32_e32 v7, 0
	v_add_u32_e32 v6, -2, v0
	v_add_u32_e32 v7, 40, v7
	s_movk_i32 s10, 0x350
	s_mov_b64 s[2:3], 0
.LBB114_392:                            ; =>This Inner Loop Header: Depth=1
	v_add_u32_e32 v10, -8, v7
	scratch_load_dwordx4 v[162:165], v10, off
	v_mov_b32_e32 v10, s10
	ds_read_b128 v[166:169], v10
	v_add_u32_e32 v6, -1, v6
	s_add_i32 s10, s10, 16
	v_cmp_eq_u32_e32 vcc, 0, v6
	v_add_u32_e32 v7, 16, v7
	s_or_b64 s[2:3], vcc, s[2:3]
	s_waitcnt vmcnt(0) lgkmcnt(0)
	v_mul_f64 v[10:11], v[168:169], v[164:165]
	v_mul_f64 v[12:13], v[166:167], v[164:165]
	v_fma_f64 v[10:11], v[166:167], v[162:163], -v[10:11]
	v_fmac_f64_e32 v[12:13], v[168:169], v[162:163]
	v_add_f64 v[2:3], v[2:3], v[10:11]
	v_add_f64 v[4:5], v[4:5], v[12:13]
	s_andn2_b64 exec, exec, s[2:3]
	s_cbranch_execnz .LBB114_392
; %bb.393:
	s_or_b64 exec, exec, s[2:3]
.LBB114_394:
	s_or_b64 exec, exec, s[8:9]
	v_mov_b32_e32 v6, 0
	ds_read_b128 v[162:165], v6 offset:16
	s_waitcnt lgkmcnt(0)
	v_mul_f64 v[6:7], v[4:5], v[164:165]
	v_mul_f64 v[166:167], v[2:3], v[164:165]
	v_fma_f64 v[164:165], v[2:3], v[162:163], -v[6:7]
	v_fmac_f64_e32 v[166:167], v[4:5], v[162:163]
	scratch_store_dwordx4 off, v[164:167], off offset:16
.LBB114_395:
	s_or_b64 exec, exec, s[4:5]
	scratch_load_dwordx4 v[2:5], off, off
	v_cmp_ne_u32_e32 vcc, 0, v0
	s_mov_b64 s[2:3], 0
	s_mov_b64 s[4:5], 0
                                        ; implicit-def: $vgpr6_vgpr7
                                        ; implicit-def: $vgpr162
	s_waitcnt vmcnt(0)
	ds_write_b128 v9, v[2:5]
	s_waitcnt lgkmcnt(0)
	; wave barrier
	s_waitcnt lgkmcnt(0)
	s_and_saveexec_b64 s[8:9], vcc
	s_cbranch_execz .LBB114_403
; %bb.396:
	ds_read_b128 v[2:5], v9
	s_andn2_b64 vcc, exec, s[6:7]
	s_cbranch_vccnz .LBB114_398
; %bb.397:
	scratch_load_dwordx4 v[162:165], v8, off
	s_waitcnt vmcnt(0) lgkmcnt(0)
	v_mul_f64 v[10:11], v[2:3], v[164:165]
	v_mul_f64 v[6:7], v[4:5], v[164:165]
	v_fmac_f64_e32 v[10:11], v[4:5], v[162:163]
	v_fma_f64 v[2:3], v[2:3], v[162:163], -v[6:7]
	v_mov_b64_e32 v[4:5], v[10:11]
.LBB114_398:
	s_and_saveexec_b64 s[4:5], s[0:1]
	s_cbranch_execz .LBB114_402
; %bb.399:
	v_mov_b32_e32 v7, 0
	v_add_u32_e32 v6, -1, v0
	v_add_u32_e32 v7, 24, v7
	s_movk_i32 s10, 0x340
	s_mov_b64 s[0:1], 0
.LBB114_400:                            ; =>This Inner Loop Header: Depth=1
	v_add_u32_e32 v10, -8, v7
	scratch_load_dwordx4 v[162:165], v10, off
	v_mov_b32_e32 v10, s10
	ds_read_b128 v[166:169], v10
	v_add_u32_e32 v6, -1, v6
	s_add_i32 s10, s10, 16
	v_cmp_eq_u32_e32 vcc, 0, v6
	v_add_u32_e32 v7, 16, v7
	s_or_b64 s[0:1], vcc, s[0:1]
	s_waitcnt vmcnt(0) lgkmcnt(0)
	v_mul_f64 v[10:11], v[168:169], v[164:165]
	v_mul_f64 v[12:13], v[166:167], v[164:165]
	v_fma_f64 v[10:11], v[166:167], v[162:163], -v[10:11]
	v_fmac_f64_e32 v[12:13], v[168:169], v[162:163]
	v_add_f64 v[2:3], v[2:3], v[10:11]
	v_add_f64 v[4:5], v[4:5], v[12:13]
	s_andn2_b64 exec, exec, s[0:1]
	s_cbranch_execnz .LBB114_400
; %bb.401:
	s_or_b64 exec, exec, s[0:1]
.LBB114_402:
	s_or_b64 exec, exec, s[4:5]
	v_mov_b32_e32 v6, 0
	ds_read_b128 v[164:167], v6
	v_mov_b32_e32 v6, 0
	v_or_b32_e32 v162, 8, v6
	s_mov_b64 s[4:5], exec
	s_waitcnt lgkmcnt(0)
	v_mul_f64 v[10:11], v[4:5], v[166:167]
	v_mul_f64 v[6:7], v[2:3], v[166:167]
	v_fma_f64 v[2:3], v[2:3], v[164:165], -v[10:11]
	v_fmac_f64_e32 v[6:7], v[4:5], v[164:165]
	scratch_store_dwordx2 off, v[2:3], off
.LBB114_403:
	s_or_b64 exec, exec, s[8:9]
	s_and_b64 vcc, exec, s[2:3]
	s_cbranch_vccnz .LBB114_405
	s_branch .LBB114_800
.LBB114_404:
	s_mov_b64 s[4:5], 0
                                        ; implicit-def: $vgpr6_vgpr7
                                        ; implicit-def: $vgpr162
	s_cbranch_execz .LBB114_800
.LBB114_405:
	scratch_load_dwordx4 v[2:5], v161, off
	v_cndmask_b32_e64 v6, 0, 1, s[6:7]
	v_cmp_eq_u32_e64 s[2:3], 0, v0
	v_cmp_ne_u32_e64 s[0:1], 1, v6
	s_waitcnt vmcnt(0)
	ds_write_b128 v9, v[2:5]
	s_waitcnt lgkmcnt(0)
	; wave barrier
	s_waitcnt lgkmcnt(0)
	s_and_saveexec_b64 s[6:7], s[2:3]
	s_cbranch_execz .LBB114_409
; %bb.406:
	ds_read_b128 v[2:5], v9
	s_and_b64 vcc, exec, s[0:1]
	s_cbranch_vccnz .LBB114_408
; %bb.407:
	scratch_load_dwordx4 v[162:165], v8, off
	s_waitcnt vmcnt(0) lgkmcnt(0)
	v_mul_f64 v[10:11], v[2:3], v[164:165]
	v_mul_f64 v[6:7], v[4:5], v[164:165]
	v_fmac_f64_e32 v[10:11], v[4:5], v[162:163]
	v_fma_f64 v[2:3], v[2:3], v[162:163], -v[6:7]
	v_mov_b64_e32 v[4:5], v[10:11]
.LBB114_408:
	v_mov_b32_e32 v6, 0
	ds_read_b128 v[162:165], v6 offset:16
	s_waitcnt lgkmcnt(0)
	v_mul_f64 v[6:7], v[4:5], v[164:165]
	v_mul_f64 v[166:167], v[2:3], v[164:165]
	v_fma_f64 v[164:165], v[2:3], v[162:163], -v[6:7]
	v_fmac_f64_e32 v[166:167], v[4:5], v[162:163]
	scratch_store_dwordx4 off, v[164:167], off offset:16
.LBB114_409:
	s_or_b64 exec, exec, s[6:7]
	scratch_load_dwordx4 v[2:5], v160, off
	v_cmp_gt_u32_e32 vcc, 2, v0
	s_waitcnt vmcnt(0)
	ds_write_b128 v9, v[2:5]
	s_waitcnt lgkmcnt(0)
	; wave barrier
	s_waitcnt lgkmcnt(0)
	s_and_saveexec_b64 s[6:7], vcc
	s_cbranch_execz .LBB114_415
; %bb.410:
	ds_read_b128 v[2:5], v9
	s_and_b64 vcc, exec, s[0:1]
	s_cbranch_vccnz .LBB114_412
; %bb.411:
	scratch_load_dwordx4 v[162:165], v8, off
	s_waitcnt vmcnt(0) lgkmcnt(0)
	v_mul_f64 v[10:11], v[2:3], v[164:165]
	v_mul_f64 v[6:7], v[4:5], v[164:165]
	v_fmac_f64_e32 v[10:11], v[4:5], v[162:163]
	v_fma_f64 v[2:3], v[2:3], v[162:163], -v[6:7]
	v_mov_b64_e32 v[4:5], v[10:11]
.LBB114_412:
	s_and_saveexec_b64 s[8:9], s[2:3]
	s_cbranch_execz .LBB114_414
; %bb.413:
	scratch_load_dwordx4 v[162:165], v8, off offset:16
	ds_read_b128 v[166:169], v9 offset:16
	s_waitcnt vmcnt(0) lgkmcnt(0)
	v_mul_f64 v[6:7], v[168:169], v[164:165]
	v_mul_f64 v[10:11], v[166:167], v[164:165]
	v_fma_f64 v[6:7], v[166:167], v[162:163], -v[6:7]
	v_fmac_f64_e32 v[10:11], v[168:169], v[162:163]
	v_add_f64 v[2:3], v[2:3], v[6:7]
	v_add_f64 v[4:5], v[4:5], v[10:11]
.LBB114_414:
	s_or_b64 exec, exec, s[8:9]
	v_mov_b32_e32 v6, 0
	ds_read_b128 v[162:165], v6 offset:32
	s_waitcnt lgkmcnt(0)
	v_mul_f64 v[6:7], v[4:5], v[164:165]
	v_mul_f64 v[166:167], v[2:3], v[164:165]
	v_fma_f64 v[164:165], v[2:3], v[162:163], -v[6:7]
	v_fmac_f64_e32 v[166:167], v[4:5], v[162:163]
	scratch_store_dwordx4 off, v[164:167], off offset:32
.LBB114_415:
	s_or_b64 exec, exec, s[6:7]
	scratch_load_dwordx4 v[2:5], v159, off
	v_cmp_gt_u32_e32 vcc, 3, v0
	s_waitcnt vmcnt(0)
	ds_write_b128 v9, v[2:5]
	s_waitcnt lgkmcnt(0)
	; wave barrier
	s_waitcnt lgkmcnt(0)
	s_and_saveexec_b64 s[6:7], vcc
	s_cbranch_execz .LBB114_423
; %bb.416:
	ds_read_b128 v[2:5], v9
	s_and_b64 vcc, exec, s[0:1]
	s_cbranch_vccnz .LBB114_418
; %bb.417:
	scratch_load_dwordx4 v[162:165], v8, off
	s_waitcnt vmcnt(0) lgkmcnt(0)
	v_mul_f64 v[10:11], v[2:3], v[164:165]
	v_mul_f64 v[6:7], v[4:5], v[164:165]
	v_fmac_f64_e32 v[10:11], v[4:5], v[162:163]
	v_fma_f64 v[2:3], v[2:3], v[162:163], -v[6:7]
	v_mov_b64_e32 v[4:5], v[10:11]
.LBB114_418:
	v_cmp_ne_u32_e32 vcc, 2, v0
	s_and_saveexec_b64 s[8:9], vcc
	s_cbranch_execz .LBB114_422
; %bb.419:
	scratch_load_dwordx4 v[162:165], v8, off offset:16
	ds_read_b128 v[166:169], v9 offset:16
	s_waitcnt vmcnt(0) lgkmcnt(0)
	v_mul_f64 v[6:7], v[168:169], v[164:165]
	v_mul_f64 v[10:11], v[166:167], v[164:165]
	v_fma_f64 v[6:7], v[166:167], v[162:163], -v[6:7]
	v_fmac_f64_e32 v[10:11], v[168:169], v[162:163]
	v_add_f64 v[2:3], v[2:3], v[6:7]
	v_add_f64 v[4:5], v[4:5], v[10:11]
	s_and_saveexec_b64 s[10:11], s[2:3]
	s_cbranch_execz .LBB114_421
; %bb.420:
	scratch_load_dwordx4 v[162:165], off, off offset:32
	v_mov_b32_e32 v6, 0
	ds_read_b128 v[166:169], v6 offset:848
	s_waitcnt vmcnt(0) lgkmcnt(0)
	v_mul_f64 v[6:7], v[166:167], v[164:165]
	v_mul_f64 v[10:11], v[168:169], v[164:165]
	v_fmac_f64_e32 v[6:7], v[168:169], v[162:163]
	v_fma_f64 v[10:11], v[166:167], v[162:163], -v[10:11]
	v_add_f64 v[4:5], v[4:5], v[6:7]
	v_add_f64 v[2:3], v[2:3], v[10:11]
.LBB114_421:
	s_or_b64 exec, exec, s[10:11]
.LBB114_422:
	s_or_b64 exec, exec, s[8:9]
	v_mov_b32_e32 v6, 0
	ds_read_b128 v[162:165], v6 offset:48
	s_waitcnt lgkmcnt(0)
	v_mul_f64 v[6:7], v[4:5], v[164:165]
	v_mul_f64 v[166:167], v[2:3], v[164:165]
	v_fma_f64 v[164:165], v[2:3], v[162:163], -v[6:7]
	v_fmac_f64_e32 v[166:167], v[4:5], v[162:163]
	scratch_store_dwordx4 off, v[164:167], off offset:48
.LBB114_423:
	s_or_b64 exec, exec, s[6:7]
	scratch_load_dwordx4 v[2:5], v158, off
	v_cmp_gt_u32_e32 vcc, 4, v0
	s_waitcnt vmcnt(0)
	ds_write_b128 v9, v[2:5]
	s_waitcnt lgkmcnt(0)
	; wave barrier
	s_waitcnt lgkmcnt(0)
	s_and_saveexec_b64 s[2:3], vcc
	s_cbranch_execz .LBB114_431
; %bb.424:
	ds_read_b128 v[2:5], v9
	s_and_b64 vcc, exec, s[0:1]
	s_cbranch_vccnz .LBB114_426
; %bb.425:
	scratch_load_dwordx4 v[162:165], v8, off
	s_waitcnt vmcnt(0) lgkmcnt(0)
	v_mul_f64 v[10:11], v[2:3], v[164:165]
	v_mul_f64 v[6:7], v[4:5], v[164:165]
	v_fmac_f64_e32 v[10:11], v[4:5], v[162:163]
	v_fma_f64 v[2:3], v[2:3], v[162:163], -v[6:7]
	v_mov_b64_e32 v[4:5], v[10:11]
.LBB114_426:
	v_cmp_ne_u32_e32 vcc, 3, v0
	s_and_saveexec_b64 s[6:7], vcc
	s_cbranch_execz .LBB114_430
; %bb.427:
	v_mov_b32_e32 v7, 0
	v_add_u32_e32 v6, 0x340, v68
	v_add3_u32 v7, v68, v7, 24
	s_mov_b64 s[8:9], 0
	v_mov_b32_e32 v162, v0
.LBB114_428:                            ; =>This Inner Loop Header: Depth=1
	v_add_u32_e32 v10, -8, v7
	scratch_load_dwordx4 v[164:167], v10, off
	ds_read_b128 v[168:171], v6
	v_add_u32_e32 v162, 1, v162
	v_cmp_lt_u32_e32 vcc, 2, v162
	v_add_u32_e32 v6, 16, v6
	v_add_u32_e32 v7, 16, v7
	s_or_b64 s[8:9], vcc, s[8:9]
	s_waitcnt vmcnt(0) lgkmcnt(0)
	v_mul_f64 v[10:11], v[170:171], v[166:167]
	v_mul_f64 v[12:13], v[168:169], v[166:167]
	v_fma_f64 v[10:11], v[168:169], v[164:165], -v[10:11]
	v_fmac_f64_e32 v[12:13], v[170:171], v[164:165]
	v_add_f64 v[2:3], v[2:3], v[10:11]
	v_add_f64 v[4:5], v[4:5], v[12:13]
	s_andn2_b64 exec, exec, s[8:9]
	s_cbranch_execnz .LBB114_428
; %bb.429:
	s_or_b64 exec, exec, s[8:9]
.LBB114_430:
	s_or_b64 exec, exec, s[6:7]
	v_mov_b32_e32 v6, 0
	ds_read_b128 v[162:165], v6 offset:64
	s_waitcnt lgkmcnt(0)
	v_mul_f64 v[6:7], v[4:5], v[164:165]
	v_mul_f64 v[166:167], v[2:3], v[164:165]
	v_fma_f64 v[164:165], v[2:3], v[162:163], -v[6:7]
	v_fmac_f64_e32 v[166:167], v[4:5], v[162:163]
	scratch_store_dwordx4 off, v[164:167], off offset:64
.LBB114_431:
	s_or_b64 exec, exec, s[2:3]
	scratch_load_dwordx4 v[2:5], v157, off
	v_cmp_gt_u32_e32 vcc, 5, v0
	s_waitcnt vmcnt(0)
	ds_write_b128 v9, v[2:5]
	s_waitcnt lgkmcnt(0)
	; wave barrier
	s_waitcnt lgkmcnt(0)
	s_and_saveexec_b64 s[2:3], vcc
	s_cbranch_execz .LBB114_439
; %bb.432:
	ds_read_b128 v[2:5], v9
	s_and_b64 vcc, exec, s[0:1]
	s_cbranch_vccnz .LBB114_434
; %bb.433:
	scratch_load_dwordx4 v[162:165], v8, off
	s_waitcnt vmcnt(0) lgkmcnt(0)
	v_mul_f64 v[10:11], v[2:3], v[164:165]
	v_mul_f64 v[6:7], v[4:5], v[164:165]
	v_fmac_f64_e32 v[10:11], v[4:5], v[162:163]
	v_fma_f64 v[2:3], v[2:3], v[162:163], -v[6:7]
	v_mov_b64_e32 v[4:5], v[10:11]
.LBB114_434:
	v_cmp_ne_u32_e32 vcc, 4, v0
	s_and_saveexec_b64 s[6:7], vcc
	s_cbranch_execz .LBB114_438
; %bb.435:
	v_mov_b32_e32 v7, 0
	v_add_u32_e32 v6, 0x340, v68
	v_add3_u32 v7, v68, v7, 24
	s_mov_b64 s[8:9], 0
	v_mov_b32_e32 v162, v0
.LBB114_436:                            ; =>This Inner Loop Header: Depth=1
	v_add_u32_e32 v10, -8, v7
	scratch_load_dwordx4 v[164:167], v10, off
	ds_read_b128 v[168:171], v6
	v_add_u32_e32 v162, 1, v162
	v_cmp_lt_u32_e32 vcc, 3, v162
	v_add_u32_e32 v6, 16, v6
	v_add_u32_e32 v7, 16, v7
	s_or_b64 s[8:9], vcc, s[8:9]
	s_waitcnt vmcnt(0) lgkmcnt(0)
	v_mul_f64 v[10:11], v[170:171], v[166:167]
	v_mul_f64 v[12:13], v[168:169], v[166:167]
	v_fma_f64 v[10:11], v[168:169], v[164:165], -v[10:11]
	v_fmac_f64_e32 v[12:13], v[170:171], v[164:165]
	v_add_f64 v[2:3], v[2:3], v[10:11]
	v_add_f64 v[4:5], v[4:5], v[12:13]
	s_andn2_b64 exec, exec, s[8:9]
	s_cbranch_execnz .LBB114_436
; %bb.437:
	s_or_b64 exec, exec, s[8:9]
.LBB114_438:
	s_or_b64 exec, exec, s[6:7]
	v_mov_b32_e32 v6, 0
	ds_read_b128 v[162:165], v6 offset:80
	s_waitcnt lgkmcnt(0)
	v_mul_f64 v[6:7], v[4:5], v[164:165]
	v_mul_f64 v[166:167], v[2:3], v[164:165]
	v_fma_f64 v[164:165], v[2:3], v[162:163], -v[6:7]
	v_fmac_f64_e32 v[166:167], v[4:5], v[162:163]
	scratch_store_dwordx4 off, v[164:167], off offset:80
.LBB114_439:
	s_or_b64 exec, exec, s[2:3]
	scratch_load_dwordx4 v[2:5], v156, off
	v_cmp_gt_u32_e32 vcc, 6, v0
	s_waitcnt vmcnt(0)
	ds_write_b128 v9, v[2:5]
	s_waitcnt lgkmcnt(0)
	; wave barrier
	s_waitcnt lgkmcnt(0)
	s_and_saveexec_b64 s[2:3], vcc
	s_cbranch_execz .LBB114_447
; %bb.440:
	ds_read_b128 v[2:5], v9
	s_and_b64 vcc, exec, s[0:1]
	s_cbranch_vccnz .LBB114_442
; %bb.441:
	scratch_load_dwordx4 v[162:165], v8, off
	s_waitcnt vmcnt(0) lgkmcnt(0)
	v_mul_f64 v[10:11], v[2:3], v[164:165]
	v_mul_f64 v[6:7], v[4:5], v[164:165]
	v_fmac_f64_e32 v[10:11], v[4:5], v[162:163]
	v_fma_f64 v[2:3], v[2:3], v[162:163], -v[6:7]
	v_mov_b64_e32 v[4:5], v[10:11]
.LBB114_442:
	v_cmp_ne_u32_e32 vcc, 5, v0
	s_and_saveexec_b64 s[6:7], vcc
	s_cbranch_execz .LBB114_446
; %bb.443:
	v_mov_b32_e32 v7, 0
	v_add_u32_e32 v6, 0x340, v68
	v_add3_u32 v7, v68, v7, 24
	s_mov_b64 s[8:9], 0
	v_mov_b32_e32 v162, v0
.LBB114_444:                            ; =>This Inner Loop Header: Depth=1
	v_add_u32_e32 v10, -8, v7
	scratch_load_dwordx4 v[164:167], v10, off
	ds_read_b128 v[168:171], v6
	v_add_u32_e32 v162, 1, v162
	v_cmp_lt_u32_e32 vcc, 4, v162
	v_add_u32_e32 v6, 16, v6
	v_add_u32_e32 v7, 16, v7
	s_or_b64 s[8:9], vcc, s[8:9]
	s_waitcnt vmcnt(0) lgkmcnt(0)
	v_mul_f64 v[10:11], v[170:171], v[166:167]
	v_mul_f64 v[12:13], v[168:169], v[166:167]
	v_fma_f64 v[10:11], v[168:169], v[164:165], -v[10:11]
	v_fmac_f64_e32 v[12:13], v[170:171], v[164:165]
	v_add_f64 v[2:3], v[2:3], v[10:11]
	v_add_f64 v[4:5], v[4:5], v[12:13]
	s_andn2_b64 exec, exec, s[8:9]
	s_cbranch_execnz .LBB114_444
; %bb.445:
	s_or_b64 exec, exec, s[8:9]
.LBB114_446:
	s_or_b64 exec, exec, s[6:7]
	v_mov_b32_e32 v6, 0
	ds_read_b128 v[162:165], v6 offset:96
	s_waitcnt lgkmcnt(0)
	v_mul_f64 v[6:7], v[4:5], v[164:165]
	v_mul_f64 v[166:167], v[2:3], v[164:165]
	v_fma_f64 v[164:165], v[2:3], v[162:163], -v[6:7]
	v_fmac_f64_e32 v[166:167], v[4:5], v[162:163]
	scratch_store_dwordx4 off, v[164:167], off offset:96
.LBB114_447:
	s_or_b64 exec, exec, s[2:3]
	scratch_load_dwordx4 v[2:5], v155, off
	v_cmp_gt_u32_e32 vcc, 7, v0
	s_waitcnt vmcnt(0)
	ds_write_b128 v9, v[2:5]
	s_waitcnt lgkmcnt(0)
	; wave barrier
	s_waitcnt lgkmcnt(0)
	s_and_saveexec_b64 s[2:3], vcc
	s_cbranch_execz .LBB114_455
; %bb.448:
	ds_read_b128 v[2:5], v9
	s_and_b64 vcc, exec, s[0:1]
	s_cbranch_vccnz .LBB114_450
; %bb.449:
	scratch_load_dwordx4 v[162:165], v8, off
	s_waitcnt vmcnt(0) lgkmcnt(0)
	v_mul_f64 v[10:11], v[2:3], v[164:165]
	v_mul_f64 v[6:7], v[4:5], v[164:165]
	v_fmac_f64_e32 v[10:11], v[4:5], v[162:163]
	v_fma_f64 v[2:3], v[2:3], v[162:163], -v[6:7]
	v_mov_b64_e32 v[4:5], v[10:11]
.LBB114_450:
	v_cmp_ne_u32_e32 vcc, 6, v0
	s_and_saveexec_b64 s[6:7], vcc
	s_cbranch_execz .LBB114_454
; %bb.451:
	v_mov_b32_e32 v7, 0
	v_add_u32_e32 v6, 0x340, v68
	v_add3_u32 v7, v68, v7, 24
	s_mov_b64 s[8:9], 0
	v_mov_b32_e32 v162, v0
.LBB114_452:                            ; =>This Inner Loop Header: Depth=1
	v_add_u32_e32 v10, -8, v7
	scratch_load_dwordx4 v[164:167], v10, off
	ds_read_b128 v[168:171], v6
	v_add_u32_e32 v162, 1, v162
	v_cmp_lt_u32_e32 vcc, 5, v162
	v_add_u32_e32 v6, 16, v6
	v_add_u32_e32 v7, 16, v7
	s_or_b64 s[8:9], vcc, s[8:9]
	s_waitcnt vmcnt(0) lgkmcnt(0)
	v_mul_f64 v[10:11], v[170:171], v[166:167]
	v_mul_f64 v[12:13], v[168:169], v[166:167]
	v_fma_f64 v[10:11], v[168:169], v[164:165], -v[10:11]
	v_fmac_f64_e32 v[12:13], v[170:171], v[164:165]
	v_add_f64 v[2:3], v[2:3], v[10:11]
	v_add_f64 v[4:5], v[4:5], v[12:13]
	s_andn2_b64 exec, exec, s[8:9]
	s_cbranch_execnz .LBB114_452
; %bb.453:
	s_or_b64 exec, exec, s[8:9]
.LBB114_454:
	s_or_b64 exec, exec, s[6:7]
	v_mov_b32_e32 v6, 0
	ds_read_b128 v[162:165], v6 offset:112
	s_waitcnt lgkmcnt(0)
	v_mul_f64 v[6:7], v[4:5], v[164:165]
	v_mul_f64 v[166:167], v[2:3], v[164:165]
	v_fma_f64 v[164:165], v[2:3], v[162:163], -v[6:7]
	v_fmac_f64_e32 v[166:167], v[4:5], v[162:163]
	scratch_store_dwordx4 off, v[164:167], off offset:112
.LBB114_455:
	s_or_b64 exec, exec, s[2:3]
	scratch_load_dwordx4 v[2:5], v154, off
	v_cmp_gt_u32_e32 vcc, 8, v0
	s_waitcnt vmcnt(0)
	ds_write_b128 v9, v[2:5]
	s_waitcnt lgkmcnt(0)
	; wave barrier
	s_waitcnt lgkmcnt(0)
	s_and_saveexec_b64 s[2:3], vcc
	s_cbranch_execz .LBB114_463
; %bb.456:
	ds_read_b128 v[2:5], v9
	s_and_b64 vcc, exec, s[0:1]
	s_cbranch_vccnz .LBB114_458
; %bb.457:
	scratch_load_dwordx4 v[162:165], v8, off
	s_waitcnt vmcnt(0) lgkmcnt(0)
	v_mul_f64 v[10:11], v[2:3], v[164:165]
	v_mul_f64 v[6:7], v[4:5], v[164:165]
	v_fmac_f64_e32 v[10:11], v[4:5], v[162:163]
	v_fma_f64 v[2:3], v[2:3], v[162:163], -v[6:7]
	v_mov_b64_e32 v[4:5], v[10:11]
.LBB114_458:
	v_cmp_ne_u32_e32 vcc, 7, v0
	s_and_saveexec_b64 s[6:7], vcc
	s_cbranch_execz .LBB114_462
; %bb.459:
	v_mov_b32_e32 v7, 0
	v_add_u32_e32 v6, 0x340, v68
	v_add3_u32 v7, v68, v7, 24
	s_mov_b64 s[8:9], 0
	v_mov_b32_e32 v162, v0
.LBB114_460:                            ; =>This Inner Loop Header: Depth=1
	v_add_u32_e32 v10, -8, v7
	scratch_load_dwordx4 v[164:167], v10, off
	ds_read_b128 v[168:171], v6
	v_add_u32_e32 v162, 1, v162
	v_cmp_lt_u32_e32 vcc, 6, v162
	v_add_u32_e32 v6, 16, v6
	v_add_u32_e32 v7, 16, v7
	s_or_b64 s[8:9], vcc, s[8:9]
	s_waitcnt vmcnt(0) lgkmcnt(0)
	v_mul_f64 v[10:11], v[170:171], v[166:167]
	v_mul_f64 v[12:13], v[168:169], v[166:167]
	v_fma_f64 v[10:11], v[168:169], v[164:165], -v[10:11]
	v_fmac_f64_e32 v[12:13], v[170:171], v[164:165]
	v_add_f64 v[2:3], v[2:3], v[10:11]
	v_add_f64 v[4:5], v[4:5], v[12:13]
	s_andn2_b64 exec, exec, s[8:9]
	s_cbranch_execnz .LBB114_460
; %bb.461:
	s_or_b64 exec, exec, s[8:9]
.LBB114_462:
	s_or_b64 exec, exec, s[6:7]
	v_mov_b32_e32 v6, 0
	ds_read_b128 v[162:165], v6 offset:128
	s_waitcnt lgkmcnt(0)
	v_mul_f64 v[6:7], v[4:5], v[164:165]
	v_mul_f64 v[166:167], v[2:3], v[164:165]
	v_fma_f64 v[164:165], v[2:3], v[162:163], -v[6:7]
	v_fmac_f64_e32 v[166:167], v[4:5], v[162:163]
	scratch_store_dwordx4 off, v[164:167], off offset:128
.LBB114_463:
	s_or_b64 exec, exec, s[2:3]
	scratch_load_dwordx4 v[2:5], v153, off
	v_cmp_gt_u32_e32 vcc, 9, v0
	s_waitcnt vmcnt(0)
	ds_write_b128 v9, v[2:5]
	s_waitcnt lgkmcnt(0)
	; wave barrier
	s_waitcnt lgkmcnt(0)
	s_and_saveexec_b64 s[2:3], vcc
	s_cbranch_execz .LBB114_471
; %bb.464:
	ds_read_b128 v[2:5], v9
	s_and_b64 vcc, exec, s[0:1]
	s_cbranch_vccnz .LBB114_466
; %bb.465:
	scratch_load_dwordx4 v[162:165], v8, off
	s_waitcnt vmcnt(0) lgkmcnt(0)
	v_mul_f64 v[10:11], v[2:3], v[164:165]
	v_mul_f64 v[6:7], v[4:5], v[164:165]
	v_fmac_f64_e32 v[10:11], v[4:5], v[162:163]
	v_fma_f64 v[2:3], v[2:3], v[162:163], -v[6:7]
	v_mov_b64_e32 v[4:5], v[10:11]
.LBB114_466:
	v_cmp_ne_u32_e32 vcc, 8, v0
	s_and_saveexec_b64 s[6:7], vcc
	s_cbranch_execz .LBB114_470
; %bb.467:
	v_mov_b32_e32 v7, 0
	v_add_u32_e32 v6, 0x340, v68
	v_add3_u32 v7, v68, v7, 24
	s_mov_b64 s[8:9], 0
	v_mov_b32_e32 v162, v0
.LBB114_468:                            ; =>This Inner Loop Header: Depth=1
	v_add_u32_e32 v10, -8, v7
	scratch_load_dwordx4 v[164:167], v10, off
	ds_read_b128 v[168:171], v6
	v_add_u32_e32 v162, 1, v162
	v_cmp_lt_u32_e32 vcc, 7, v162
	v_add_u32_e32 v6, 16, v6
	v_add_u32_e32 v7, 16, v7
	s_or_b64 s[8:9], vcc, s[8:9]
	s_waitcnt vmcnt(0) lgkmcnt(0)
	v_mul_f64 v[10:11], v[170:171], v[166:167]
	v_mul_f64 v[12:13], v[168:169], v[166:167]
	v_fma_f64 v[10:11], v[168:169], v[164:165], -v[10:11]
	v_fmac_f64_e32 v[12:13], v[170:171], v[164:165]
	v_add_f64 v[2:3], v[2:3], v[10:11]
	v_add_f64 v[4:5], v[4:5], v[12:13]
	s_andn2_b64 exec, exec, s[8:9]
	s_cbranch_execnz .LBB114_468
; %bb.469:
	s_or_b64 exec, exec, s[8:9]
.LBB114_470:
	s_or_b64 exec, exec, s[6:7]
	v_mov_b32_e32 v6, 0
	ds_read_b128 v[162:165], v6 offset:144
	s_waitcnt lgkmcnt(0)
	v_mul_f64 v[6:7], v[4:5], v[164:165]
	v_mul_f64 v[166:167], v[2:3], v[164:165]
	v_fma_f64 v[164:165], v[2:3], v[162:163], -v[6:7]
	v_fmac_f64_e32 v[166:167], v[4:5], v[162:163]
	scratch_store_dwordx4 off, v[164:167], off offset:144
.LBB114_471:
	s_or_b64 exec, exec, s[2:3]
	scratch_load_dwordx4 v[2:5], v152, off
	v_cmp_gt_u32_e32 vcc, 10, v0
	s_waitcnt vmcnt(0)
	ds_write_b128 v9, v[2:5]
	s_waitcnt lgkmcnt(0)
	; wave barrier
	s_waitcnt lgkmcnt(0)
	s_and_saveexec_b64 s[2:3], vcc
	s_cbranch_execz .LBB114_479
; %bb.472:
	ds_read_b128 v[2:5], v9
	s_and_b64 vcc, exec, s[0:1]
	s_cbranch_vccnz .LBB114_474
; %bb.473:
	scratch_load_dwordx4 v[162:165], v8, off
	s_waitcnt vmcnt(0) lgkmcnt(0)
	v_mul_f64 v[10:11], v[2:3], v[164:165]
	v_mul_f64 v[6:7], v[4:5], v[164:165]
	v_fmac_f64_e32 v[10:11], v[4:5], v[162:163]
	v_fma_f64 v[2:3], v[2:3], v[162:163], -v[6:7]
	v_mov_b64_e32 v[4:5], v[10:11]
.LBB114_474:
	v_cmp_ne_u32_e32 vcc, 9, v0
	s_and_saveexec_b64 s[6:7], vcc
	s_cbranch_execz .LBB114_478
; %bb.475:
	v_mov_b32_e32 v7, 0
	v_add_u32_e32 v6, 0x340, v68
	v_add3_u32 v7, v68, v7, 24
	s_mov_b64 s[8:9], 0
	v_mov_b32_e32 v162, v0
.LBB114_476:                            ; =>This Inner Loop Header: Depth=1
	v_add_u32_e32 v10, -8, v7
	scratch_load_dwordx4 v[164:167], v10, off
	ds_read_b128 v[168:171], v6
	v_add_u32_e32 v162, 1, v162
	v_cmp_lt_u32_e32 vcc, 8, v162
	v_add_u32_e32 v6, 16, v6
	v_add_u32_e32 v7, 16, v7
	s_or_b64 s[8:9], vcc, s[8:9]
	s_waitcnt vmcnt(0) lgkmcnt(0)
	v_mul_f64 v[10:11], v[170:171], v[166:167]
	v_mul_f64 v[12:13], v[168:169], v[166:167]
	v_fma_f64 v[10:11], v[168:169], v[164:165], -v[10:11]
	v_fmac_f64_e32 v[12:13], v[170:171], v[164:165]
	v_add_f64 v[2:3], v[2:3], v[10:11]
	v_add_f64 v[4:5], v[4:5], v[12:13]
	s_andn2_b64 exec, exec, s[8:9]
	s_cbranch_execnz .LBB114_476
; %bb.477:
	s_or_b64 exec, exec, s[8:9]
.LBB114_478:
	s_or_b64 exec, exec, s[6:7]
	v_mov_b32_e32 v6, 0
	ds_read_b128 v[162:165], v6 offset:160
	s_waitcnt lgkmcnt(0)
	v_mul_f64 v[6:7], v[4:5], v[164:165]
	v_mul_f64 v[166:167], v[2:3], v[164:165]
	v_fma_f64 v[164:165], v[2:3], v[162:163], -v[6:7]
	v_fmac_f64_e32 v[166:167], v[4:5], v[162:163]
	scratch_store_dwordx4 off, v[164:167], off offset:160
.LBB114_479:
	s_or_b64 exec, exec, s[2:3]
	scratch_load_dwordx4 v[2:5], v151, off
	v_cmp_gt_u32_e32 vcc, 11, v0
	s_waitcnt vmcnt(0)
	ds_write_b128 v9, v[2:5]
	s_waitcnt lgkmcnt(0)
	; wave barrier
	s_waitcnt lgkmcnt(0)
	s_and_saveexec_b64 s[2:3], vcc
	s_cbranch_execz .LBB114_487
; %bb.480:
	ds_read_b128 v[2:5], v9
	s_and_b64 vcc, exec, s[0:1]
	s_cbranch_vccnz .LBB114_482
; %bb.481:
	scratch_load_dwordx4 v[162:165], v8, off
	s_waitcnt vmcnt(0) lgkmcnt(0)
	v_mul_f64 v[10:11], v[2:3], v[164:165]
	v_mul_f64 v[6:7], v[4:5], v[164:165]
	v_fmac_f64_e32 v[10:11], v[4:5], v[162:163]
	v_fma_f64 v[2:3], v[2:3], v[162:163], -v[6:7]
	v_mov_b64_e32 v[4:5], v[10:11]
.LBB114_482:
	v_cmp_ne_u32_e32 vcc, 10, v0
	s_and_saveexec_b64 s[6:7], vcc
	s_cbranch_execz .LBB114_486
; %bb.483:
	v_mov_b32_e32 v7, 0
	v_add_u32_e32 v6, 0x340, v68
	v_add3_u32 v7, v68, v7, 24
	s_mov_b64 s[8:9], 0
	v_mov_b32_e32 v162, v0
.LBB114_484:                            ; =>This Inner Loop Header: Depth=1
	v_add_u32_e32 v10, -8, v7
	scratch_load_dwordx4 v[164:167], v10, off
	ds_read_b128 v[168:171], v6
	v_add_u32_e32 v162, 1, v162
	v_cmp_lt_u32_e32 vcc, 9, v162
	v_add_u32_e32 v6, 16, v6
	v_add_u32_e32 v7, 16, v7
	s_or_b64 s[8:9], vcc, s[8:9]
	s_waitcnt vmcnt(0) lgkmcnt(0)
	v_mul_f64 v[10:11], v[170:171], v[166:167]
	v_mul_f64 v[12:13], v[168:169], v[166:167]
	v_fma_f64 v[10:11], v[168:169], v[164:165], -v[10:11]
	v_fmac_f64_e32 v[12:13], v[170:171], v[164:165]
	v_add_f64 v[2:3], v[2:3], v[10:11]
	v_add_f64 v[4:5], v[4:5], v[12:13]
	s_andn2_b64 exec, exec, s[8:9]
	s_cbranch_execnz .LBB114_484
; %bb.485:
	s_or_b64 exec, exec, s[8:9]
.LBB114_486:
	s_or_b64 exec, exec, s[6:7]
	v_mov_b32_e32 v6, 0
	ds_read_b128 v[162:165], v6 offset:176
	s_waitcnt lgkmcnt(0)
	v_mul_f64 v[6:7], v[4:5], v[164:165]
	v_mul_f64 v[166:167], v[2:3], v[164:165]
	v_fma_f64 v[164:165], v[2:3], v[162:163], -v[6:7]
	v_fmac_f64_e32 v[166:167], v[4:5], v[162:163]
	scratch_store_dwordx4 off, v[164:167], off offset:176
.LBB114_487:
	s_or_b64 exec, exec, s[2:3]
	scratch_load_dwordx4 v[2:5], v150, off
	v_cmp_gt_u32_e32 vcc, 12, v0
	s_waitcnt vmcnt(0)
	ds_write_b128 v9, v[2:5]
	s_waitcnt lgkmcnt(0)
	; wave barrier
	s_waitcnt lgkmcnt(0)
	s_and_saveexec_b64 s[2:3], vcc
	s_cbranch_execz .LBB114_495
; %bb.488:
	ds_read_b128 v[2:5], v9
	s_and_b64 vcc, exec, s[0:1]
	s_cbranch_vccnz .LBB114_490
; %bb.489:
	scratch_load_dwordx4 v[162:165], v8, off
	s_waitcnt vmcnt(0) lgkmcnt(0)
	v_mul_f64 v[10:11], v[2:3], v[164:165]
	v_mul_f64 v[6:7], v[4:5], v[164:165]
	v_fmac_f64_e32 v[10:11], v[4:5], v[162:163]
	v_fma_f64 v[2:3], v[2:3], v[162:163], -v[6:7]
	v_mov_b64_e32 v[4:5], v[10:11]
.LBB114_490:
	v_cmp_ne_u32_e32 vcc, 11, v0
	s_and_saveexec_b64 s[6:7], vcc
	s_cbranch_execz .LBB114_494
; %bb.491:
	v_mov_b32_e32 v7, 0
	v_add_u32_e32 v6, 0x340, v68
	v_add3_u32 v7, v68, v7, 24
	s_mov_b64 s[8:9], 0
	v_mov_b32_e32 v162, v0
.LBB114_492:                            ; =>This Inner Loop Header: Depth=1
	v_add_u32_e32 v10, -8, v7
	scratch_load_dwordx4 v[164:167], v10, off
	ds_read_b128 v[168:171], v6
	v_add_u32_e32 v162, 1, v162
	v_cmp_lt_u32_e32 vcc, 10, v162
	v_add_u32_e32 v6, 16, v6
	v_add_u32_e32 v7, 16, v7
	s_or_b64 s[8:9], vcc, s[8:9]
	s_waitcnt vmcnt(0) lgkmcnt(0)
	v_mul_f64 v[10:11], v[170:171], v[166:167]
	v_mul_f64 v[12:13], v[168:169], v[166:167]
	v_fma_f64 v[10:11], v[168:169], v[164:165], -v[10:11]
	v_fmac_f64_e32 v[12:13], v[170:171], v[164:165]
	v_add_f64 v[2:3], v[2:3], v[10:11]
	v_add_f64 v[4:5], v[4:5], v[12:13]
	s_andn2_b64 exec, exec, s[8:9]
	s_cbranch_execnz .LBB114_492
; %bb.493:
	s_or_b64 exec, exec, s[8:9]
.LBB114_494:
	s_or_b64 exec, exec, s[6:7]
	v_mov_b32_e32 v6, 0
	ds_read_b128 v[162:165], v6 offset:192
	s_waitcnt lgkmcnt(0)
	v_mul_f64 v[6:7], v[4:5], v[164:165]
	v_mul_f64 v[166:167], v[2:3], v[164:165]
	v_fma_f64 v[164:165], v[2:3], v[162:163], -v[6:7]
	v_fmac_f64_e32 v[166:167], v[4:5], v[162:163]
	scratch_store_dwordx4 off, v[164:167], off offset:192
.LBB114_495:
	s_or_b64 exec, exec, s[2:3]
	scratch_load_dwordx4 v[2:5], v149, off
	v_cmp_gt_u32_e32 vcc, 13, v0
	s_waitcnt vmcnt(0)
	ds_write_b128 v9, v[2:5]
	s_waitcnt lgkmcnt(0)
	; wave barrier
	s_waitcnt lgkmcnt(0)
	s_and_saveexec_b64 s[2:3], vcc
	s_cbranch_execz .LBB114_503
; %bb.496:
	ds_read_b128 v[2:5], v9
	s_and_b64 vcc, exec, s[0:1]
	s_cbranch_vccnz .LBB114_498
; %bb.497:
	scratch_load_dwordx4 v[162:165], v8, off
	s_waitcnt vmcnt(0) lgkmcnt(0)
	v_mul_f64 v[10:11], v[2:3], v[164:165]
	v_mul_f64 v[6:7], v[4:5], v[164:165]
	v_fmac_f64_e32 v[10:11], v[4:5], v[162:163]
	v_fma_f64 v[2:3], v[2:3], v[162:163], -v[6:7]
	v_mov_b64_e32 v[4:5], v[10:11]
.LBB114_498:
	v_cmp_ne_u32_e32 vcc, 12, v0
	s_and_saveexec_b64 s[6:7], vcc
	s_cbranch_execz .LBB114_502
; %bb.499:
	v_mov_b32_e32 v7, 0
	v_add_u32_e32 v6, 0x340, v68
	v_add3_u32 v7, v68, v7, 24
	s_mov_b64 s[8:9], 0
	v_mov_b32_e32 v162, v0
.LBB114_500:                            ; =>This Inner Loop Header: Depth=1
	v_add_u32_e32 v10, -8, v7
	scratch_load_dwordx4 v[164:167], v10, off
	ds_read_b128 v[168:171], v6
	v_add_u32_e32 v162, 1, v162
	v_cmp_lt_u32_e32 vcc, 11, v162
	v_add_u32_e32 v6, 16, v6
	v_add_u32_e32 v7, 16, v7
	s_or_b64 s[8:9], vcc, s[8:9]
	s_waitcnt vmcnt(0) lgkmcnt(0)
	v_mul_f64 v[10:11], v[170:171], v[166:167]
	v_mul_f64 v[12:13], v[168:169], v[166:167]
	v_fma_f64 v[10:11], v[168:169], v[164:165], -v[10:11]
	v_fmac_f64_e32 v[12:13], v[170:171], v[164:165]
	v_add_f64 v[2:3], v[2:3], v[10:11]
	v_add_f64 v[4:5], v[4:5], v[12:13]
	s_andn2_b64 exec, exec, s[8:9]
	s_cbranch_execnz .LBB114_500
; %bb.501:
	s_or_b64 exec, exec, s[8:9]
.LBB114_502:
	s_or_b64 exec, exec, s[6:7]
	v_mov_b32_e32 v6, 0
	ds_read_b128 v[162:165], v6 offset:208
	s_waitcnt lgkmcnt(0)
	v_mul_f64 v[6:7], v[4:5], v[164:165]
	v_mul_f64 v[166:167], v[2:3], v[164:165]
	v_fma_f64 v[164:165], v[2:3], v[162:163], -v[6:7]
	v_fmac_f64_e32 v[166:167], v[4:5], v[162:163]
	scratch_store_dwordx4 off, v[164:167], off offset:208
.LBB114_503:
	s_or_b64 exec, exec, s[2:3]
	scratch_load_dwordx4 v[2:5], v148, off
	v_cmp_gt_u32_e32 vcc, 14, v0
	s_waitcnt vmcnt(0)
	ds_write_b128 v9, v[2:5]
	s_waitcnt lgkmcnt(0)
	; wave barrier
	s_waitcnt lgkmcnt(0)
	s_and_saveexec_b64 s[2:3], vcc
	s_cbranch_execz .LBB114_511
; %bb.504:
	ds_read_b128 v[2:5], v9
	s_and_b64 vcc, exec, s[0:1]
	s_cbranch_vccnz .LBB114_506
; %bb.505:
	scratch_load_dwordx4 v[162:165], v8, off
	s_waitcnt vmcnt(0) lgkmcnt(0)
	v_mul_f64 v[10:11], v[2:3], v[164:165]
	v_mul_f64 v[6:7], v[4:5], v[164:165]
	v_fmac_f64_e32 v[10:11], v[4:5], v[162:163]
	v_fma_f64 v[2:3], v[2:3], v[162:163], -v[6:7]
	v_mov_b64_e32 v[4:5], v[10:11]
.LBB114_506:
	v_cmp_ne_u32_e32 vcc, 13, v0
	s_and_saveexec_b64 s[6:7], vcc
	s_cbranch_execz .LBB114_510
; %bb.507:
	v_mov_b32_e32 v7, 0
	v_add_u32_e32 v6, 0x340, v68
	v_add3_u32 v7, v68, v7, 24
	s_mov_b64 s[8:9], 0
	v_mov_b32_e32 v162, v0
.LBB114_508:                            ; =>This Inner Loop Header: Depth=1
	v_add_u32_e32 v10, -8, v7
	scratch_load_dwordx4 v[164:167], v10, off
	ds_read_b128 v[168:171], v6
	v_add_u32_e32 v162, 1, v162
	v_cmp_lt_u32_e32 vcc, 12, v162
	v_add_u32_e32 v6, 16, v6
	v_add_u32_e32 v7, 16, v7
	s_or_b64 s[8:9], vcc, s[8:9]
	s_waitcnt vmcnt(0) lgkmcnt(0)
	v_mul_f64 v[10:11], v[170:171], v[166:167]
	v_mul_f64 v[12:13], v[168:169], v[166:167]
	v_fma_f64 v[10:11], v[168:169], v[164:165], -v[10:11]
	v_fmac_f64_e32 v[12:13], v[170:171], v[164:165]
	v_add_f64 v[2:3], v[2:3], v[10:11]
	v_add_f64 v[4:5], v[4:5], v[12:13]
	s_andn2_b64 exec, exec, s[8:9]
	s_cbranch_execnz .LBB114_508
; %bb.509:
	s_or_b64 exec, exec, s[8:9]
.LBB114_510:
	s_or_b64 exec, exec, s[6:7]
	v_mov_b32_e32 v6, 0
	ds_read_b128 v[162:165], v6 offset:224
	s_waitcnt lgkmcnt(0)
	v_mul_f64 v[6:7], v[4:5], v[164:165]
	v_mul_f64 v[166:167], v[2:3], v[164:165]
	v_fma_f64 v[164:165], v[2:3], v[162:163], -v[6:7]
	v_fmac_f64_e32 v[166:167], v[4:5], v[162:163]
	scratch_store_dwordx4 off, v[164:167], off offset:224
.LBB114_511:
	s_or_b64 exec, exec, s[2:3]
	scratch_load_dwordx4 v[2:5], v147, off
	v_cmp_gt_u32_e32 vcc, 15, v0
	s_waitcnt vmcnt(0)
	ds_write_b128 v9, v[2:5]
	s_waitcnt lgkmcnt(0)
	; wave barrier
	s_waitcnt lgkmcnt(0)
	s_and_saveexec_b64 s[2:3], vcc
	s_cbranch_execz .LBB114_519
; %bb.512:
	ds_read_b128 v[2:5], v9
	s_and_b64 vcc, exec, s[0:1]
	s_cbranch_vccnz .LBB114_514
; %bb.513:
	scratch_load_dwordx4 v[162:165], v8, off
	s_waitcnt vmcnt(0) lgkmcnt(0)
	v_mul_f64 v[10:11], v[2:3], v[164:165]
	v_mul_f64 v[6:7], v[4:5], v[164:165]
	v_fmac_f64_e32 v[10:11], v[4:5], v[162:163]
	v_fma_f64 v[2:3], v[2:3], v[162:163], -v[6:7]
	v_mov_b64_e32 v[4:5], v[10:11]
.LBB114_514:
	v_cmp_ne_u32_e32 vcc, 14, v0
	s_and_saveexec_b64 s[6:7], vcc
	s_cbranch_execz .LBB114_518
; %bb.515:
	v_mov_b32_e32 v7, 0
	v_add_u32_e32 v6, 0x340, v68
	v_add3_u32 v7, v68, v7, 24
	s_mov_b64 s[8:9], 0
	v_mov_b32_e32 v162, v0
.LBB114_516:                            ; =>This Inner Loop Header: Depth=1
	v_add_u32_e32 v10, -8, v7
	scratch_load_dwordx4 v[164:167], v10, off
	ds_read_b128 v[168:171], v6
	v_add_u32_e32 v162, 1, v162
	v_cmp_lt_u32_e32 vcc, 13, v162
	v_add_u32_e32 v6, 16, v6
	v_add_u32_e32 v7, 16, v7
	s_or_b64 s[8:9], vcc, s[8:9]
	s_waitcnt vmcnt(0) lgkmcnt(0)
	v_mul_f64 v[10:11], v[170:171], v[166:167]
	v_mul_f64 v[12:13], v[168:169], v[166:167]
	v_fma_f64 v[10:11], v[168:169], v[164:165], -v[10:11]
	v_fmac_f64_e32 v[12:13], v[170:171], v[164:165]
	v_add_f64 v[2:3], v[2:3], v[10:11]
	v_add_f64 v[4:5], v[4:5], v[12:13]
	s_andn2_b64 exec, exec, s[8:9]
	s_cbranch_execnz .LBB114_516
; %bb.517:
	s_or_b64 exec, exec, s[8:9]
.LBB114_518:
	s_or_b64 exec, exec, s[6:7]
	v_mov_b32_e32 v6, 0
	ds_read_b128 v[162:165], v6 offset:240
	s_waitcnt lgkmcnt(0)
	v_mul_f64 v[6:7], v[4:5], v[164:165]
	v_mul_f64 v[166:167], v[2:3], v[164:165]
	v_fma_f64 v[164:165], v[2:3], v[162:163], -v[6:7]
	v_fmac_f64_e32 v[166:167], v[4:5], v[162:163]
	scratch_store_dwordx4 off, v[164:167], off offset:240
.LBB114_519:
	s_or_b64 exec, exec, s[2:3]
	scratch_load_dwordx4 v[2:5], v146, off
	v_cmp_gt_u32_e32 vcc, 16, v0
	s_waitcnt vmcnt(0)
	ds_write_b128 v9, v[2:5]
	s_waitcnt lgkmcnt(0)
	; wave barrier
	s_waitcnt lgkmcnt(0)
	s_and_saveexec_b64 s[2:3], vcc
	s_cbranch_execz .LBB114_527
; %bb.520:
	ds_read_b128 v[2:5], v9
	s_and_b64 vcc, exec, s[0:1]
	s_cbranch_vccnz .LBB114_522
; %bb.521:
	scratch_load_dwordx4 v[162:165], v8, off
	s_waitcnt vmcnt(0) lgkmcnt(0)
	v_mul_f64 v[10:11], v[2:3], v[164:165]
	v_mul_f64 v[6:7], v[4:5], v[164:165]
	v_fmac_f64_e32 v[10:11], v[4:5], v[162:163]
	v_fma_f64 v[2:3], v[2:3], v[162:163], -v[6:7]
	v_mov_b64_e32 v[4:5], v[10:11]
.LBB114_522:
	v_cmp_ne_u32_e32 vcc, 15, v0
	s_and_saveexec_b64 s[6:7], vcc
	s_cbranch_execz .LBB114_526
; %bb.523:
	v_mov_b32_e32 v7, 0
	v_add_u32_e32 v6, 0x340, v68
	v_add3_u32 v7, v68, v7, 24
	s_mov_b64 s[8:9], 0
	v_mov_b32_e32 v162, v0
.LBB114_524:                            ; =>This Inner Loop Header: Depth=1
	v_add_u32_e32 v10, -8, v7
	scratch_load_dwordx4 v[164:167], v10, off
	ds_read_b128 v[168:171], v6
	v_add_u32_e32 v162, 1, v162
	v_cmp_lt_u32_e32 vcc, 14, v162
	v_add_u32_e32 v6, 16, v6
	v_add_u32_e32 v7, 16, v7
	s_or_b64 s[8:9], vcc, s[8:9]
	s_waitcnt vmcnt(0) lgkmcnt(0)
	v_mul_f64 v[10:11], v[170:171], v[166:167]
	v_mul_f64 v[12:13], v[168:169], v[166:167]
	v_fma_f64 v[10:11], v[168:169], v[164:165], -v[10:11]
	v_fmac_f64_e32 v[12:13], v[170:171], v[164:165]
	v_add_f64 v[2:3], v[2:3], v[10:11]
	v_add_f64 v[4:5], v[4:5], v[12:13]
	s_andn2_b64 exec, exec, s[8:9]
	s_cbranch_execnz .LBB114_524
; %bb.525:
	s_or_b64 exec, exec, s[8:9]
.LBB114_526:
	s_or_b64 exec, exec, s[6:7]
	v_mov_b32_e32 v6, 0
	ds_read_b128 v[162:165], v6 offset:256
	s_waitcnt lgkmcnt(0)
	v_mul_f64 v[6:7], v[4:5], v[164:165]
	v_mul_f64 v[166:167], v[2:3], v[164:165]
	v_fma_f64 v[164:165], v[2:3], v[162:163], -v[6:7]
	v_fmac_f64_e32 v[166:167], v[4:5], v[162:163]
	scratch_store_dwordx4 off, v[164:167], off offset:256
.LBB114_527:
	s_or_b64 exec, exec, s[2:3]
	scratch_load_dwordx4 v[2:5], v145, off
	v_cmp_gt_u32_e32 vcc, 17, v0
	s_waitcnt vmcnt(0)
	ds_write_b128 v9, v[2:5]
	s_waitcnt lgkmcnt(0)
	; wave barrier
	s_waitcnt lgkmcnt(0)
	s_and_saveexec_b64 s[2:3], vcc
	s_cbranch_execz .LBB114_535
; %bb.528:
	ds_read_b128 v[2:5], v9
	s_and_b64 vcc, exec, s[0:1]
	s_cbranch_vccnz .LBB114_530
; %bb.529:
	scratch_load_dwordx4 v[162:165], v8, off
	s_waitcnt vmcnt(0) lgkmcnt(0)
	v_mul_f64 v[10:11], v[2:3], v[164:165]
	v_mul_f64 v[6:7], v[4:5], v[164:165]
	v_fmac_f64_e32 v[10:11], v[4:5], v[162:163]
	v_fma_f64 v[2:3], v[2:3], v[162:163], -v[6:7]
	v_mov_b64_e32 v[4:5], v[10:11]
.LBB114_530:
	v_cmp_ne_u32_e32 vcc, 16, v0
	s_and_saveexec_b64 s[6:7], vcc
	s_cbranch_execz .LBB114_534
; %bb.531:
	v_mov_b32_e32 v7, 0
	v_add_u32_e32 v6, 0x340, v68
	v_add3_u32 v7, v68, v7, 24
	s_mov_b64 s[8:9], 0
	v_mov_b32_e32 v162, v0
.LBB114_532:                            ; =>This Inner Loop Header: Depth=1
	v_add_u32_e32 v10, -8, v7
	scratch_load_dwordx4 v[164:167], v10, off
	ds_read_b128 v[168:171], v6
	v_add_u32_e32 v162, 1, v162
	v_cmp_lt_u32_e32 vcc, 15, v162
	v_add_u32_e32 v6, 16, v6
	v_add_u32_e32 v7, 16, v7
	s_or_b64 s[8:9], vcc, s[8:9]
	s_waitcnt vmcnt(0) lgkmcnt(0)
	v_mul_f64 v[10:11], v[170:171], v[166:167]
	v_mul_f64 v[12:13], v[168:169], v[166:167]
	v_fma_f64 v[10:11], v[168:169], v[164:165], -v[10:11]
	v_fmac_f64_e32 v[12:13], v[170:171], v[164:165]
	v_add_f64 v[2:3], v[2:3], v[10:11]
	v_add_f64 v[4:5], v[4:5], v[12:13]
	s_andn2_b64 exec, exec, s[8:9]
	s_cbranch_execnz .LBB114_532
; %bb.533:
	s_or_b64 exec, exec, s[8:9]
.LBB114_534:
	s_or_b64 exec, exec, s[6:7]
	v_mov_b32_e32 v6, 0
	ds_read_b128 v[162:165], v6 offset:272
	s_waitcnt lgkmcnt(0)
	v_mul_f64 v[6:7], v[4:5], v[164:165]
	v_mul_f64 v[166:167], v[2:3], v[164:165]
	v_fma_f64 v[164:165], v[2:3], v[162:163], -v[6:7]
	v_fmac_f64_e32 v[166:167], v[4:5], v[162:163]
	scratch_store_dwordx4 off, v[164:167], off offset:272
.LBB114_535:
	s_or_b64 exec, exec, s[2:3]
	scratch_load_dwordx4 v[2:5], v144, off
	v_cmp_gt_u32_e32 vcc, 18, v0
	s_waitcnt vmcnt(0)
	ds_write_b128 v9, v[2:5]
	s_waitcnt lgkmcnt(0)
	; wave barrier
	s_waitcnt lgkmcnt(0)
	s_and_saveexec_b64 s[2:3], vcc
	s_cbranch_execz .LBB114_543
; %bb.536:
	ds_read_b128 v[2:5], v9
	s_and_b64 vcc, exec, s[0:1]
	s_cbranch_vccnz .LBB114_538
; %bb.537:
	scratch_load_dwordx4 v[162:165], v8, off
	s_waitcnt vmcnt(0) lgkmcnt(0)
	v_mul_f64 v[10:11], v[2:3], v[164:165]
	v_mul_f64 v[6:7], v[4:5], v[164:165]
	v_fmac_f64_e32 v[10:11], v[4:5], v[162:163]
	v_fma_f64 v[2:3], v[2:3], v[162:163], -v[6:7]
	v_mov_b64_e32 v[4:5], v[10:11]
.LBB114_538:
	v_cmp_ne_u32_e32 vcc, 17, v0
	s_and_saveexec_b64 s[6:7], vcc
	s_cbranch_execz .LBB114_542
; %bb.539:
	v_mov_b32_e32 v7, 0
	v_add_u32_e32 v6, 0x340, v68
	v_add3_u32 v7, v68, v7, 24
	s_mov_b64 s[8:9], 0
	v_mov_b32_e32 v162, v0
.LBB114_540:                            ; =>This Inner Loop Header: Depth=1
	v_add_u32_e32 v10, -8, v7
	scratch_load_dwordx4 v[164:167], v10, off
	ds_read_b128 v[168:171], v6
	v_add_u32_e32 v162, 1, v162
	v_cmp_lt_u32_e32 vcc, 16, v162
	v_add_u32_e32 v6, 16, v6
	v_add_u32_e32 v7, 16, v7
	s_or_b64 s[8:9], vcc, s[8:9]
	s_waitcnt vmcnt(0) lgkmcnt(0)
	v_mul_f64 v[10:11], v[170:171], v[166:167]
	v_mul_f64 v[12:13], v[168:169], v[166:167]
	v_fma_f64 v[10:11], v[168:169], v[164:165], -v[10:11]
	v_fmac_f64_e32 v[12:13], v[170:171], v[164:165]
	v_add_f64 v[2:3], v[2:3], v[10:11]
	v_add_f64 v[4:5], v[4:5], v[12:13]
	s_andn2_b64 exec, exec, s[8:9]
	s_cbranch_execnz .LBB114_540
; %bb.541:
	s_or_b64 exec, exec, s[8:9]
.LBB114_542:
	s_or_b64 exec, exec, s[6:7]
	v_mov_b32_e32 v6, 0
	ds_read_b128 v[162:165], v6 offset:288
	s_waitcnt lgkmcnt(0)
	v_mul_f64 v[6:7], v[4:5], v[164:165]
	v_mul_f64 v[166:167], v[2:3], v[164:165]
	v_fma_f64 v[164:165], v[2:3], v[162:163], -v[6:7]
	v_fmac_f64_e32 v[166:167], v[4:5], v[162:163]
	scratch_store_dwordx4 off, v[164:167], off offset:288
.LBB114_543:
	s_or_b64 exec, exec, s[2:3]
	scratch_load_dwordx4 v[2:5], v143, off
	v_cmp_gt_u32_e32 vcc, 19, v0
	s_waitcnt vmcnt(0)
	ds_write_b128 v9, v[2:5]
	s_waitcnt lgkmcnt(0)
	; wave barrier
	s_waitcnt lgkmcnt(0)
	s_and_saveexec_b64 s[2:3], vcc
	s_cbranch_execz .LBB114_551
; %bb.544:
	ds_read_b128 v[2:5], v9
	s_and_b64 vcc, exec, s[0:1]
	s_cbranch_vccnz .LBB114_546
; %bb.545:
	scratch_load_dwordx4 v[162:165], v8, off
	s_waitcnt vmcnt(0) lgkmcnt(0)
	v_mul_f64 v[10:11], v[2:3], v[164:165]
	v_mul_f64 v[6:7], v[4:5], v[164:165]
	v_fmac_f64_e32 v[10:11], v[4:5], v[162:163]
	v_fma_f64 v[2:3], v[2:3], v[162:163], -v[6:7]
	v_mov_b64_e32 v[4:5], v[10:11]
.LBB114_546:
	v_cmp_ne_u32_e32 vcc, 18, v0
	s_and_saveexec_b64 s[6:7], vcc
	s_cbranch_execz .LBB114_550
; %bb.547:
	v_mov_b32_e32 v7, 0
	v_add_u32_e32 v6, 0x340, v68
	v_add3_u32 v7, v68, v7, 24
	s_mov_b64 s[8:9], 0
	v_mov_b32_e32 v162, v0
.LBB114_548:                            ; =>This Inner Loop Header: Depth=1
	v_add_u32_e32 v10, -8, v7
	scratch_load_dwordx4 v[164:167], v10, off
	ds_read_b128 v[168:171], v6
	v_add_u32_e32 v162, 1, v162
	v_cmp_lt_u32_e32 vcc, 17, v162
	v_add_u32_e32 v6, 16, v6
	v_add_u32_e32 v7, 16, v7
	s_or_b64 s[8:9], vcc, s[8:9]
	s_waitcnt vmcnt(0) lgkmcnt(0)
	v_mul_f64 v[10:11], v[170:171], v[166:167]
	v_mul_f64 v[12:13], v[168:169], v[166:167]
	v_fma_f64 v[10:11], v[168:169], v[164:165], -v[10:11]
	v_fmac_f64_e32 v[12:13], v[170:171], v[164:165]
	v_add_f64 v[2:3], v[2:3], v[10:11]
	v_add_f64 v[4:5], v[4:5], v[12:13]
	s_andn2_b64 exec, exec, s[8:9]
	s_cbranch_execnz .LBB114_548
; %bb.549:
	s_or_b64 exec, exec, s[8:9]
.LBB114_550:
	s_or_b64 exec, exec, s[6:7]
	v_mov_b32_e32 v6, 0
	ds_read_b128 v[162:165], v6 offset:304
	s_waitcnt lgkmcnt(0)
	v_mul_f64 v[6:7], v[4:5], v[164:165]
	v_mul_f64 v[166:167], v[2:3], v[164:165]
	v_fma_f64 v[164:165], v[2:3], v[162:163], -v[6:7]
	v_fmac_f64_e32 v[166:167], v[4:5], v[162:163]
	scratch_store_dwordx4 off, v[164:167], off offset:304
.LBB114_551:
	s_or_b64 exec, exec, s[2:3]
	scratch_load_dwordx4 v[2:5], v142, off
	v_cmp_gt_u32_e32 vcc, 20, v0
	s_waitcnt vmcnt(0)
	ds_write_b128 v9, v[2:5]
	s_waitcnt lgkmcnt(0)
	; wave barrier
	s_waitcnt lgkmcnt(0)
	s_and_saveexec_b64 s[2:3], vcc
	s_cbranch_execz .LBB114_559
; %bb.552:
	ds_read_b128 v[2:5], v9
	s_and_b64 vcc, exec, s[0:1]
	s_cbranch_vccnz .LBB114_554
; %bb.553:
	scratch_load_dwordx4 v[162:165], v8, off
	s_waitcnt vmcnt(0) lgkmcnt(0)
	v_mul_f64 v[10:11], v[2:3], v[164:165]
	v_mul_f64 v[6:7], v[4:5], v[164:165]
	v_fmac_f64_e32 v[10:11], v[4:5], v[162:163]
	v_fma_f64 v[2:3], v[2:3], v[162:163], -v[6:7]
	v_mov_b64_e32 v[4:5], v[10:11]
.LBB114_554:
	v_cmp_ne_u32_e32 vcc, 19, v0
	s_and_saveexec_b64 s[6:7], vcc
	s_cbranch_execz .LBB114_558
; %bb.555:
	v_mov_b32_e32 v7, 0
	v_add_u32_e32 v6, 0x340, v68
	v_add3_u32 v7, v68, v7, 24
	s_mov_b64 s[8:9], 0
	v_mov_b32_e32 v162, v0
.LBB114_556:                            ; =>This Inner Loop Header: Depth=1
	v_add_u32_e32 v10, -8, v7
	scratch_load_dwordx4 v[164:167], v10, off
	ds_read_b128 v[168:171], v6
	v_add_u32_e32 v162, 1, v162
	v_cmp_lt_u32_e32 vcc, 18, v162
	v_add_u32_e32 v6, 16, v6
	v_add_u32_e32 v7, 16, v7
	s_or_b64 s[8:9], vcc, s[8:9]
	s_waitcnt vmcnt(0) lgkmcnt(0)
	v_mul_f64 v[10:11], v[170:171], v[166:167]
	v_mul_f64 v[12:13], v[168:169], v[166:167]
	v_fma_f64 v[10:11], v[168:169], v[164:165], -v[10:11]
	v_fmac_f64_e32 v[12:13], v[170:171], v[164:165]
	v_add_f64 v[2:3], v[2:3], v[10:11]
	v_add_f64 v[4:5], v[4:5], v[12:13]
	s_andn2_b64 exec, exec, s[8:9]
	s_cbranch_execnz .LBB114_556
; %bb.557:
	s_or_b64 exec, exec, s[8:9]
.LBB114_558:
	s_or_b64 exec, exec, s[6:7]
	v_mov_b32_e32 v6, 0
	ds_read_b128 v[162:165], v6 offset:320
	s_waitcnt lgkmcnt(0)
	v_mul_f64 v[6:7], v[4:5], v[164:165]
	v_mul_f64 v[166:167], v[2:3], v[164:165]
	v_fma_f64 v[164:165], v[2:3], v[162:163], -v[6:7]
	v_fmac_f64_e32 v[166:167], v[4:5], v[162:163]
	scratch_store_dwordx4 off, v[164:167], off offset:320
.LBB114_559:
	s_or_b64 exec, exec, s[2:3]
	scratch_load_dwordx4 v[2:5], v141, off
	v_cmp_gt_u32_e32 vcc, 21, v0
	s_waitcnt vmcnt(0)
	ds_write_b128 v9, v[2:5]
	s_waitcnt lgkmcnt(0)
	; wave barrier
	s_waitcnt lgkmcnt(0)
	s_and_saveexec_b64 s[2:3], vcc
	s_cbranch_execz .LBB114_567
; %bb.560:
	ds_read_b128 v[2:5], v9
	s_and_b64 vcc, exec, s[0:1]
	s_cbranch_vccnz .LBB114_562
; %bb.561:
	scratch_load_dwordx4 v[162:165], v8, off
	s_waitcnt vmcnt(0) lgkmcnt(0)
	v_mul_f64 v[10:11], v[2:3], v[164:165]
	v_mul_f64 v[6:7], v[4:5], v[164:165]
	v_fmac_f64_e32 v[10:11], v[4:5], v[162:163]
	v_fma_f64 v[2:3], v[2:3], v[162:163], -v[6:7]
	v_mov_b64_e32 v[4:5], v[10:11]
.LBB114_562:
	v_cmp_ne_u32_e32 vcc, 20, v0
	s_and_saveexec_b64 s[6:7], vcc
	s_cbranch_execz .LBB114_566
; %bb.563:
	v_mov_b32_e32 v7, 0
	v_add_u32_e32 v6, 0x340, v68
	v_add3_u32 v7, v68, v7, 24
	s_mov_b64 s[8:9], 0
	v_mov_b32_e32 v162, v0
.LBB114_564:                            ; =>This Inner Loop Header: Depth=1
	v_add_u32_e32 v10, -8, v7
	scratch_load_dwordx4 v[164:167], v10, off
	ds_read_b128 v[168:171], v6
	v_add_u32_e32 v162, 1, v162
	v_cmp_lt_u32_e32 vcc, 19, v162
	v_add_u32_e32 v6, 16, v6
	v_add_u32_e32 v7, 16, v7
	s_or_b64 s[8:9], vcc, s[8:9]
	s_waitcnt vmcnt(0) lgkmcnt(0)
	v_mul_f64 v[10:11], v[170:171], v[166:167]
	v_mul_f64 v[12:13], v[168:169], v[166:167]
	v_fma_f64 v[10:11], v[168:169], v[164:165], -v[10:11]
	v_fmac_f64_e32 v[12:13], v[170:171], v[164:165]
	v_add_f64 v[2:3], v[2:3], v[10:11]
	v_add_f64 v[4:5], v[4:5], v[12:13]
	s_andn2_b64 exec, exec, s[8:9]
	s_cbranch_execnz .LBB114_564
; %bb.565:
	s_or_b64 exec, exec, s[8:9]
.LBB114_566:
	s_or_b64 exec, exec, s[6:7]
	v_mov_b32_e32 v6, 0
	ds_read_b128 v[162:165], v6 offset:336
	s_waitcnt lgkmcnt(0)
	v_mul_f64 v[6:7], v[4:5], v[164:165]
	v_mul_f64 v[166:167], v[2:3], v[164:165]
	v_fma_f64 v[164:165], v[2:3], v[162:163], -v[6:7]
	v_fmac_f64_e32 v[166:167], v[4:5], v[162:163]
	scratch_store_dwordx4 off, v[164:167], off offset:336
.LBB114_567:
	s_or_b64 exec, exec, s[2:3]
	scratch_load_dwordx4 v[2:5], v140, off
	v_cmp_gt_u32_e32 vcc, 22, v0
	s_waitcnt vmcnt(0)
	ds_write_b128 v9, v[2:5]
	s_waitcnt lgkmcnt(0)
	; wave barrier
	s_waitcnt lgkmcnt(0)
	s_and_saveexec_b64 s[2:3], vcc
	s_cbranch_execz .LBB114_575
; %bb.568:
	ds_read_b128 v[2:5], v9
	s_and_b64 vcc, exec, s[0:1]
	s_cbranch_vccnz .LBB114_570
; %bb.569:
	scratch_load_dwordx4 v[162:165], v8, off
	s_waitcnt vmcnt(0) lgkmcnt(0)
	v_mul_f64 v[10:11], v[2:3], v[164:165]
	v_mul_f64 v[6:7], v[4:5], v[164:165]
	v_fmac_f64_e32 v[10:11], v[4:5], v[162:163]
	v_fma_f64 v[2:3], v[2:3], v[162:163], -v[6:7]
	v_mov_b64_e32 v[4:5], v[10:11]
.LBB114_570:
	v_cmp_ne_u32_e32 vcc, 21, v0
	s_and_saveexec_b64 s[6:7], vcc
	s_cbranch_execz .LBB114_574
; %bb.571:
	v_mov_b32_e32 v7, 0
	v_add_u32_e32 v6, 0x340, v68
	v_add3_u32 v7, v68, v7, 24
	s_mov_b64 s[8:9], 0
	v_mov_b32_e32 v162, v0
.LBB114_572:                            ; =>This Inner Loop Header: Depth=1
	v_add_u32_e32 v10, -8, v7
	scratch_load_dwordx4 v[164:167], v10, off
	ds_read_b128 v[168:171], v6
	v_add_u32_e32 v162, 1, v162
	v_cmp_lt_u32_e32 vcc, 20, v162
	v_add_u32_e32 v6, 16, v6
	v_add_u32_e32 v7, 16, v7
	s_or_b64 s[8:9], vcc, s[8:9]
	s_waitcnt vmcnt(0) lgkmcnt(0)
	v_mul_f64 v[10:11], v[170:171], v[166:167]
	v_mul_f64 v[12:13], v[168:169], v[166:167]
	v_fma_f64 v[10:11], v[168:169], v[164:165], -v[10:11]
	v_fmac_f64_e32 v[12:13], v[170:171], v[164:165]
	v_add_f64 v[2:3], v[2:3], v[10:11]
	v_add_f64 v[4:5], v[4:5], v[12:13]
	s_andn2_b64 exec, exec, s[8:9]
	s_cbranch_execnz .LBB114_572
; %bb.573:
	s_or_b64 exec, exec, s[8:9]
.LBB114_574:
	s_or_b64 exec, exec, s[6:7]
	v_mov_b32_e32 v6, 0
	ds_read_b128 v[162:165], v6 offset:352
	s_waitcnt lgkmcnt(0)
	v_mul_f64 v[6:7], v[4:5], v[164:165]
	v_mul_f64 v[166:167], v[2:3], v[164:165]
	v_fma_f64 v[164:165], v[2:3], v[162:163], -v[6:7]
	v_fmac_f64_e32 v[166:167], v[4:5], v[162:163]
	scratch_store_dwordx4 off, v[164:167], off offset:352
.LBB114_575:
	s_or_b64 exec, exec, s[2:3]
	scratch_load_dwordx4 v[2:5], v139, off
	v_cmp_gt_u32_e32 vcc, 23, v0
	s_waitcnt vmcnt(0)
	ds_write_b128 v9, v[2:5]
	s_waitcnt lgkmcnt(0)
	; wave barrier
	s_waitcnt lgkmcnt(0)
	s_and_saveexec_b64 s[2:3], vcc
	s_cbranch_execz .LBB114_583
; %bb.576:
	ds_read_b128 v[2:5], v9
	s_and_b64 vcc, exec, s[0:1]
	s_cbranch_vccnz .LBB114_578
; %bb.577:
	scratch_load_dwordx4 v[162:165], v8, off
	s_waitcnt vmcnt(0) lgkmcnt(0)
	v_mul_f64 v[10:11], v[2:3], v[164:165]
	v_mul_f64 v[6:7], v[4:5], v[164:165]
	v_fmac_f64_e32 v[10:11], v[4:5], v[162:163]
	v_fma_f64 v[2:3], v[2:3], v[162:163], -v[6:7]
	v_mov_b64_e32 v[4:5], v[10:11]
.LBB114_578:
	v_cmp_ne_u32_e32 vcc, 22, v0
	s_and_saveexec_b64 s[6:7], vcc
	s_cbranch_execz .LBB114_582
; %bb.579:
	v_mov_b32_e32 v7, 0
	v_add_u32_e32 v6, 0x340, v68
	v_add3_u32 v7, v68, v7, 24
	s_mov_b64 s[8:9], 0
	v_mov_b32_e32 v162, v0
.LBB114_580:                            ; =>This Inner Loop Header: Depth=1
	v_add_u32_e32 v10, -8, v7
	scratch_load_dwordx4 v[164:167], v10, off
	ds_read_b128 v[168:171], v6
	v_add_u32_e32 v162, 1, v162
	v_cmp_lt_u32_e32 vcc, 21, v162
	v_add_u32_e32 v6, 16, v6
	v_add_u32_e32 v7, 16, v7
	s_or_b64 s[8:9], vcc, s[8:9]
	s_waitcnt vmcnt(0) lgkmcnt(0)
	v_mul_f64 v[10:11], v[170:171], v[166:167]
	v_mul_f64 v[12:13], v[168:169], v[166:167]
	v_fma_f64 v[10:11], v[168:169], v[164:165], -v[10:11]
	v_fmac_f64_e32 v[12:13], v[170:171], v[164:165]
	v_add_f64 v[2:3], v[2:3], v[10:11]
	v_add_f64 v[4:5], v[4:5], v[12:13]
	s_andn2_b64 exec, exec, s[8:9]
	s_cbranch_execnz .LBB114_580
; %bb.581:
	s_or_b64 exec, exec, s[8:9]
.LBB114_582:
	s_or_b64 exec, exec, s[6:7]
	v_mov_b32_e32 v6, 0
	ds_read_b128 v[162:165], v6 offset:368
	s_waitcnt lgkmcnt(0)
	v_mul_f64 v[6:7], v[4:5], v[164:165]
	v_mul_f64 v[166:167], v[2:3], v[164:165]
	v_fma_f64 v[164:165], v[2:3], v[162:163], -v[6:7]
	v_fmac_f64_e32 v[166:167], v[4:5], v[162:163]
	scratch_store_dwordx4 off, v[164:167], off offset:368
.LBB114_583:
	s_or_b64 exec, exec, s[2:3]
	scratch_load_dwordx4 v[2:5], v138, off
	v_cmp_gt_u32_e32 vcc, 24, v0
	s_waitcnt vmcnt(0)
	ds_write_b128 v9, v[2:5]
	s_waitcnt lgkmcnt(0)
	; wave barrier
	s_waitcnt lgkmcnt(0)
	s_and_saveexec_b64 s[2:3], vcc
	s_cbranch_execz .LBB114_591
; %bb.584:
	ds_read_b128 v[2:5], v9
	s_and_b64 vcc, exec, s[0:1]
	s_cbranch_vccnz .LBB114_586
; %bb.585:
	scratch_load_dwordx4 v[162:165], v8, off
	s_waitcnt vmcnt(0) lgkmcnt(0)
	v_mul_f64 v[10:11], v[2:3], v[164:165]
	v_mul_f64 v[6:7], v[4:5], v[164:165]
	v_fmac_f64_e32 v[10:11], v[4:5], v[162:163]
	v_fma_f64 v[2:3], v[2:3], v[162:163], -v[6:7]
	v_mov_b64_e32 v[4:5], v[10:11]
.LBB114_586:
	v_cmp_ne_u32_e32 vcc, 23, v0
	s_and_saveexec_b64 s[6:7], vcc
	s_cbranch_execz .LBB114_590
; %bb.587:
	v_mov_b32_e32 v7, 0
	v_add_u32_e32 v6, 0x340, v68
	v_add3_u32 v7, v68, v7, 24
	s_mov_b64 s[8:9], 0
	v_mov_b32_e32 v162, v0
.LBB114_588:                            ; =>This Inner Loop Header: Depth=1
	v_add_u32_e32 v10, -8, v7
	scratch_load_dwordx4 v[164:167], v10, off
	ds_read_b128 v[168:171], v6
	v_add_u32_e32 v162, 1, v162
	v_cmp_lt_u32_e32 vcc, 22, v162
	v_add_u32_e32 v6, 16, v6
	v_add_u32_e32 v7, 16, v7
	s_or_b64 s[8:9], vcc, s[8:9]
	s_waitcnt vmcnt(0) lgkmcnt(0)
	v_mul_f64 v[10:11], v[170:171], v[166:167]
	v_mul_f64 v[12:13], v[168:169], v[166:167]
	v_fma_f64 v[10:11], v[168:169], v[164:165], -v[10:11]
	v_fmac_f64_e32 v[12:13], v[170:171], v[164:165]
	v_add_f64 v[2:3], v[2:3], v[10:11]
	v_add_f64 v[4:5], v[4:5], v[12:13]
	s_andn2_b64 exec, exec, s[8:9]
	s_cbranch_execnz .LBB114_588
; %bb.589:
	s_or_b64 exec, exec, s[8:9]
.LBB114_590:
	s_or_b64 exec, exec, s[6:7]
	v_mov_b32_e32 v6, 0
	ds_read_b128 v[162:165], v6 offset:384
	s_waitcnt lgkmcnt(0)
	v_mul_f64 v[6:7], v[4:5], v[164:165]
	v_mul_f64 v[166:167], v[2:3], v[164:165]
	v_fma_f64 v[164:165], v[2:3], v[162:163], -v[6:7]
	v_fmac_f64_e32 v[166:167], v[4:5], v[162:163]
	scratch_store_dwordx4 off, v[164:167], off offset:384
.LBB114_591:
	s_or_b64 exec, exec, s[2:3]
	scratch_load_dwordx4 v[2:5], v137, off
	v_cmp_gt_u32_e32 vcc, 25, v0
	s_waitcnt vmcnt(0)
	ds_write_b128 v9, v[2:5]
	s_waitcnt lgkmcnt(0)
	; wave barrier
	s_waitcnt lgkmcnt(0)
	s_and_saveexec_b64 s[2:3], vcc
	s_cbranch_execz .LBB114_599
; %bb.592:
	ds_read_b128 v[2:5], v9
	s_and_b64 vcc, exec, s[0:1]
	s_cbranch_vccnz .LBB114_594
; %bb.593:
	scratch_load_dwordx4 v[162:165], v8, off
	s_waitcnt vmcnt(0) lgkmcnt(0)
	v_mul_f64 v[10:11], v[2:3], v[164:165]
	v_mul_f64 v[6:7], v[4:5], v[164:165]
	v_fmac_f64_e32 v[10:11], v[4:5], v[162:163]
	v_fma_f64 v[2:3], v[2:3], v[162:163], -v[6:7]
	v_mov_b64_e32 v[4:5], v[10:11]
.LBB114_594:
	v_cmp_ne_u32_e32 vcc, 24, v0
	s_and_saveexec_b64 s[6:7], vcc
	s_cbranch_execz .LBB114_598
; %bb.595:
	v_mov_b32_e32 v7, 0
	v_add_u32_e32 v6, 0x340, v68
	v_add3_u32 v7, v68, v7, 24
	s_mov_b64 s[8:9], 0
	v_mov_b32_e32 v162, v0
.LBB114_596:                            ; =>This Inner Loop Header: Depth=1
	v_add_u32_e32 v10, -8, v7
	scratch_load_dwordx4 v[164:167], v10, off
	ds_read_b128 v[168:171], v6
	v_add_u32_e32 v162, 1, v162
	v_cmp_lt_u32_e32 vcc, 23, v162
	v_add_u32_e32 v6, 16, v6
	v_add_u32_e32 v7, 16, v7
	s_or_b64 s[8:9], vcc, s[8:9]
	s_waitcnt vmcnt(0) lgkmcnt(0)
	v_mul_f64 v[10:11], v[170:171], v[166:167]
	v_mul_f64 v[12:13], v[168:169], v[166:167]
	v_fma_f64 v[10:11], v[168:169], v[164:165], -v[10:11]
	v_fmac_f64_e32 v[12:13], v[170:171], v[164:165]
	v_add_f64 v[2:3], v[2:3], v[10:11]
	v_add_f64 v[4:5], v[4:5], v[12:13]
	s_andn2_b64 exec, exec, s[8:9]
	s_cbranch_execnz .LBB114_596
; %bb.597:
	s_or_b64 exec, exec, s[8:9]
.LBB114_598:
	s_or_b64 exec, exec, s[6:7]
	v_mov_b32_e32 v6, 0
	ds_read_b128 v[162:165], v6 offset:400
	s_waitcnt lgkmcnt(0)
	v_mul_f64 v[6:7], v[4:5], v[164:165]
	v_mul_f64 v[166:167], v[2:3], v[164:165]
	v_fma_f64 v[164:165], v[2:3], v[162:163], -v[6:7]
	v_fmac_f64_e32 v[166:167], v[4:5], v[162:163]
	scratch_store_dwordx4 off, v[164:167], off offset:400
.LBB114_599:
	s_or_b64 exec, exec, s[2:3]
	scratch_load_dwordx4 v[2:5], v136, off
	v_cmp_gt_u32_e32 vcc, 26, v0
	s_waitcnt vmcnt(0)
	ds_write_b128 v9, v[2:5]
	s_waitcnt lgkmcnt(0)
	; wave barrier
	s_waitcnt lgkmcnt(0)
	s_and_saveexec_b64 s[2:3], vcc
	s_cbranch_execz .LBB114_607
; %bb.600:
	ds_read_b128 v[2:5], v9
	s_and_b64 vcc, exec, s[0:1]
	s_cbranch_vccnz .LBB114_602
; %bb.601:
	scratch_load_dwordx4 v[162:165], v8, off
	s_waitcnt vmcnt(0) lgkmcnt(0)
	v_mul_f64 v[10:11], v[2:3], v[164:165]
	v_mul_f64 v[6:7], v[4:5], v[164:165]
	v_fmac_f64_e32 v[10:11], v[4:5], v[162:163]
	v_fma_f64 v[2:3], v[2:3], v[162:163], -v[6:7]
	v_mov_b64_e32 v[4:5], v[10:11]
.LBB114_602:
	v_cmp_ne_u32_e32 vcc, 25, v0
	s_and_saveexec_b64 s[6:7], vcc
	s_cbranch_execz .LBB114_606
; %bb.603:
	v_mov_b32_e32 v7, 0
	v_add_u32_e32 v6, 0x340, v68
	v_add3_u32 v7, v68, v7, 24
	s_mov_b64 s[8:9], 0
	v_mov_b32_e32 v162, v0
.LBB114_604:                            ; =>This Inner Loop Header: Depth=1
	v_add_u32_e32 v10, -8, v7
	scratch_load_dwordx4 v[164:167], v10, off
	ds_read_b128 v[168:171], v6
	v_add_u32_e32 v162, 1, v162
	v_cmp_lt_u32_e32 vcc, 24, v162
	v_add_u32_e32 v6, 16, v6
	v_add_u32_e32 v7, 16, v7
	s_or_b64 s[8:9], vcc, s[8:9]
	s_waitcnt vmcnt(0) lgkmcnt(0)
	v_mul_f64 v[10:11], v[170:171], v[166:167]
	v_mul_f64 v[12:13], v[168:169], v[166:167]
	v_fma_f64 v[10:11], v[168:169], v[164:165], -v[10:11]
	v_fmac_f64_e32 v[12:13], v[170:171], v[164:165]
	v_add_f64 v[2:3], v[2:3], v[10:11]
	v_add_f64 v[4:5], v[4:5], v[12:13]
	s_andn2_b64 exec, exec, s[8:9]
	s_cbranch_execnz .LBB114_604
; %bb.605:
	s_or_b64 exec, exec, s[8:9]
.LBB114_606:
	s_or_b64 exec, exec, s[6:7]
	v_mov_b32_e32 v6, 0
	ds_read_b128 v[162:165], v6 offset:416
	s_waitcnt lgkmcnt(0)
	v_mul_f64 v[6:7], v[4:5], v[164:165]
	v_mul_f64 v[166:167], v[2:3], v[164:165]
	v_fma_f64 v[164:165], v[2:3], v[162:163], -v[6:7]
	v_fmac_f64_e32 v[166:167], v[4:5], v[162:163]
	scratch_store_dwordx4 off, v[164:167], off offset:416
.LBB114_607:
	s_or_b64 exec, exec, s[2:3]
	scratch_load_dwordx4 v[2:5], v135, off
	v_cmp_gt_u32_e32 vcc, 27, v0
	s_waitcnt vmcnt(0)
	ds_write_b128 v9, v[2:5]
	s_waitcnt lgkmcnt(0)
	; wave barrier
	s_waitcnt lgkmcnt(0)
	s_and_saveexec_b64 s[2:3], vcc
	s_cbranch_execz .LBB114_615
; %bb.608:
	ds_read_b128 v[2:5], v9
	s_and_b64 vcc, exec, s[0:1]
	s_cbranch_vccnz .LBB114_610
; %bb.609:
	scratch_load_dwordx4 v[162:165], v8, off
	s_waitcnt vmcnt(0) lgkmcnt(0)
	v_mul_f64 v[10:11], v[2:3], v[164:165]
	v_mul_f64 v[6:7], v[4:5], v[164:165]
	v_fmac_f64_e32 v[10:11], v[4:5], v[162:163]
	v_fma_f64 v[2:3], v[2:3], v[162:163], -v[6:7]
	v_mov_b64_e32 v[4:5], v[10:11]
.LBB114_610:
	v_cmp_ne_u32_e32 vcc, 26, v0
	s_and_saveexec_b64 s[6:7], vcc
	s_cbranch_execz .LBB114_614
; %bb.611:
	v_mov_b32_e32 v7, 0
	v_add_u32_e32 v6, 0x340, v68
	v_add3_u32 v7, v68, v7, 24
	s_mov_b64 s[8:9], 0
	v_mov_b32_e32 v162, v0
.LBB114_612:                            ; =>This Inner Loop Header: Depth=1
	v_add_u32_e32 v10, -8, v7
	scratch_load_dwordx4 v[164:167], v10, off
	ds_read_b128 v[168:171], v6
	v_add_u32_e32 v162, 1, v162
	v_cmp_lt_u32_e32 vcc, 25, v162
	v_add_u32_e32 v6, 16, v6
	v_add_u32_e32 v7, 16, v7
	s_or_b64 s[8:9], vcc, s[8:9]
	s_waitcnt vmcnt(0) lgkmcnt(0)
	v_mul_f64 v[10:11], v[170:171], v[166:167]
	v_mul_f64 v[12:13], v[168:169], v[166:167]
	v_fma_f64 v[10:11], v[168:169], v[164:165], -v[10:11]
	v_fmac_f64_e32 v[12:13], v[170:171], v[164:165]
	v_add_f64 v[2:3], v[2:3], v[10:11]
	v_add_f64 v[4:5], v[4:5], v[12:13]
	s_andn2_b64 exec, exec, s[8:9]
	s_cbranch_execnz .LBB114_612
; %bb.613:
	s_or_b64 exec, exec, s[8:9]
.LBB114_614:
	s_or_b64 exec, exec, s[6:7]
	v_mov_b32_e32 v6, 0
	ds_read_b128 v[162:165], v6 offset:432
	s_waitcnt lgkmcnt(0)
	v_mul_f64 v[6:7], v[4:5], v[164:165]
	v_mul_f64 v[166:167], v[2:3], v[164:165]
	v_fma_f64 v[164:165], v[2:3], v[162:163], -v[6:7]
	v_fmac_f64_e32 v[166:167], v[4:5], v[162:163]
	scratch_store_dwordx4 off, v[164:167], off offset:432
.LBB114_615:
	s_or_b64 exec, exec, s[2:3]
	scratch_load_dwordx4 v[2:5], v134, off
	v_cmp_gt_u32_e32 vcc, 28, v0
	s_waitcnt vmcnt(0)
	ds_write_b128 v9, v[2:5]
	s_waitcnt lgkmcnt(0)
	; wave barrier
	s_waitcnt lgkmcnt(0)
	s_and_saveexec_b64 s[2:3], vcc
	s_cbranch_execz .LBB114_623
; %bb.616:
	ds_read_b128 v[2:5], v9
	s_and_b64 vcc, exec, s[0:1]
	s_cbranch_vccnz .LBB114_618
; %bb.617:
	scratch_load_dwordx4 v[162:165], v8, off
	s_waitcnt vmcnt(0) lgkmcnt(0)
	v_mul_f64 v[10:11], v[2:3], v[164:165]
	v_mul_f64 v[6:7], v[4:5], v[164:165]
	v_fmac_f64_e32 v[10:11], v[4:5], v[162:163]
	v_fma_f64 v[2:3], v[2:3], v[162:163], -v[6:7]
	v_mov_b64_e32 v[4:5], v[10:11]
.LBB114_618:
	v_cmp_ne_u32_e32 vcc, 27, v0
	s_and_saveexec_b64 s[6:7], vcc
	s_cbranch_execz .LBB114_622
; %bb.619:
	v_mov_b32_e32 v7, 0
	v_add_u32_e32 v6, 0x340, v68
	v_add3_u32 v7, v68, v7, 24
	s_mov_b64 s[8:9], 0
	v_mov_b32_e32 v162, v0
.LBB114_620:                            ; =>This Inner Loop Header: Depth=1
	v_add_u32_e32 v10, -8, v7
	scratch_load_dwordx4 v[164:167], v10, off
	ds_read_b128 v[168:171], v6
	v_add_u32_e32 v162, 1, v162
	v_cmp_lt_u32_e32 vcc, 26, v162
	v_add_u32_e32 v6, 16, v6
	v_add_u32_e32 v7, 16, v7
	s_or_b64 s[8:9], vcc, s[8:9]
	s_waitcnt vmcnt(0) lgkmcnt(0)
	v_mul_f64 v[10:11], v[170:171], v[166:167]
	v_mul_f64 v[12:13], v[168:169], v[166:167]
	v_fma_f64 v[10:11], v[168:169], v[164:165], -v[10:11]
	v_fmac_f64_e32 v[12:13], v[170:171], v[164:165]
	v_add_f64 v[2:3], v[2:3], v[10:11]
	v_add_f64 v[4:5], v[4:5], v[12:13]
	s_andn2_b64 exec, exec, s[8:9]
	s_cbranch_execnz .LBB114_620
; %bb.621:
	s_or_b64 exec, exec, s[8:9]
.LBB114_622:
	s_or_b64 exec, exec, s[6:7]
	v_mov_b32_e32 v6, 0
	ds_read_b128 v[162:165], v6 offset:448
	s_waitcnt lgkmcnt(0)
	v_mul_f64 v[6:7], v[4:5], v[164:165]
	v_mul_f64 v[166:167], v[2:3], v[164:165]
	v_fma_f64 v[164:165], v[2:3], v[162:163], -v[6:7]
	v_fmac_f64_e32 v[166:167], v[4:5], v[162:163]
	scratch_store_dwordx4 off, v[164:167], off offset:448
.LBB114_623:
	s_or_b64 exec, exec, s[2:3]
	scratch_load_dwordx4 v[2:5], v133, off
	v_cmp_gt_u32_e32 vcc, 29, v0
	s_waitcnt vmcnt(0)
	ds_write_b128 v9, v[2:5]
	s_waitcnt lgkmcnt(0)
	; wave barrier
	s_waitcnt lgkmcnt(0)
	s_and_saveexec_b64 s[2:3], vcc
	s_cbranch_execz .LBB114_631
; %bb.624:
	ds_read_b128 v[2:5], v9
	s_and_b64 vcc, exec, s[0:1]
	s_cbranch_vccnz .LBB114_626
; %bb.625:
	scratch_load_dwordx4 v[162:165], v8, off
	s_waitcnt vmcnt(0) lgkmcnt(0)
	v_mul_f64 v[10:11], v[2:3], v[164:165]
	v_mul_f64 v[6:7], v[4:5], v[164:165]
	v_fmac_f64_e32 v[10:11], v[4:5], v[162:163]
	v_fma_f64 v[2:3], v[2:3], v[162:163], -v[6:7]
	v_mov_b64_e32 v[4:5], v[10:11]
.LBB114_626:
	v_cmp_ne_u32_e32 vcc, 28, v0
	s_and_saveexec_b64 s[6:7], vcc
	s_cbranch_execz .LBB114_630
; %bb.627:
	v_mov_b32_e32 v7, 0
	v_add_u32_e32 v6, 0x340, v68
	v_add3_u32 v7, v68, v7, 24
	s_mov_b64 s[8:9], 0
	v_mov_b32_e32 v162, v0
.LBB114_628:                            ; =>This Inner Loop Header: Depth=1
	v_add_u32_e32 v10, -8, v7
	scratch_load_dwordx4 v[164:167], v10, off
	ds_read_b128 v[168:171], v6
	v_add_u32_e32 v162, 1, v162
	v_cmp_lt_u32_e32 vcc, 27, v162
	v_add_u32_e32 v6, 16, v6
	v_add_u32_e32 v7, 16, v7
	s_or_b64 s[8:9], vcc, s[8:9]
	s_waitcnt vmcnt(0) lgkmcnt(0)
	v_mul_f64 v[10:11], v[170:171], v[166:167]
	v_mul_f64 v[12:13], v[168:169], v[166:167]
	v_fma_f64 v[10:11], v[168:169], v[164:165], -v[10:11]
	v_fmac_f64_e32 v[12:13], v[170:171], v[164:165]
	v_add_f64 v[2:3], v[2:3], v[10:11]
	v_add_f64 v[4:5], v[4:5], v[12:13]
	s_andn2_b64 exec, exec, s[8:9]
	s_cbranch_execnz .LBB114_628
; %bb.629:
	s_or_b64 exec, exec, s[8:9]
.LBB114_630:
	s_or_b64 exec, exec, s[6:7]
	v_mov_b32_e32 v6, 0
	ds_read_b128 v[162:165], v6 offset:464
	s_waitcnt lgkmcnt(0)
	v_mul_f64 v[6:7], v[4:5], v[164:165]
	v_mul_f64 v[166:167], v[2:3], v[164:165]
	v_fma_f64 v[164:165], v[2:3], v[162:163], -v[6:7]
	v_fmac_f64_e32 v[166:167], v[4:5], v[162:163]
	scratch_store_dwordx4 off, v[164:167], off offset:464
.LBB114_631:
	s_or_b64 exec, exec, s[2:3]
	scratch_load_dwordx4 v[2:5], v132, off
	v_cmp_gt_u32_e32 vcc, 30, v0
	s_waitcnt vmcnt(0)
	ds_write_b128 v9, v[2:5]
	s_waitcnt lgkmcnt(0)
	; wave barrier
	s_waitcnt lgkmcnt(0)
	s_and_saveexec_b64 s[2:3], vcc
	s_cbranch_execz .LBB114_639
; %bb.632:
	ds_read_b128 v[2:5], v9
	s_and_b64 vcc, exec, s[0:1]
	s_cbranch_vccnz .LBB114_634
; %bb.633:
	scratch_load_dwordx4 v[162:165], v8, off
	s_waitcnt vmcnt(0) lgkmcnt(0)
	v_mul_f64 v[10:11], v[2:3], v[164:165]
	v_mul_f64 v[6:7], v[4:5], v[164:165]
	v_fmac_f64_e32 v[10:11], v[4:5], v[162:163]
	v_fma_f64 v[2:3], v[2:3], v[162:163], -v[6:7]
	v_mov_b64_e32 v[4:5], v[10:11]
.LBB114_634:
	v_cmp_ne_u32_e32 vcc, 29, v0
	s_and_saveexec_b64 s[6:7], vcc
	s_cbranch_execz .LBB114_638
; %bb.635:
	v_mov_b32_e32 v7, 0
	v_add_u32_e32 v6, 0x340, v68
	v_add3_u32 v7, v68, v7, 24
	s_mov_b64 s[8:9], 0
	v_mov_b32_e32 v162, v0
.LBB114_636:                            ; =>This Inner Loop Header: Depth=1
	v_add_u32_e32 v10, -8, v7
	scratch_load_dwordx4 v[164:167], v10, off
	ds_read_b128 v[168:171], v6
	v_add_u32_e32 v162, 1, v162
	v_cmp_lt_u32_e32 vcc, 28, v162
	v_add_u32_e32 v6, 16, v6
	v_add_u32_e32 v7, 16, v7
	s_or_b64 s[8:9], vcc, s[8:9]
	s_waitcnt vmcnt(0) lgkmcnt(0)
	v_mul_f64 v[10:11], v[170:171], v[166:167]
	v_mul_f64 v[12:13], v[168:169], v[166:167]
	v_fma_f64 v[10:11], v[168:169], v[164:165], -v[10:11]
	v_fmac_f64_e32 v[12:13], v[170:171], v[164:165]
	v_add_f64 v[2:3], v[2:3], v[10:11]
	v_add_f64 v[4:5], v[4:5], v[12:13]
	s_andn2_b64 exec, exec, s[8:9]
	s_cbranch_execnz .LBB114_636
; %bb.637:
	s_or_b64 exec, exec, s[8:9]
.LBB114_638:
	s_or_b64 exec, exec, s[6:7]
	v_mov_b32_e32 v6, 0
	ds_read_b128 v[162:165], v6 offset:480
	s_waitcnt lgkmcnt(0)
	v_mul_f64 v[6:7], v[4:5], v[164:165]
	v_mul_f64 v[166:167], v[2:3], v[164:165]
	v_fma_f64 v[164:165], v[2:3], v[162:163], -v[6:7]
	v_fmac_f64_e32 v[166:167], v[4:5], v[162:163]
	scratch_store_dwordx4 off, v[164:167], off offset:480
.LBB114_639:
	s_or_b64 exec, exec, s[2:3]
	scratch_load_dwordx4 v[2:5], v131, off
	v_cmp_gt_u32_e32 vcc, 31, v0
	s_waitcnt vmcnt(0)
	ds_write_b128 v9, v[2:5]
	s_waitcnt lgkmcnt(0)
	; wave barrier
	s_waitcnt lgkmcnt(0)
	s_and_saveexec_b64 s[2:3], vcc
	s_cbranch_execz .LBB114_647
; %bb.640:
	ds_read_b128 v[2:5], v9
	s_and_b64 vcc, exec, s[0:1]
	s_cbranch_vccnz .LBB114_642
; %bb.641:
	scratch_load_dwordx4 v[162:165], v8, off
	s_waitcnt vmcnt(0) lgkmcnt(0)
	v_mul_f64 v[10:11], v[2:3], v[164:165]
	v_mul_f64 v[6:7], v[4:5], v[164:165]
	v_fmac_f64_e32 v[10:11], v[4:5], v[162:163]
	v_fma_f64 v[2:3], v[2:3], v[162:163], -v[6:7]
	v_mov_b64_e32 v[4:5], v[10:11]
.LBB114_642:
	v_cmp_ne_u32_e32 vcc, 30, v0
	s_and_saveexec_b64 s[6:7], vcc
	s_cbranch_execz .LBB114_646
; %bb.643:
	v_mov_b32_e32 v7, 0
	v_add_u32_e32 v6, 0x340, v68
	v_add3_u32 v7, v68, v7, 24
	s_mov_b64 s[8:9], 0
	v_mov_b32_e32 v162, v0
.LBB114_644:                            ; =>This Inner Loop Header: Depth=1
	v_add_u32_e32 v10, -8, v7
	scratch_load_dwordx4 v[164:167], v10, off
	ds_read_b128 v[168:171], v6
	v_add_u32_e32 v162, 1, v162
	v_cmp_lt_u32_e32 vcc, 29, v162
	v_add_u32_e32 v6, 16, v6
	v_add_u32_e32 v7, 16, v7
	s_or_b64 s[8:9], vcc, s[8:9]
	s_waitcnt vmcnt(0) lgkmcnt(0)
	v_mul_f64 v[10:11], v[170:171], v[166:167]
	v_mul_f64 v[12:13], v[168:169], v[166:167]
	v_fma_f64 v[10:11], v[168:169], v[164:165], -v[10:11]
	v_fmac_f64_e32 v[12:13], v[170:171], v[164:165]
	v_add_f64 v[2:3], v[2:3], v[10:11]
	v_add_f64 v[4:5], v[4:5], v[12:13]
	s_andn2_b64 exec, exec, s[8:9]
	s_cbranch_execnz .LBB114_644
; %bb.645:
	s_or_b64 exec, exec, s[8:9]
.LBB114_646:
	s_or_b64 exec, exec, s[6:7]
	v_mov_b32_e32 v6, 0
	ds_read_b128 v[162:165], v6 offset:496
	s_waitcnt lgkmcnt(0)
	v_mul_f64 v[6:7], v[4:5], v[164:165]
	v_mul_f64 v[166:167], v[2:3], v[164:165]
	v_fma_f64 v[164:165], v[2:3], v[162:163], -v[6:7]
	v_fmac_f64_e32 v[166:167], v[4:5], v[162:163]
	scratch_store_dwordx4 off, v[164:167], off offset:496
.LBB114_647:
	s_or_b64 exec, exec, s[2:3]
	scratch_load_dwordx4 v[2:5], v130, off
	v_cmp_gt_u32_e32 vcc, 32, v0
	s_waitcnt vmcnt(0)
	ds_write_b128 v9, v[2:5]
	s_waitcnt lgkmcnt(0)
	; wave barrier
	s_waitcnt lgkmcnt(0)
	s_and_saveexec_b64 s[2:3], vcc
	s_cbranch_execz .LBB114_655
; %bb.648:
	ds_read_b128 v[2:5], v9
	s_and_b64 vcc, exec, s[0:1]
	s_cbranch_vccnz .LBB114_650
; %bb.649:
	scratch_load_dwordx4 v[162:165], v8, off
	s_waitcnt vmcnt(0) lgkmcnt(0)
	v_mul_f64 v[10:11], v[2:3], v[164:165]
	v_mul_f64 v[6:7], v[4:5], v[164:165]
	v_fmac_f64_e32 v[10:11], v[4:5], v[162:163]
	v_fma_f64 v[2:3], v[2:3], v[162:163], -v[6:7]
	v_mov_b64_e32 v[4:5], v[10:11]
.LBB114_650:
	v_cmp_ne_u32_e32 vcc, 31, v0
	s_and_saveexec_b64 s[6:7], vcc
	s_cbranch_execz .LBB114_654
; %bb.651:
	v_mov_b32_e32 v7, 0
	v_add_u32_e32 v6, 0x340, v68
	v_add3_u32 v7, v68, v7, 24
	s_mov_b64 s[8:9], 0
	v_mov_b32_e32 v162, v0
.LBB114_652:                            ; =>This Inner Loop Header: Depth=1
	v_add_u32_e32 v10, -8, v7
	scratch_load_dwordx4 v[164:167], v10, off
	ds_read_b128 v[168:171], v6
	v_add_u32_e32 v162, 1, v162
	v_cmp_lt_u32_e32 vcc, 30, v162
	v_add_u32_e32 v6, 16, v6
	v_add_u32_e32 v7, 16, v7
	s_or_b64 s[8:9], vcc, s[8:9]
	s_waitcnt vmcnt(0) lgkmcnt(0)
	v_mul_f64 v[10:11], v[170:171], v[166:167]
	v_mul_f64 v[12:13], v[168:169], v[166:167]
	v_fma_f64 v[10:11], v[168:169], v[164:165], -v[10:11]
	v_fmac_f64_e32 v[12:13], v[170:171], v[164:165]
	v_add_f64 v[2:3], v[2:3], v[10:11]
	v_add_f64 v[4:5], v[4:5], v[12:13]
	s_andn2_b64 exec, exec, s[8:9]
	s_cbranch_execnz .LBB114_652
; %bb.653:
	s_or_b64 exec, exec, s[8:9]
.LBB114_654:
	s_or_b64 exec, exec, s[6:7]
	v_mov_b32_e32 v6, 0
	ds_read_b128 v[162:165], v6 offset:512
	s_waitcnt lgkmcnt(0)
	v_mul_f64 v[6:7], v[4:5], v[164:165]
	v_mul_f64 v[166:167], v[2:3], v[164:165]
	v_fma_f64 v[164:165], v[2:3], v[162:163], -v[6:7]
	v_fmac_f64_e32 v[166:167], v[4:5], v[162:163]
	scratch_store_dwordx4 off, v[164:167], off offset:512
.LBB114_655:
	s_or_b64 exec, exec, s[2:3]
	scratch_load_dwordx4 v[2:5], v129, off
	v_cmp_gt_u32_e32 vcc, 33, v0
	s_waitcnt vmcnt(0)
	ds_write_b128 v9, v[2:5]
	s_waitcnt lgkmcnt(0)
	; wave barrier
	s_waitcnt lgkmcnt(0)
	s_and_saveexec_b64 s[2:3], vcc
	s_cbranch_execz .LBB114_663
; %bb.656:
	ds_read_b128 v[2:5], v9
	s_and_b64 vcc, exec, s[0:1]
	s_cbranch_vccnz .LBB114_658
; %bb.657:
	scratch_load_dwordx4 v[162:165], v8, off
	s_waitcnt vmcnt(0) lgkmcnt(0)
	v_mul_f64 v[10:11], v[2:3], v[164:165]
	v_mul_f64 v[6:7], v[4:5], v[164:165]
	v_fmac_f64_e32 v[10:11], v[4:5], v[162:163]
	v_fma_f64 v[2:3], v[2:3], v[162:163], -v[6:7]
	v_mov_b64_e32 v[4:5], v[10:11]
.LBB114_658:
	v_cmp_ne_u32_e32 vcc, 32, v0
	s_and_saveexec_b64 s[6:7], vcc
	s_cbranch_execz .LBB114_662
; %bb.659:
	v_mov_b32_e32 v7, 0
	v_add_u32_e32 v6, 0x340, v68
	v_add3_u32 v7, v68, v7, 24
	s_mov_b64 s[8:9], 0
	v_mov_b32_e32 v162, v0
.LBB114_660:                            ; =>This Inner Loop Header: Depth=1
	v_add_u32_e32 v10, -8, v7
	scratch_load_dwordx4 v[164:167], v10, off
	ds_read_b128 v[168:171], v6
	v_add_u32_e32 v162, 1, v162
	v_cmp_lt_u32_e32 vcc, 31, v162
	v_add_u32_e32 v6, 16, v6
	v_add_u32_e32 v7, 16, v7
	s_or_b64 s[8:9], vcc, s[8:9]
	s_waitcnt vmcnt(0) lgkmcnt(0)
	v_mul_f64 v[10:11], v[170:171], v[166:167]
	v_mul_f64 v[12:13], v[168:169], v[166:167]
	v_fma_f64 v[10:11], v[168:169], v[164:165], -v[10:11]
	v_fmac_f64_e32 v[12:13], v[170:171], v[164:165]
	v_add_f64 v[2:3], v[2:3], v[10:11]
	v_add_f64 v[4:5], v[4:5], v[12:13]
	s_andn2_b64 exec, exec, s[8:9]
	s_cbranch_execnz .LBB114_660
; %bb.661:
	s_or_b64 exec, exec, s[8:9]
.LBB114_662:
	s_or_b64 exec, exec, s[6:7]
	v_mov_b32_e32 v6, 0
	ds_read_b128 v[162:165], v6 offset:528
	s_waitcnt lgkmcnt(0)
	v_mul_f64 v[6:7], v[4:5], v[164:165]
	v_mul_f64 v[166:167], v[2:3], v[164:165]
	v_fma_f64 v[164:165], v[2:3], v[162:163], -v[6:7]
	v_fmac_f64_e32 v[166:167], v[4:5], v[162:163]
	scratch_store_dwordx4 off, v[164:167], off offset:528
.LBB114_663:
	s_or_b64 exec, exec, s[2:3]
	scratch_load_dwordx4 v[2:5], v128, off
	v_cmp_gt_u32_e32 vcc, 34, v0
	s_waitcnt vmcnt(0)
	ds_write_b128 v9, v[2:5]
	s_waitcnt lgkmcnt(0)
	; wave barrier
	s_waitcnt lgkmcnt(0)
	s_and_saveexec_b64 s[2:3], vcc
	s_cbranch_execz .LBB114_671
; %bb.664:
	ds_read_b128 v[2:5], v9
	s_and_b64 vcc, exec, s[0:1]
	s_cbranch_vccnz .LBB114_666
; %bb.665:
	scratch_load_dwordx4 v[162:165], v8, off
	s_waitcnt vmcnt(0) lgkmcnt(0)
	v_mul_f64 v[10:11], v[2:3], v[164:165]
	v_mul_f64 v[6:7], v[4:5], v[164:165]
	v_fmac_f64_e32 v[10:11], v[4:5], v[162:163]
	v_fma_f64 v[2:3], v[2:3], v[162:163], -v[6:7]
	v_mov_b64_e32 v[4:5], v[10:11]
.LBB114_666:
	v_cmp_ne_u32_e32 vcc, 33, v0
	s_and_saveexec_b64 s[6:7], vcc
	s_cbranch_execz .LBB114_670
; %bb.667:
	v_mov_b32_e32 v7, 0
	v_add_u32_e32 v6, 0x340, v68
	v_add3_u32 v7, v68, v7, 24
	s_mov_b64 s[8:9], 0
	v_mov_b32_e32 v162, v0
.LBB114_668:                            ; =>This Inner Loop Header: Depth=1
	v_add_u32_e32 v10, -8, v7
	scratch_load_dwordx4 v[164:167], v10, off
	ds_read_b128 v[168:171], v6
	v_add_u32_e32 v162, 1, v162
	v_cmp_lt_u32_e32 vcc, 32, v162
	v_add_u32_e32 v6, 16, v6
	v_add_u32_e32 v7, 16, v7
	s_or_b64 s[8:9], vcc, s[8:9]
	s_waitcnt vmcnt(0) lgkmcnt(0)
	v_mul_f64 v[10:11], v[170:171], v[166:167]
	v_mul_f64 v[12:13], v[168:169], v[166:167]
	v_fma_f64 v[10:11], v[168:169], v[164:165], -v[10:11]
	v_fmac_f64_e32 v[12:13], v[170:171], v[164:165]
	v_add_f64 v[2:3], v[2:3], v[10:11]
	v_add_f64 v[4:5], v[4:5], v[12:13]
	s_andn2_b64 exec, exec, s[8:9]
	s_cbranch_execnz .LBB114_668
; %bb.669:
	s_or_b64 exec, exec, s[8:9]
.LBB114_670:
	s_or_b64 exec, exec, s[6:7]
	v_mov_b32_e32 v6, 0
	ds_read_b128 v[162:165], v6 offset:544
	s_waitcnt lgkmcnt(0)
	v_mul_f64 v[6:7], v[4:5], v[164:165]
	v_mul_f64 v[166:167], v[2:3], v[164:165]
	v_fma_f64 v[164:165], v[2:3], v[162:163], -v[6:7]
	v_fmac_f64_e32 v[166:167], v[4:5], v[162:163]
	scratch_store_dwordx4 off, v[164:167], off offset:544
.LBB114_671:
	s_or_b64 exec, exec, s[2:3]
	scratch_load_dwordx4 v[2:5], v127, off
	v_cmp_gt_u32_e32 vcc, 35, v0
	s_waitcnt vmcnt(0)
	ds_write_b128 v9, v[2:5]
	s_waitcnt lgkmcnt(0)
	; wave barrier
	s_waitcnt lgkmcnt(0)
	s_and_saveexec_b64 s[2:3], vcc
	s_cbranch_execz .LBB114_679
; %bb.672:
	ds_read_b128 v[2:5], v9
	s_and_b64 vcc, exec, s[0:1]
	s_cbranch_vccnz .LBB114_674
; %bb.673:
	scratch_load_dwordx4 v[162:165], v8, off
	s_waitcnt vmcnt(0) lgkmcnt(0)
	v_mul_f64 v[10:11], v[2:3], v[164:165]
	v_mul_f64 v[6:7], v[4:5], v[164:165]
	v_fmac_f64_e32 v[10:11], v[4:5], v[162:163]
	v_fma_f64 v[2:3], v[2:3], v[162:163], -v[6:7]
	v_mov_b64_e32 v[4:5], v[10:11]
.LBB114_674:
	v_cmp_ne_u32_e32 vcc, 34, v0
	s_and_saveexec_b64 s[6:7], vcc
	s_cbranch_execz .LBB114_678
; %bb.675:
	v_mov_b32_e32 v7, 0
	v_add_u32_e32 v6, 0x340, v68
	v_add3_u32 v7, v68, v7, 24
	s_mov_b64 s[8:9], 0
	v_mov_b32_e32 v162, v0
.LBB114_676:                            ; =>This Inner Loop Header: Depth=1
	v_add_u32_e32 v10, -8, v7
	scratch_load_dwordx4 v[164:167], v10, off
	ds_read_b128 v[168:171], v6
	v_add_u32_e32 v162, 1, v162
	v_cmp_lt_u32_e32 vcc, 33, v162
	v_add_u32_e32 v6, 16, v6
	v_add_u32_e32 v7, 16, v7
	s_or_b64 s[8:9], vcc, s[8:9]
	s_waitcnt vmcnt(0) lgkmcnt(0)
	v_mul_f64 v[10:11], v[170:171], v[166:167]
	v_mul_f64 v[12:13], v[168:169], v[166:167]
	v_fma_f64 v[10:11], v[168:169], v[164:165], -v[10:11]
	v_fmac_f64_e32 v[12:13], v[170:171], v[164:165]
	v_add_f64 v[2:3], v[2:3], v[10:11]
	v_add_f64 v[4:5], v[4:5], v[12:13]
	s_andn2_b64 exec, exec, s[8:9]
	s_cbranch_execnz .LBB114_676
; %bb.677:
	s_or_b64 exec, exec, s[8:9]
.LBB114_678:
	s_or_b64 exec, exec, s[6:7]
	v_mov_b32_e32 v6, 0
	ds_read_b128 v[162:165], v6 offset:560
	s_waitcnt lgkmcnt(0)
	v_mul_f64 v[6:7], v[4:5], v[164:165]
	v_mul_f64 v[166:167], v[2:3], v[164:165]
	v_fma_f64 v[164:165], v[2:3], v[162:163], -v[6:7]
	v_fmac_f64_e32 v[166:167], v[4:5], v[162:163]
	scratch_store_dwordx4 off, v[164:167], off offset:560
.LBB114_679:
	s_or_b64 exec, exec, s[2:3]
	scratch_load_dwordx4 v[2:5], v126, off
	v_cmp_gt_u32_e32 vcc, 36, v0
	s_waitcnt vmcnt(0)
	ds_write_b128 v9, v[2:5]
	s_waitcnt lgkmcnt(0)
	; wave barrier
	s_waitcnt lgkmcnt(0)
	s_and_saveexec_b64 s[2:3], vcc
	s_cbranch_execz .LBB114_687
; %bb.680:
	ds_read_b128 v[2:5], v9
	s_and_b64 vcc, exec, s[0:1]
	s_cbranch_vccnz .LBB114_682
; %bb.681:
	scratch_load_dwordx4 v[162:165], v8, off
	s_waitcnt vmcnt(0) lgkmcnt(0)
	v_mul_f64 v[10:11], v[2:3], v[164:165]
	v_mul_f64 v[6:7], v[4:5], v[164:165]
	v_fmac_f64_e32 v[10:11], v[4:5], v[162:163]
	v_fma_f64 v[2:3], v[2:3], v[162:163], -v[6:7]
	v_mov_b64_e32 v[4:5], v[10:11]
.LBB114_682:
	v_cmp_ne_u32_e32 vcc, 35, v0
	s_and_saveexec_b64 s[6:7], vcc
	s_cbranch_execz .LBB114_686
; %bb.683:
	v_mov_b32_e32 v7, 0
	v_add_u32_e32 v6, 0x340, v68
	v_add3_u32 v7, v68, v7, 24
	s_mov_b64 s[8:9], 0
	v_mov_b32_e32 v162, v0
.LBB114_684:                            ; =>This Inner Loop Header: Depth=1
	v_add_u32_e32 v10, -8, v7
	scratch_load_dwordx4 v[164:167], v10, off
	ds_read_b128 v[168:171], v6
	v_add_u32_e32 v162, 1, v162
	v_cmp_lt_u32_e32 vcc, 34, v162
	v_add_u32_e32 v6, 16, v6
	v_add_u32_e32 v7, 16, v7
	s_or_b64 s[8:9], vcc, s[8:9]
	s_waitcnt vmcnt(0) lgkmcnt(0)
	v_mul_f64 v[10:11], v[170:171], v[166:167]
	v_mul_f64 v[12:13], v[168:169], v[166:167]
	v_fma_f64 v[10:11], v[168:169], v[164:165], -v[10:11]
	v_fmac_f64_e32 v[12:13], v[170:171], v[164:165]
	v_add_f64 v[2:3], v[2:3], v[10:11]
	v_add_f64 v[4:5], v[4:5], v[12:13]
	s_andn2_b64 exec, exec, s[8:9]
	s_cbranch_execnz .LBB114_684
; %bb.685:
	s_or_b64 exec, exec, s[8:9]
.LBB114_686:
	s_or_b64 exec, exec, s[6:7]
	v_mov_b32_e32 v6, 0
	ds_read_b128 v[162:165], v6 offset:576
	s_waitcnt lgkmcnt(0)
	v_mul_f64 v[6:7], v[4:5], v[164:165]
	v_mul_f64 v[166:167], v[2:3], v[164:165]
	v_fma_f64 v[164:165], v[2:3], v[162:163], -v[6:7]
	v_fmac_f64_e32 v[166:167], v[4:5], v[162:163]
	scratch_store_dwordx4 off, v[164:167], off offset:576
.LBB114_687:
	s_or_b64 exec, exec, s[2:3]
	scratch_load_dwordx4 v[2:5], v125, off
	v_cmp_gt_u32_e32 vcc, 37, v0
	s_waitcnt vmcnt(0)
	ds_write_b128 v9, v[2:5]
	s_waitcnt lgkmcnt(0)
	; wave barrier
	s_waitcnt lgkmcnt(0)
	s_and_saveexec_b64 s[2:3], vcc
	s_cbranch_execz .LBB114_695
; %bb.688:
	ds_read_b128 v[2:5], v9
	s_and_b64 vcc, exec, s[0:1]
	s_cbranch_vccnz .LBB114_690
; %bb.689:
	scratch_load_dwordx4 v[162:165], v8, off
	s_waitcnt vmcnt(0) lgkmcnt(0)
	v_mul_f64 v[10:11], v[2:3], v[164:165]
	v_mul_f64 v[6:7], v[4:5], v[164:165]
	v_fmac_f64_e32 v[10:11], v[4:5], v[162:163]
	v_fma_f64 v[2:3], v[2:3], v[162:163], -v[6:7]
	v_mov_b64_e32 v[4:5], v[10:11]
.LBB114_690:
	v_cmp_ne_u32_e32 vcc, 36, v0
	s_and_saveexec_b64 s[6:7], vcc
	s_cbranch_execz .LBB114_694
; %bb.691:
	v_mov_b32_e32 v7, 0
	v_add_u32_e32 v6, 0x340, v68
	v_add3_u32 v7, v68, v7, 24
	s_mov_b64 s[8:9], 0
	v_mov_b32_e32 v162, v0
.LBB114_692:                            ; =>This Inner Loop Header: Depth=1
	v_add_u32_e32 v10, -8, v7
	scratch_load_dwordx4 v[164:167], v10, off
	ds_read_b128 v[168:171], v6
	v_add_u32_e32 v162, 1, v162
	v_cmp_lt_u32_e32 vcc, 35, v162
	v_add_u32_e32 v6, 16, v6
	v_add_u32_e32 v7, 16, v7
	s_or_b64 s[8:9], vcc, s[8:9]
	s_waitcnt vmcnt(0) lgkmcnt(0)
	v_mul_f64 v[10:11], v[170:171], v[166:167]
	v_mul_f64 v[12:13], v[168:169], v[166:167]
	v_fma_f64 v[10:11], v[168:169], v[164:165], -v[10:11]
	v_fmac_f64_e32 v[12:13], v[170:171], v[164:165]
	v_add_f64 v[2:3], v[2:3], v[10:11]
	v_add_f64 v[4:5], v[4:5], v[12:13]
	s_andn2_b64 exec, exec, s[8:9]
	s_cbranch_execnz .LBB114_692
; %bb.693:
	s_or_b64 exec, exec, s[8:9]
.LBB114_694:
	s_or_b64 exec, exec, s[6:7]
	v_mov_b32_e32 v6, 0
	ds_read_b128 v[162:165], v6 offset:592
	s_waitcnt lgkmcnt(0)
	v_mul_f64 v[6:7], v[4:5], v[164:165]
	v_mul_f64 v[166:167], v[2:3], v[164:165]
	v_fma_f64 v[164:165], v[2:3], v[162:163], -v[6:7]
	v_fmac_f64_e32 v[166:167], v[4:5], v[162:163]
	scratch_store_dwordx4 off, v[164:167], off offset:592
.LBB114_695:
	s_or_b64 exec, exec, s[2:3]
	scratch_load_dwordx4 v[2:5], v124, off
	v_cmp_gt_u32_e32 vcc, 38, v0
	s_waitcnt vmcnt(0)
	ds_write_b128 v9, v[2:5]
	s_waitcnt lgkmcnt(0)
	; wave barrier
	s_waitcnt lgkmcnt(0)
	s_and_saveexec_b64 s[2:3], vcc
	s_cbranch_execz .LBB114_703
; %bb.696:
	ds_read_b128 v[2:5], v9
	s_and_b64 vcc, exec, s[0:1]
	s_cbranch_vccnz .LBB114_698
; %bb.697:
	scratch_load_dwordx4 v[162:165], v8, off
	s_waitcnt vmcnt(0) lgkmcnt(0)
	v_mul_f64 v[10:11], v[2:3], v[164:165]
	v_mul_f64 v[6:7], v[4:5], v[164:165]
	v_fmac_f64_e32 v[10:11], v[4:5], v[162:163]
	v_fma_f64 v[2:3], v[2:3], v[162:163], -v[6:7]
	v_mov_b64_e32 v[4:5], v[10:11]
.LBB114_698:
	v_cmp_ne_u32_e32 vcc, 37, v0
	s_and_saveexec_b64 s[6:7], vcc
	s_cbranch_execz .LBB114_702
; %bb.699:
	v_mov_b32_e32 v7, 0
	v_add_u32_e32 v6, 0x340, v68
	v_add3_u32 v7, v68, v7, 24
	s_mov_b64 s[8:9], 0
	v_mov_b32_e32 v162, v0
.LBB114_700:                            ; =>This Inner Loop Header: Depth=1
	v_add_u32_e32 v10, -8, v7
	scratch_load_dwordx4 v[164:167], v10, off
	ds_read_b128 v[168:171], v6
	v_add_u32_e32 v162, 1, v162
	v_cmp_lt_u32_e32 vcc, 36, v162
	v_add_u32_e32 v6, 16, v6
	v_add_u32_e32 v7, 16, v7
	s_or_b64 s[8:9], vcc, s[8:9]
	s_waitcnt vmcnt(0) lgkmcnt(0)
	v_mul_f64 v[10:11], v[170:171], v[166:167]
	v_mul_f64 v[12:13], v[168:169], v[166:167]
	v_fma_f64 v[10:11], v[168:169], v[164:165], -v[10:11]
	v_fmac_f64_e32 v[12:13], v[170:171], v[164:165]
	v_add_f64 v[2:3], v[2:3], v[10:11]
	v_add_f64 v[4:5], v[4:5], v[12:13]
	s_andn2_b64 exec, exec, s[8:9]
	s_cbranch_execnz .LBB114_700
; %bb.701:
	s_or_b64 exec, exec, s[8:9]
.LBB114_702:
	s_or_b64 exec, exec, s[6:7]
	v_mov_b32_e32 v6, 0
	ds_read_b128 v[162:165], v6 offset:608
	s_waitcnt lgkmcnt(0)
	v_mul_f64 v[6:7], v[4:5], v[164:165]
	v_mul_f64 v[166:167], v[2:3], v[164:165]
	v_fma_f64 v[164:165], v[2:3], v[162:163], -v[6:7]
	v_fmac_f64_e32 v[166:167], v[4:5], v[162:163]
	scratch_store_dwordx4 off, v[164:167], off offset:608
.LBB114_703:
	s_or_b64 exec, exec, s[2:3]
	scratch_load_dwordx4 v[2:5], v123, off
	v_cmp_gt_u32_e32 vcc, 39, v0
	s_waitcnt vmcnt(0)
	ds_write_b128 v9, v[2:5]
	s_waitcnt lgkmcnt(0)
	; wave barrier
	s_waitcnt lgkmcnt(0)
	s_and_saveexec_b64 s[2:3], vcc
	s_cbranch_execz .LBB114_711
; %bb.704:
	ds_read_b128 v[2:5], v9
	s_and_b64 vcc, exec, s[0:1]
	s_cbranch_vccnz .LBB114_706
; %bb.705:
	scratch_load_dwordx4 v[162:165], v8, off
	s_waitcnt vmcnt(0) lgkmcnt(0)
	v_mul_f64 v[10:11], v[2:3], v[164:165]
	v_mul_f64 v[6:7], v[4:5], v[164:165]
	v_fmac_f64_e32 v[10:11], v[4:5], v[162:163]
	v_fma_f64 v[2:3], v[2:3], v[162:163], -v[6:7]
	v_mov_b64_e32 v[4:5], v[10:11]
.LBB114_706:
	v_cmp_ne_u32_e32 vcc, 38, v0
	s_and_saveexec_b64 s[6:7], vcc
	s_cbranch_execz .LBB114_710
; %bb.707:
	v_mov_b32_e32 v7, 0
	v_add_u32_e32 v6, 0x340, v68
	v_add3_u32 v7, v68, v7, 24
	s_mov_b64 s[8:9], 0
	v_mov_b32_e32 v162, v0
.LBB114_708:                            ; =>This Inner Loop Header: Depth=1
	v_add_u32_e32 v10, -8, v7
	scratch_load_dwordx4 v[164:167], v10, off
	ds_read_b128 v[168:171], v6
	v_add_u32_e32 v162, 1, v162
	v_cmp_lt_u32_e32 vcc, 37, v162
	v_add_u32_e32 v6, 16, v6
	v_add_u32_e32 v7, 16, v7
	s_or_b64 s[8:9], vcc, s[8:9]
	s_waitcnt vmcnt(0) lgkmcnt(0)
	v_mul_f64 v[10:11], v[170:171], v[166:167]
	v_mul_f64 v[12:13], v[168:169], v[166:167]
	v_fma_f64 v[10:11], v[168:169], v[164:165], -v[10:11]
	v_fmac_f64_e32 v[12:13], v[170:171], v[164:165]
	v_add_f64 v[2:3], v[2:3], v[10:11]
	v_add_f64 v[4:5], v[4:5], v[12:13]
	s_andn2_b64 exec, exec, s[8:9]
	s_cbranch_execnz .LBB114_708
; %bb.709:
	s_or_b64 exec, exec, s[8:9]
.LBB114_710:
	s_or_b64 exec, exec, s[6:7]
	v_mov_b32_e32 v6, 0
	ds_read_b128 v[162:165], v6 offset:624
	s_waitcnt lgkmcnt(0)
	v_mul_f64 v[6:7], v[4:5], v[164:165]
	v_mul_f64 v[166:167], v[2:3], v[164:165]
	v_fma_f64 v[164:165], v[2:3], v[162:163], -v[6:7]
	v_fmac_f64_e32 v[166:167], v[4:5], v[162:163]
	scratch_store_dwordx4 off, v[164:167], off offset:624
.LBB114_711:
	s_or_b64 exec, exec, s[2:3]
	scratch_load_dwordx4 v[2:5], v122, off
	v_cmp_gt_u32_e32 vcc, 40, v0
	s_waitcnt vmcnt(0)
	ds_write_b128 v9, v[2:5]
	s_waitcnt lgkmcnt(0)
	; wave barrier
	s_waitcnt lgkmcnt(0)
	s_and_saveexec_b64 s[2:3], vcc
	s_cbranch_execz .LBB114_719
; %bb.712:
	ds_read_b128 v[2:5], v9
	s_and_b64 vcc, exec, s[0:1]
	s_cbranch_vccnz .LBB114_714
; %bb.713:
	scratch_load_dwordx4 v[162:165], v8, off
	s_waitcnt vmcnt(0) lgkmcnt(0)
	v_mul_f64 v[10:11], v[2:3], v[164:165]
	v_mul_f64 v[6:7], v[4:5], v[164:165]
	v_fmac_f64_e32 v[10:11], v[4:5], v[162:163]
	v_fma_f64 v[2:3], v[2:3], v[162:163], -v[6:7]
	v_mov_b64_e32 v[4:5], v[10:11]
.LBB114_714:
	v_cmp_ne_u32_e32 vcc, 39, v0
	s_and_saveexec_b64 s[6:7], vcc
	s_cbranch_execz .LBB114_718
; %bb.715:
	v_mov_b32_e32 v7, 0
	v_add_u32_e32 v6, 0x340, v68
	v_add3_u32 v7, v68, v7, 24
	s_mov_b64 s[8:9], 0
	v_mov_b32_e32 v162, v0
.LBB114_716:                            ; =>This Inner Loop Header: Depth=1
	v_add_u32_e32 v10, -8, v7
	scratch_load_dwordx4 v[164:167], v10, off
	ds_read_b128 v[168:171], v6
	v_add_u32_e32 v162, 1, v162
	v_cmp_lt_u32_e32 vcc, 38, v162
	v_add_u32_e32 v6, 16, v6
	v_add_u32_e32 v7, 16, v7
	s_or_b64 s[8:9], vcc, s[8:9]
	s_waitcnt vmcnt(0) lgkmcnt(0)
	v_mul_f64 v[10:11], v[170:171], v[166:167]
	v_mul_f64 v[12:13], v[168:169], v[166:167]
	v_fma_f64 v[10:11], v[168:169], v[164:165], -v[10:11]
	v_fmac_f64_e32 v[12:13], v[170:171], v[164:165]
	v_add_f64 v[2:3], v[2:3], v[10:11]
	v_add_f64 v[4:5], v[4:5], v[12:13]
	s_andn2_b64 exec, exec, s[8:9]
	s_cbranch_execnz .LBB114_716
; %bb.717:
	s_or_b64 exec, exec, s[8:9]
.LBB114_718:
	s_or_b64 exec, exec, s[6:7]
	v_mov_b32_e32 v6, 0
	ds_read_b128 v[162:165], v6 offset:640
	s_waitcnt lgkmcnt(0)
	v_mul_f64 v[6:7], v[4:5], v[164:165]
	v_mul_f64 v[166:167], v[2:3], v[164:165]
	v_fma_f64 v[164:165], v[2:3], v[162:163], -v[6:7]
	v_fmac_f64_e32 v[166:167], v[4:5], v[162:163]
	scratch_store_dwordx4 off, v[164:167], off offset:640
.LBB114_719:
	s_or_b64 exec, exec, s[2:3]
	scratch_load_dwordx4 v[2:5], v69, off
	v_cmp_gt_u32_e32 vcc, 41, v0
	s_waitcnt vmcnt(0)
	ds_write_b128 v9, v[2:5]
	s_waitcnt lgkmcnt(0)
	; wave barrier
	s_waitcnt lgkmcnt(0)
	s_and_saveexec_b64 s[2:3], vcc
	s_cbranch_execz .LBB114_727
; %bb.720:
	ds_read_b128 v[2:5], v9
	s_and_b64 vcc, exec, s[0:1]
	s_cbranch_vccnz .LBB114_722
; %bb.721:
	scratch_load_dwordx4 v[162:165], v8, off
	s_waitcnt vmcnt(0) lgkmcnt(0)
	v_mul_f64 v[10:11], v[2:3], v[164:165]
	v_mul_f64 v[6:7], v[4:5], v[164:165]
	v_fmac_f64_e32 v[10:11], v[4:5], v[162:163]
	v_fma_f64 v[2:3], v[2:3], v[162:163], -v[6:7]
	v_mov_b64_e32 v[4:5], v[10:11]
.LBB114_722:
	v_cmp_ne_u32_e32 vcc, 40, v0
	s_and_saveexec_b64 s[6:7], vcc
	s_cbranch_execz .LBB114_726
; %bb.723:
	v_mov_b32_e32 v7, 0
	v_add_u32_e32 v6, 0x340, v68
	v_add3_u32 v7, v68, v7, 24
	s_mov_b64 s[8:9], 0
	v_mov_b32_e32 v162, v0
.LBB114_724:                            ; =>This Inner Loop Header: Depth=1
	v_add_u32_e32 v10, -8, v7
	scratch_load_dwordx4 v[164:167], v10, off
	ds_read_b128 v[168:171], v6
	v_add_u32_e32 v162, 1, v162
	v_cmp_lt_u32_e32 vcc, 39, v162
	v_add_u32_e32 v6, 16, v6
	v_add_u32_e32 v7, 16, v7
	s_or_b64 s[8:9], vcc, s[8:9]
	s_waitcnt vmcnt(0) lgkmcnt(0)
	v_mul_f64 v[10:11], v[170:171], v[166:167]
	v_mul_f64 v[12:13], v[168:169], v[166:167]
	v_fma_f64 v[10:11], v[168:169], v[164:165], -v[10:11]
	v_fmac_f64_e32 v[12:13], v[170:171], v[164:165]
	v_add_f64 v[2:3], v[2:3], v[10:11]
	v_add_f64 v[4:5], v[4:5], v[12:13]
	s_andn2_b64 exec, exec, s[8:9]
	s_cbranch_execnz .LBB114_724
; %bb.725:
	s_or_b64 exec, exec, s[8:9]
.LBB114_726:
	s_or_b64 exec, exec, s[6:7]
	v_mov_b32_e32 v6, 0
	ds_read_b128 v[162:165], v6 offset:656
	s_waitcnt lgkmcnt(0)
	v_mul_f64 v[6:7], v[4:5], v[164:165]
	v_mul_f64 v[166:167], v[2:3], v[164:165]
	v_fma_f64 v[164:165], v[2:3], v[162:163], -v[6:7]
	v_fmac_f64_e32 v[166:167], v[4:5], v[162:163]
	scratch_store_dwordx4 off, v[164:167], off offset:656
.LBB114_727:
	s_or_b64 exec, exec, s[2:3]
	scratch_load_dwordx4 v[2:5], v17, off
	v_cmp_gt_u32_e32 vcc, 42, v0
	s_waitcnt vmcnt(0)
	ds_write_b128 v9, v[2:5]
	s_waitcnt lgkmcnt(0)
	; wave barrier
	s_waitcnt lgkmcnt(0)
	s_and_saveexec_b64 s[2:3], vcc
	s_cbranch_execz .LBB114_735
; %bb.728:
	ds_read_b128 v[2:5], v9
	s_and_b64 vcc, exec, s[0:1]
	s_cbranch_vccnz .LBB114_730
; %bb.729:
	scratch_load_dwordx4 v[162:165], v8, off
	s_waitcnt vmcnt(0) lgkmcnt(0)
	v_mul_f64 v[10:11], v[2:3], v[164:165]
	v_mul_f64 v[6:7], v[4:5], v[164:165]
	v_fmac_f64_e32 v[10:11], v[4:5], v[162:163]
	v_fma_f64 v[2:3], v[2:3], v[162:163], -v[6:7]
	v_mov_b64_e32 v[4:5], v[10:11]
.LBB114_730:
	v_cmp_ne_u32_e32 vcc, 41, v0
	s_and_saveexec_b64 s[6:7], vcc
	s_cbranch_execz .LBB114_734
; %bb.731:
	v_mov_b32_e32 v7, 0
	v_add_u32_e32 v6, 0x340, v68
	v_add3_u32 v7, v68, v7, 24
	s_mov_b64 s[8:9], 0
	v_mov_b32_e32 v162, v0
.LBB114_732:                            ; =>This Inner Loop Header: Depth=1
	v_add_u32_e32 v10, -8, v7
	scratch_load_dwordx4 v[164:167], v10, off
	ds_read_b128 v[168:171], v6
	v_add_u32_e32 v162, 1, v162
	v_cmp_lt_u32_e32 vcc, 40, v162
	v_add_u32_e32 v6, 16, v6
	v_add_u32_e32 v7, 16, v7
	s_or_b64 s[8:9], vcc, s[8:9]
	s_waitcnt vmcnt(0) lgkmcnt(0)
	v_mul_f64 v[10:11], v[170:171], v[166:167]
	v_mul_f64 v[12:13], v[168:169], v[166:167]
	v_fma_f64 v[10:11], v[168:169], v[164:165], -v[10:11]
	v_fmac_f64_e32 v[12:13], v[170:171], v[164:165]
	v_add_f64 v[2:3], v[2:3], v[10:11]
	v_add_f64 v[4:5], v[4:5], v[12:13]
	s_andn2_b64 exec, exec, s[8:9]
	s_cbranch_execnz .LBB114_732
; %bb.733:
	s_or_b64 exec, exec, s[8:9]
.LBB114_734:
	s_or_b64 exec, exec, s[6:7]
	v_mov_b32_e32 v6, 0
	ds_read_b128 v[162:165], v6 offset:672
	s_waitcnt lgkmcnt(0)
	v_mul_f64 v[6:7], v[4:5], v[164:165]
	v_mul_f64 v[166:167], v[2:3], v[164:165]
	v_fma_f64 v[164:165], v[2:3], v[162:163], -v[6:7]
	v_fmac_f64_e32 v[166:167], v[4:5], v[162:163]
	scratch_store_dwordx4 off, v[164:167], off offset:672
.LBB114_735:
	s_or_b64 exec, exec, s[2:3]
	scratch_load_dwordx4 v[2:5], v16, off
	v_cmp_gt_u32_e32 vcc, 43, v0
	s_waitcnt vmcnt(0)
	ds_write_b128 v9, v[2:5]
	s_waitcnt lgkmcnt(0)
	; wave barrier
	s_waitcnt lgkmcnt(0)
	s_and_saveexec_b64 s[2:3], vcc
	s_cbranch_execz .LBB114_743
; %bb.736:
	ds_read_b128 v[2:5], v9
	s_and_b64 vcc, exec, s[0:1]
	s_cbranch_vccnz .LBB114_738
; %bb.737:
	scratch_load_dwordx4 v[162:165], v8, off
	s_waitcnt vmcnt(0) lgkmcnt(0)
	v_mul_f64 v[10:11], v[2:3], v[164:165]
	v_mul_f64 v[6:7], v[4:5], v[164:165]
	v_fmac_f64_e32 v[10:11], v[4:5], v[162:163]
	v_fma_f64 v[2:3], v[2:3], v[162:163], -v[6:7]
	v_mov_b64_e32 v[4:5], v[10:11]
.LBB114_738:
	v_cmp_ne_u32_e32 vcc, 42, v0
	s_and_saveexec_b64 s[6:7], vcc
	s_cbranch_execz .LBB114_742
; %bb.739:
	v_mov_b32_e32 v7, 0
	v_add_u32_e32 v6, 0x340, v68
	v_add3_u32 v7, v68, v7, 24
	s_mov_b64 s[8:9], 0
	v_mov_b32_e32 v162, v0
.LBB114_740:                            ; =>This Inner Loop Header: Depth=1
	v_add_u32_e32 v10, -8, v7
	scratch_load_dwordx4 v[164:167], v10, off
	ds_read_b128 v[168:171], v6
	v_add_u32_e32 v162, 1, v162
	v_cmp_lt_u32_e32 vcc, 41, v162
	v_add_u32_e32 v6, 16, v6
	v_add_u32_e32 v7, 16, v7
	s_or_b64 s[8:9], vcc, s[8:9]
	s_waitcnt vmcnt(0) lgkmcnt(0)
	v_mul_f64 v[10:11], v[170:171], v[166:167]
	v_mul_f64 v[12:13], v[168:169], v[166:167]
	v_fma_f64 v[10:11], v[168:169], v[164:165], -v[10:11]
	v_fmac_f64_e32 v[12:13], v[170:171], v[164:165]
	v_add_f64 v[2:3], v[2:3], v[10:11]
	v_add_f64 v[4:5], v[4:5], v[12:13]
	s_andn2_b64 exec, exec, s[8:9]
	s_cbranch_execnz .LBB114_740
; %bb.741:
	s_or_b64 exec, exec, s[8:9]
.LBB114_742:
	s_or_b64 exec, exec, s[6:7]
	v_mov_b32_e32 v6, 0
	ds_read_b128 v[162:165], v6 offset:688
	s_waitcnt lgkmcnt(0)
	v_mul_f64 v[6:7], v[4:5], v[164:165]
	v_mul_f64 v[166:167], v[2:3], v[164:165]
	v_fma_f64 v[164:165], v[2:3], v[162:163], -v[6:7]
	v_fmac_f64_e32 v[166:167], v[4:5], v[162:163]
	scratch_store_dwordx4 off, v[164:167], off offset:688
.LBB114_743:
	s_or_b64 exec, exec, s[2:3]
	scratch_load_dwordx4 v[2:5], v15, off
	v_cmp_gt_u32_e32 vcc, 44, v0
	s_waitcnt vmcnt(0)
	ds_write_b128 v9, v[2:5]
	s_waitcnt lgkmcnt(0)
	; wave barrier
	s_waitcnt lgkmcnt(0)
	s_and_saveexec_b64 s[2:3], vcc
	s_cbranch_execz .LBB114_751
; %bb.744:
	ds_read_b128 v[2:5], v9
	s_and_b64 vcc, exec, s[0:1]
	s_cbranch_vccnz .LBB114_746
; %bb.745:
	scratch_load_dwordx4 v[162:165], v8, off
	s_waitcnt vmcnt(0) lgkmcnt(0)
	v_mul_f64 v[10:11], v[2:3], v[164:165]
	v_mul_f64 v[6:7], v[4:5], v[164:165]
	v_fmac_f64_e32 v[10:11], v[4:5], v[162:163]
	v_fma_f64 v[2:3], v[2:3], v[162:163], -v[6:7]
	v_mov_b64_e32 v[4:5], v[10:11]
.LBB114_746:
	v_cmp_ne_u32_e32 vcc, 43, v0
	s_and_saveexec_b64 s[6:7], vcc
	s_cbranch_execz .LBB114_750
; %bb.747:
	v_mov_b32_e32 v7, 0
	v_add_u32_e32 v6, 0x340, v68
	v_add3_u32 v7, v68, v7, 24
	s_mov_b64 s[8:9], 0
	v_mov_b32_e32 v162, v0
.LBB114_748:                            ; =>This Inner Loop Header: Depth=1
	v_add_u32_e32 v10, -8, v7
	scratch_load_dwordx4 v[164:167], v10, off
	ds_read_b128 v[168:171], v6
	v_add_u32_e32 v162, 1, v162
	v_cmp_lt_u32_e32 vcc, 42, v162
	v_add_u32_e32 v6, 16, v6
	v_add_u32_e32 v7, 16, v7
	s_or_b64 s[8:9], vcc, s[8:9]
	s_waitcnt vmcnt(0) lgkmcnt(0)
	v_mul_f64 v[10:11], v[170:171], v[166:167]
	v_mul_f64 v[12:13], v[168:169], v[166:167]
	v_fma_f64 v[10:11], v[168:169], v[164:165], -v[10:11]
	v_fmac_f64_e32 v[12:13], v[170:171], v[164:165]
	v_add_f64 v[2:3], v[2:3], v[10:11]
	v_add_f64 v[4:5], v[4:5], v[12:13]
	s_andn2_b64 exec, exec, s[8:9]
	s_cbranch_execnz .LBB114_748
; %bb.749:
	s_or_b64 exec, exec, s[8:9]
.LBB114_750:
	s_or_b64 exec, exec, s[6:7]
	v_mov_b32_e32 v6, 0
	ds_read_b128 v[162:165], v6 offset:704
	s_waitcnt lgkmcnt(0)
	v_mul_f64 v[6:7], v[4:5], v[164:165]
	v_mul_f64 v[166:167], v[2:3], v[164:165]
	v_fma_f64 v[164:165], v[2:3], v[162:163], -v[6:7]
	v_fmac_f64_e32 v[166:167], v[4:5], v[162:163]
	scratch_store_dwordx4 off, v[164:167], off offset:704
.LBB114_751:
	s_or_b64 exec, exec, s[2:3]
	scratch_load_dwordx4 v[2:5], v14, off
	v_cmp_gt_u32_e32 vcc, 45, v0
	s_waitcnt vmcnt(0)
	ds_write_b128 v9, v[2:5]
	s_waitcnt lgkmcnt(0)
	; wave barrier
	s_waitcnt lgkmcnt(0)
	s_and_saveexec_b64 s[2:3], vcc
	s_cbranch_execz .LBB114_759
; %bb.752:
	ds_read_b128 v[2:5], v9
	s_and_b64 vcc, exec, s[0:1]
	s_cbranch_vccnz .LBB114_754
; %bb.753:
	scratch_load_dwordx4 v[162:165], v8, off
	s_waitcnt vmcnt(0) lgkmcnt(0)
	v_mul_f64 v[10:11], v[2:3], v[164:165]
	v_mul_f64 v[6:7], v[4:5], v[164:165]
	v_fmac_f64_e32 v[10:11], v[4:5], v[162:163]
	v_fma_f64 v[2:3], v[2:3], v[162:163], -v[6:7]
	v_mov_b64_e32 v[4:5], v[10:11]
.LBB114_754:
	v_cmp_ne_u32_e32 vcc, 44, v0
	s_and_saveexec_b64 s[6:7], vcc
	s_cbranch_execz .LBB114_758
; %bb.755:
	v_mov_b32_e32 v7, 0
	v_add_u32_e32 v6, 0x340, v68
	v_add3_u32 v7, v68, v7, 24
	s_mov_b64 s[8:9], 0
	v_mov_b32_e32 v162, v0
.LBB114_756:                            ; =>This Inner Loop Header: Depth=1
	v_add_u32_e32 v10, -8, v7
	scratch_load_dwordx4 v[164:167], v10, off
	ds_read_b128 v[168:171], v6
	v_add_u32_e32 v162, 1, v162
	v_cmp_lt_u32_e32 vcc, 43, v162
	v_add_u32_e32 v6, 16, v6
	v_add_u32_e32 v7, 16, v7
	s_or_b64 s[8:9], vcc, s[8:9]
	s_waitcnt vmcnt(0) lgkmcnt(0)
	v_mul_f64 v[10:11], v[170:171], v[166:167]
	v_mul_f64 v[12:13], v[168:169], v[166:167]
	v_fma_f64 v[10:11], v[168:169], v[164:165], -v[10:11]
	v_fmac_f64_e32 v[12:13], v[170:171], v[164:165]
	v_add_f64 v[2:3], v[2:3], v[10:11]
	v_add_f64 v[4:5], v[4:5], v[12:13]
	s_andn2_b64 exec, exec, s[8:9]
	s_cbranch_execnz .LBB114_756
; %bb.757:
	s_or_b64 exec, exec, s[8:9]
.LBB114_758:
	s_or_b64 exec, exec, s[6:7]
	v_mov_b32_e32 v6, 0
	ds_read_b128 v[162:165], v6 offset:720
	s_waitcnt lgkmcnt(0)
	v_mul_f64 v[6:7], v[4:5], v[164:165]
	v_mul_f64 v[166:167], v[2:3], v[164:165]
	v_fma_f64 v[164:165], v[2:3], v[162:163], -v[6:7]
	v_fmac_f64_e32 v[166:167], v[4:5], v[162:163]
	scratch_store_dwordx4 off, v[164:167], off offset:720
.LBB114_759:
	s_or_b64 exec, exec, s[2:3]
	scratch_load_dwordx4 v[2:5], v173, off
	v_cmp_gt_u32_e32 vcc, 46, v0
	s_waitcnt vmcnt(0)
	ds_write_b128 v9, v[2:5]
	s_waitcnt lgkmcnt(0)
	; wave barrier
	s_waitcnt lgkmcnt(0)
	s_and_saveexec_b64 s[2:3], vcc
	s_cbranch_execz .LBB114_767
; %bb.760:
	ds_read_b128 v[2:5], v9
	s_and_b64 vcc, exec, s[0:1]
	s_cbranch_vccnz .LBB114_762
; %bb.761:
	scratch_load_dwordx4 v[162:165], v8, off
	s_waitcnt vmcnt(0) lgkmcnt(0)
	v_mul_f64 v[10:11], v[2:3], v[164:165]
	v_mul_f64 v[6:7], v[4:5], v[164:165]
	v_fmac_f64_e32 v[10:11], v[4:5], v[162:163]
	v_fma_f64 v[2:3], v[2:3], v[162:163], -v[6:7]
	v_mov_b64_e32 v[4:5], v[10:11]
.LBB114_762:
	v_cmp_ne_u32_e32 vcc, 45, v0
	s_and_saveexec_b64 s[6:7], vcc
	s_cbranch_execz .LBB114_766
; %bb.763:
	v_mov_b32_e32 v7, 0
	v_add_u32_e32 v6, 0x340, v68
	v_add3_u32 v7, v68, v7, 24
	s_mov_b64 s[8:9], 0
	v_mov_b32_e32 v162, v0
.LBB114_764:                            ; =>This Inner Loop Header: Depth=1
	v_add_u32_e32 v10, -8, v7
	scratch_load_dwordx4 v[164:167], v10, off
	ds_read_b128 v[168:171], v6
	v_add_u32_e32 v162, 1, v162
	v_cmp_lt_u32_e32 vcc, 44, v162
	v_add_u32_e32 v6, 16, v6
	v_add_u32_e32 v7, 16, v7
	s_or_b64 s[8:9], vcc, s[8:9]
	s_waitcnt vmcnt(0) lgkmcnt(0)
	v_mul_f64 v[10:11], v[170:171], v[166:167]
	v_mul_f64 v[12:13], v[168:169], v[166:167]
	v_fma_f64 v[10:11], v[168:169], v[164:165], -v[10:11]
	v_fmac_f64_e32 v[12:13], v[170:171], v[164:165]
	v_add_f64 v[2:3], v[2:3], v[10:11]
	v_add_f64 v[4:5], v[4:5], v[12:13]
	s_andn2_b64 exec, exec, s[8:9]
	s_cbranch_execnz .LBB114_764
; %bb.765:
	s_or_b64 exec, exec, s[8:9]
.LBB114_766:
	s_or_b64 exec, exec, s[6:7]
	v_mov_b32_e32 v6, 0
	ds_read_b128 v[162:165], v6 offset:736
	s_waitcnt lgkmcnt(0)
	v_mul_f64 v[6:7], v[4:5], v[164:165]
	v_mul_f64 v[166:167], v[2:3], v[164:165]
	v_fma_f64 v[164:165], v[2:3], v[162:163], -v[6:7]
	v_fmac_f64_e32 v[166:167], v[4:5], v[162:163]
	scratch_store_dwordx4 off, v[164:167], off offset:736
.LBB114_767:
	s_or_b64 exec, exec, s[2:3]
	scratch_load_dwordx4 v[2:5], v172, off
	v_cmp_gt_u32_e32 vcc, 47, v0
	s_waitcnt vmcnt(0)
	ds_write_b128 v9, v[2:5]
	s_waitcnt lgkmcnt(0)
	; wave barrier
	s_waitcnt lgkmcnt(0)
	s_and_saveexec_b64 s[2:3], vcc
	s_cbranch_execz .LBB114_775
; %bb.768:
	ds_read_b128 v[2:5], v9
	s_and_b64 vcc, exec, s[0:1]
	s_cbranch_vccnz .LBB114_770
; %bb.769:
	scratch_load_dwordx4 v[162:165], v8, off
	s_waitcnt vmcnt(0) lgkmcnt(0)
	v_mul_f64 v[10:11], v[2:3], v[164:165]
	v_mul_f64 v[6:7], v[4:5], v[164:165]
	v_fmac_f64_e32 v[10:11], v[4:5], v[162:163]
	v_fma_f64 v[2:3], v[2:3], v[162:163], -v[6:7]
	v_mov_b64_e32 v[4:5], v[10:11]
.LBB114_770:
	v_cmp_ne_u32_e32 vcc, 46, v0
	s_and_saveexec_b64 s[6:7], vcc
	s_cbranch_execz .LBB114_774
; %bb.771:
	v_mov_b32_e32 v7, 0
	v_add_u32_e32 v6, 0x340, v68
	v_add3_u32 v7, v68, v7, 24
	s_mov_b64 s[8:9], 0
	v_mov_b32_e32 v162, v0
.LBB114_772:                            ; =>This Inner Loop Header: Depth=1
	v_add_u32_e32 v10, -8, v7
	scratch_load_dwordx4 v[164:167], v10, off
	ds_read_b128 v[168:171], v6
	v_add_u32_e32 v162, 1, v162
	v_cmp_lt_u32_e32 vcc, 45, v162
	v_add_u32_e32 v6, 16, v6
	v_add_u32_e32 v7, 16, v7
	s_or_b64 s[8:9], vcc, s[8:9]
	s_waitcnt vmcnt(0) lgkmcnt(0)
	v_mul_f64 v[10:11], v[170:171], v[166:167]
	v_mul_f64 v[12:13], v[168:169], v[166:167]
	v_fma_f64 v[10:11], v[168:169], v[164:165], -v[10:11]
	v_fmac_f64_e32 v[12:13], v[170:171], v[164:165]
	v_add_f64 v[2:3], v[2:3], v[10:11]
	v_add_f64 v[4:5], v[4:5], v[12:13]
	s_andn2_b64 exec, exec, s[8:9]
	s_cbranch_execnz .LBB114_772
; %bb.773:
	s_or_b64 exec, exec, s[8:9]
.LBB114_774:
	s_or_b64 exec, exec, s[6:7]
	v_mov_b32_e32 v6, 0
	ds_read_b128 v[162:165], v6 offset:752
	s_waitcnt lgkmcnt(0)
	v_mul_f64 v[6:7], v[4:5], v[164:165]
	v_mul_f64 v[166:167], v[2:3], v[164:165]
	v_fma_f64 v[164:165], v[2:3], v[162:163], -v[6:7]
	v_fmac_f64_e32 v[166:167], v[4:5], v[162:163]
	scratch_store_dwordx4 off, v[164:167], off offset:752
.LBB114_775:
	s_or_b64 exec, exec, s[2:3]
	scratch_load_dwordx4 v[2:5], v37, off
	v_cmp_gt_u32_e32 vcc, 48, v0
	s_waitcnt vmcnt(0)
	ds_write_b128 v9, v[2:5]
	s_waitcnt lgkmcnt(0)
	; wave barrier
	s_waitcnt lgkmcnt(0)
	s_and_saveexec_b64 s[2:3], vcc
	s_cbranch_execz .LBB114_783
; %bb.776:
	ds_read_b128 v[2:5], v9
	s_and_b64 vcc, exec, s[0:1]
	s_cbranch_vccnz .LBB114_778
; %bb.777:
	scratch_load_dwordx4 v[162:165], v8, off
	s_waitcnt vmcnt(0) lgkmcnt(0)
	v_mul_f64 v[10:11], v[2:3], v[164:165]
	v_mul_f64 v[6:7], v[4:5], v[164:165]
	v_fmac_f64_e32 v[10:11], v[4:5], v[162:163]
	v_fma_f64 v[2:3], v[2:3], v[162:163], -v[6:7]
	v_mov_b64_e32 v[4:5], v[10:11]
.LBB114_778:
	v_cmp_ne_u32_e32 vcc, 47, v0
	s_and_saveexec_b64 s[6:7], vcc
	s_cbranch_execz .LBB114_782
; %bb.779:
	v_mov_b32_e32 v7, 0
	v_add_u32_e32 v6, 0x340, v68
	v_add3_u32 v7, v68, v7, 24
	s_mov_b64 s[8:9], 0
	v_mov_b32_e32 v162, v0
.LBB114_780:                            ; =>This Inner Loop Header: Depth=1
	v_add_u32_e32 v10, -8, v7
	scratch_load_dwordx4 v[164:167], v10, off
	ds_read_b128 v[168:171], v6
	v_add_u32_e32 v162, 1, v162
	v_cmp_lt_u32_e32 vcc, 46, v162
	v_add_u32_e32 v6, 16, v6
	v_add_u32_e32 v7, 16, v7
	s_or_b64 s[8:9], vcc, s[8:9]
	s_waitcnt vmcnt(0) lgkmcnt(0)
	v_mul_f64 v[10:11], v[170:171], v[166:167]
	v_mul_f64 v[12:13], v[168:169], v[166:167]
	v_fma_f64 v[10:11], v[168:169], v[164:165], -v[10:11]
	v_fmac_f64_e32 v[12:13], v[170:171], v[164:165]
	v_add_f64 v[2:3], v[2:3], v[10:11]
	v_add_f64 v[4:5], v[4:5], v[12:13]
	s_andn2_b64 exec, exec, s[8:9]
	s_cbranch_execnz .LBB114_780
; %bb.781:
	s_or_b64 exec, exec, s[8:9]
.LBB114_782:
	s_or_b64 exec, exec, s[6:7]
	v_mov_b32_e32 v6, 0
	ds_read_b128 v[162:165], v6 offset:768
	s_waitcnt lgkmcnt(0)
	v_mul_f64 v[6:7], v[4:5], v[164:165]
	v_mul_f64 v[166:167], v[2:3], v[164:165]
	v_fma_f64 v[164:165], v[2:3], v[162:163], -v[6:7]
	v_fmac_f64_e32 v[166:167], v[4:5], v[162:163]
	scratch_store_dwordx4 off, v[164:167], off offset:768
.LBB114_783:
	s_or_b64 exec, exec, s[2:3]
	scratch_load_dwordx4 v[2:5], v36, off
	v_cmp_gt_u32_e64 s[2:3], 49, v0
	s_waitcnt vmcnt(0)
	ds_write_b128 v9, v[2:5]
	s_waitcnt lgkmcnt(0)
	; wave barrier
	s_waitcnt lgkmcnt(0)
	s_and_saveexec_b64 s[6:7], s[2:3]
	s_cbranch_execz .LBB114_791
; %bb.784:
	ds_read_b128 v[2:5], v9
	s_and_b64 vcc, exec, s[0:1]
	s_cbranch_vccnz .LBB114_786
; %bb.785:
	scratch_load_dwordx4 v[162:165], v8, off
	s_waitcnt vmcnt(0) lgkmcnt(0)
	v_mul_f64 v[10:11], v[2:3], v[164:165]
	v_mul_f64 v[6:7], v[4:5], v[164:165]
	v_fmac_f64_e32 v[10:11], v[4:5], v[162:163]
	v_fma_f64 v[2:3], v[2:3], v[162:163], -v[6:7]
	v_mov_b64_e32 v[4:5], v[10:11]
.LBB114_786:
	v_cmp_ne_u32_e32 vcc, 48, v0
	s_and_saveexec_b64 s[8:9], vcc
	s_cbranch_execz .LBB114_790
; %bb.787:
	v_mov_b32_e32 v7, 0
	v_add_u32_e32 v6, 0x340, v68
	v_add3_u32 v7, v68, v7, 24
	s_mov_b64 s[10:11], 0
	v_mov_b32_e32 v162, v0
.LBB114_788:                            ; =>This Inner Loop Header: Depth=1
	v_add_u32_e32 v10, -8, v7
	scratch_load_dwordx4 v[164:167], v10, off
	ds_read_b128 v[168:171], v6
	v_add_u32_e32 v162, 1, v162
	v_cmp_lt_u32_e32 vcc, 47, v162
	v_add_u32_e32 v6, 16, v6
	v_add_u32_e32 v7, 16, v7
	s_or_b64 s[10:11], vcc, s[10:11]
	s_waitcnt vmcnt(0) lgkmcnt(0)
	v_mul_f64 v[10:11], v[170:171], v[166:167]
	v_mul_f64 v[12:13], v[168:169], v[166:167]
	v_fma_f64 v[10:11], v[168:169], v[164:165], -v[10:11]
	v_fmac_f64_e32 v[12:13], v[170:171], v[164:165]
	v_add_f64 v[2:3], v[2:3], v[10:11]
	v_add_f64 v[4:5], v[4:5], v[12:13]
	s_andn2_b64 exec, exec, s[10:11]
	s_cbranch_execnz .LBB114_788
; %bb.789:
	s_or_b64 exec, exec, s[10:11]
.LBB114_790:
	s_or_b64 exec, exec, s[8:9]
	v_mov_b32_e32 v6, 0
	ds_read_b128 v[162:165], v6 offset:784
	s_waitcnt lgkmcnt(0)
	v_mul_f64 v[6:7], v[4:5], v[164:165]
	v_mul_f64 v[166:167], v[2:3], v[164:165]
	v_fma_f64 v[164:165], v[2:3], v[162:163], -v[6:7]
	v_fmac_f64_e32 v[166:167], v[4:5], v[162:163]
	scratch_store_dwordx4 off, v[164:167], off offset:784
.LBB114_791:
	s_or_b64 exec, exec, s[6:7]
	scratch_load_dwordx4 v[2:5], v1, off
	v_cmp_ne_u32_e32 vcc, 50, v0
                                        ; implicit-def: $vgpr6_vgpr7
                                        ; implicit-def: $vgpr162
	s_waitcnt vmcnt(0)
	ds_write_b128 v9, v[2:5]
	s_waitcnt lgkmcnt(0)
	; wave barrier
	s_waitcnt lgkmcnt(0)
	s_and_saveexec_b64 s[6:7], vcc
	s_cbranch_execz .LBB114_799
; %bb.792:
	ds_read_b128 v[2:5], v9
	s_and_b64 vcc, exec, s[0:1]
	s_cbranch_vccnz .LBB114_794
; %bb.793:
	scratch_load_dwordx4 v[6:9], v8, off
	s_waitcnt vmcnt(0) lgkmcnt(0)
	v_mul_f64 v[10:11], v[4:5], v[8:9]
	v_mul_f64 v[8:9], v[2:3], v[8:9]
	v_fmac_f64_e32 v[8:9], v[4:5], v[6:7]
	v_fma_f64 v[2:3], v[2:3], v[6:7], -v[10:11]
	v_mov_b64_e32 v[4:5], v[8:9]
.LBB114_794:
	s_and_saveexec_b64 s[0:1], s[2:3]
	s_cbranch_execz .LBB114_798
; %bb.795:
	v_mov_b32_e32 v7, 0
	v_add_u32_e32 v6, 0x340, v68
	v_add3_u32 v7, v68, v7, 24
	s_mov_b64 s[2:3], 0
.LBB114_796:                            ; =>This Inner Loop Header: Depth=1
	v_add_u32_e32 v8, -8, v7
	scratch_load_dwordx4 v[162:165], v8, off
	ds_read_b128 v[166:169], v6
	v_add_u32_e32 v0, 1, v0
	v_cmp_lt_u32_e32 vcc, 48, v0
	v_add_u32_e32 v6, 16, v6
	v_add_u32_e32 v7, 16, v7
	s_or_b64 s[2:3], vcc, s[2:3]
	s_waitcnt vmcnt(0) lgkmcnt(0)
	v_mul_f64 v[8:9], v[168:169], v[164:165]
	v_mul_f64 v[10:11], v[166:167], v[164:165]
	v_fma_f64 v[8:9], v[166:167], v[162:163], -v[8:9]
	v_fmac_f64_e32 v[10:11], v[168:169], v[162:163]
	v_add_f64 v[2:3], v[2:3], v[8:9]
	v_add_f64 v[4:5], v[4:5], v[10:11]
	s_andn2_b64 exec, exec, s[2:3]
	s_cbranch_execnz .LBB114_796
; %bb.797:
	s_or_b64 exec, exec, s[2:3]
.LBB114_798:
	s_or_b64 exec, exec, s[0:1]
	v_mov_b32_e32 v0, 0
	ds_read_b128 v[164:167], v0 offset:800
	v_mov_b32_e32 v0, 0
	v_add_u32_e32 v162, 0x328, v0
	s_or_b64 s[4:5], s[4:5], exec
	s_waitcnt lgkmcnt(0)
	v_mul_f64 v[8:9], v[4:5], v[166:167]
	v_mul_f64 v[6:7], v[2:3], v[166:167]
	v_fma_f64 v[2:3], v[2:3], v[164:165], -v[8:9]
	v_fmac_f64_e32 v[6:7], v[4:5], v[164:165]
	scratch_store_dwordx2 off, v[2:3], off offset:800
.LBB114_799:
	s_or_b64 exec, exec, s[6:7]
.LBB114_800:
	v_mov_b32_e32 v68, v173
	v_mov_b32_e32 v0, v172
	s_and_saveexec_b64 s[0:1], s[4:5]
	s_cbranch_execz .LBB114_802
; %bb.801:
	scratch_store_dwordx2 v162, v[6:7], off
.LBB114_802:
	s_or_b64 exec, exec, s[0:1]
	scratch_load_dwordx4 v[2:5], off, off
	scratch_load_dwordx4 v[6:9], v161, off
	s_nop 0
	scratch_load_dwordx4 v[160:163], v160, off
	s_nop 0
	scratch_load_dwordx4 v[164:167], v159, off
	scratch_load_dwordx4 v[168:171], v158, off
	scratch_load_dwordx4 v[172:175], v157, off
	s_nop 0
	scratch_load_dwordx4 v[156:159], v156, off
	s_nop 0
	scratch_load_dwordx4 v[176:179], v155, off
	scratch_load_dwordx4 v[180:183], v154, off
	;; [unrolled: 6-line block ×8, first 2 shown]
	s_waitcnt vmcnt(32)
	global_store_dwordx4 v[18:19], v[2:5], off
	scratch_load_dwordx4 v[2:5], v129, off
	s_nop 0
	scratch_load_dwordx4 v[128:131], v128, off
	s_waitcnt vmcnt(34)
	global_store_dwordx4 v[20:21], v[6:9], off
	scratch_load_dwordx4 v[6:9], v127, off
	s_nop 0
	scratch_load_dwordx4 v[18:21], v126, off
	;; [unrolled: 5-line block ×9, first 2 shown]
	v_accvgpr_read_b32 v0, a0
	v_accvgpr_read_b32 v1, a1
	s_waitcnt vmcnt(50)
	global_store_dwordx4 v[0:1], v[184:187], off
	s_waitcnt vmcnt(50)
	global_store_dwordx4 v[38:39], v[152:155], off
	;; [unrolled: 2-line block ×42, first 2 shown]
.LBB114_803:
	s_endpgm
	.section	.rodata,"a",@progbits
	.p2align	6, 0x0
	.amdhsa_kernel _ZN9rocsolver6v33100L18trti2_kernel_smallILi51E19rocblas_complex_numIdEPKPS3_EEv13rocblas_fill_17rocblas_diagonal_T1_iil
		.amdhsa_group_segment_fixed_size 1632
		.amdhsa_private_segment_fixed_size 832
		.amdhsa_kernarg_size 32
		.amdhsa_user_sgpr_count 2
		.amdhsa_user_sgpr_dispatch_ptr 0
		.amdhsa_user_sgpr_queue_ptr 0
		.amdhsa_user_sgpr_kernarg_segment_ptr 1
		.amdhsa_user_sgpr_dispatch_id 0
		.amdhsa_user_sgpr_kernarg_preload_length 0
		.amdhsa_user_sgpr_kernarg_preload_offset 0
		.amdhsa_user_sgpr_private_segment_size 0
		.amdhsa_uses_dynamic_stack 0
		.amdhsa_enable_private_segment 1
		.amdhsa_system_sgpr_workgroup_id_x 1
		.amdhsa_system_sgpr_workgroup_id_y 0
		.amdhsa_system_sgpr_workgroup_id_z 0
		.amdhsa_system_sgpr_workgroup_info 0
		.amdhsa_system_vgpr_workitem_id 0
		.amdhsa_next_free_vgpr 258
		.amdhsa_next_free_sgpr 12
		.amdhsa_accum_offset 256
		.amdhsa_reserve_vcc 1
		.amdhsa_float_round_mode_32 0
		.amdhsa_float_round_mode_16_64 0
		.amdhsa_float_denorm_mode_32 3
		.amdhsa_float_denorm_mode_16_64 3
		.amdhsa_dx10_clamp 1
		.amdhsa_ieee_mode 1
		.amdhsa_fp16_overflow 0
		.amdhsa_tg_split 0
		.amdhsa_exception_fp_ieee_invalid_op 0
		.amdhsa_exception_fp_denorm_src 0
		.amdhsa_exception_fp_ieee_div_zero 0
		.amdhsa_exception_fp_ieee_overflow 0
		.amdhsa_exception_fp_ieee_underflow 0
		.amdhsa_exception_fp_ieee_inexact 0
		.amdhsa_exception_int_div_zero 0
	.end_amdhsa_kernel
	.section	.text._ZN9rocsolver6v33100L18trti2_kernel_smallILi51E19rocblas_complex_numIdEPKPS3_EEv13rocblas_fill_17rocblas_diagonal_T1_iil,"axG",@progbits,_ZN9rocsolver6v33100L18trti2_kernel_smallILi51E19rocblas_complex_numIdEPKPS3_EEv13rocblas_fill_17rocblas_diagonal_T1_iil,comdat
.Lfunc_end114:
	.size	_ZN9rocsolver6v33100L18trti2_kernel_smallILi51E19rocblas_complex_numIdEPKPS3_EEv13rocblas_fill_17rocblas_diagonal_T1_iil, .Lfunc_end114-_ZN9rocsolver6v33100L18trti2_kernel_smallILi51E19rocblas_complex_numIdEPKPS3_EEv13rocblas_fill_17rocblas_diagonal_T1_iil
                                        ; -- End function
	.section	.AMDGPU.csdata,"",@progbits
; Kernel info:
; codeLenInByte = 33704
; NumSgprs: 18
; NumVgprs: 256
; NumAgprs: 2
; TotalNumVgprs: 258
; ScratchSize: 832
; MemoryBound: 0
; FloatMode: 240
; IeeeMode: 1
; LDSByteSize: 1632 bytes/workgroup (compile time only)
; SGPRBlocks: 2
; VGPRBlocks: 32
; NumSGPRsForWavesPerEU: 18
; NumVGPRsForWavesPerEU: 258
; AccumOffset: 256
; Occupancy: 1
; WaveLimiterHint : 1
; COMPUTE_PGM_RSRC2:SCRATCH_EN: 1
; COMPUTE_PGM_RSRC2:USER_SGPR: 2
; COMPUTE_PGM_RSRC2:TRAP_HANDLER: 0
; COMPUTE_PGM_RSRC2:TGID_X_EN: 1
; COMPUTE_PGM_RSRC2:TGID_Y_EN: 0
; COMPUTE_PGM_RSRC2:TGID_Z_EN: 0
; COMPUTE_PGM_RSRC2:TIDIG_COMP_CNT: 0
; COMPUTE_PGM_RSRC3_GFX90A:ACCUM_OFFSET: 63
; COMPUTE_PGM_RSRC3_GFX90A:TG_SPLIT: 0
	.section	.text._ZN9rocsolver6v33100L18trti2_kernel_smallILi52E19rocblas_complex_numIdEPKPS3_EEv13rocblas_fill_17rocblas_diagonal_T1_iil,"axG",@progbits,_ZN9rocsolver6v33100L18trti2_kernel_smallILi52E19rocblas_complex_numIdEPKPS3_EEv13rocblas_fill_17rocblas_diagonal_T1_iil,comdat
	.globl	_ZN9rocsolver6v33100L18trti2_kernel_smallILi52E19rocblas_complex_numIdEPKPS3_EEv13rocblas_fill_17rocblas_diagonal_T1_iil ; -- Begin function _ZN9rocsolver6v33100L18trti2_kernel_smallILi52E19rocblas_complex_numIdEPKPS3_EEv13rocblas_fill_17rocblas_diagonal_T1_iil
	.p2align	8
	.type	_ZN9rocsolver6v33100L18trti2_kernel_smallILi52E19rocblas_complex_numIdEPKPS3_EEv13rocblas_fill_17rocblas_diagonal_T1_iil,@function
_ZN9rocsolver6v33100L18trti2_kernel_smallILi52E19rocblas_complex_numIdEPKPS3_EEv13rocblas_fill_17rocblas_diagonal_T1_iil: ; @_ZN9rocsolver6v33100L18trti2_kernel_smallILi52E19rocblas_complex_numIdEPKPS3_EEv13rocblas_fill_17rocblas_diagonal_T1_iil
; %bb.0:
	v_cmp_gt_u32_e32 vcc, 52, v0
	s_and_saveexec_b64 s[4:5], vcc
	s_cbranch_execz .LBB115_819
; %bb.1:
	s_load_dwordx2 s[8:9], s[0:1], 0x10
	s_load_dwordx4 s[4:7], s[0:1], 0x0
	s_ashr_i32 s3, s2, 31
	s_lshl_b64 s[2:3], s[2:3], 3
	v_lshlrev_b32_e32 v116, 4, v0
	s_waitcnt lgkmcnt(0)
	s_ashr_i32 s1, s8, 31
	s_add_u32 s2, s6, s2
	s_addc_u32 s3, s7, s3
	s_load_dwordx2 s[2:3], s[2:3], 0x0
	s_mov_b32 s0, s8
	s_lshl_b64 s[0:1], s[0:1], 4
	v_mov_b32_e32 v117, 0
	v_mov_b32_e32 v1, 0
	s_waitcnt lgkmcnt(0)
	s_add_u32 s0, s2, s0
	s_addc_u32 s1, s3, s1
	s_add_i32 s2, s9, s9
	v_add_u32_e32 v6, s2, v0
	v_add_u32_e32 v10, s9, v6
	;; [unrolled: 1-line block ×13, first 2 shown]
	v_ashrrev_i32_e32 v11, 31, v10
	v_lshl_add_u64 v[32:33], v[10:11], 4, s[0:1]
	v_add_u32_e32 v10, s9, v98
	s_mov_b32 s2, s9
	s_ashr_i32 s3, s9, 31
	v_lshl_add_u64 v[40:41], s[0:1], 0, v[116:117]
	v_ashrrev_i32_e32 v13, 31, v12
	v_ashrrev_i32_e32 v15, 31, v14
	v_ashrrev_i32_e32 v17, 31, v16
	v_ashrrev_i32_e32 v21, 31, v20
	v_ashrrev_i32_e32 v23, 31, v22
	v_ashrrev_i32_e32 v29, 31, v28
	v_ashrrev_i32_e32 v35, 31, v34
	v_ashrrev_i32_e32 v37, 31, v36
	v_ashrrev_i32_e32 v43, 31, v42
	v_ashrrev_i32_e32 v45, 31, v44
	v_ashrrev_i32_e32 v11, 31, v10
	v_ashrrev_i32_e32 v7, 31, v6
	v_lshl_add_u64 v[38:39], s[2:3], 4, v[40:41]
	v_lshl_add_u64 v[26:27], v[12:13], 4, s[0:1]
	;; [unrolled: 1-line block ×11, first 2 shown]
	v_ashrrev_i32_e32 v99, 31, v98
	v_lshl_add_u64 v[42:43], v[10:11], 4, s[0:1]
	global_load_dwordx4 v[2:5], v116, s[0:1]
	v_lshl_add_u64 v[24:25], v[6:7], 4, s[0:1]
	global_load_dwordx4 v[6:9], v[38:39], off
	global_load_dwordx4 v[46:49], v[24:25], off
	;; [unrolled: 1-line block ×12, first 2 shown]
	v_lshl_add_u64 v[36:37], v[98:99], 4, s[0:1]
	global_load_dwordx4 v[90:93], v[34:35], off
	global_load_dwordx4 v[94:97], v[36:37], off
	;; [unrolled: 1-line block ×3, first 2 shown]
	v_add_u32_e32 v10, s9, v10
	v_add_u32_e32 v102, s9, v10
	;; [unrolled: 1-line block ×36, first 2 shown]
	v_ashrrev_i32_e32 v45, 31, v44
	v_lshl_add_u64 v[44:45], v[44:45], 4, s[0:1]
	global_load_dwordx4 v[118:121], v[44:45], off
	v_ashrrev_i32_e32 v11, 31, v10
	v_ashrrev_i32_e32 v103, 31, v102
	;; [unrolled: 1-line block ×21, first 2 shown]
	s_waitcnt vmcnt(16)
	scratch_store_dwordx4 off, v[2:5], off
	s_waitcnt vmcnt(16)
	scratch_store_dwordx4 off, v[6:9], off offset:16
	s_waitcnt vmcnt(16)
	scratch_store_dwordx4 off, v[46:49], off offset:32
	;; [unrolled: 2-line block ×14, first 2 shown]
	v_lshl_add_u64 v[46:47], v[10:11], 4, s[0:1]
	s_waitcnt vmcnt(16)
	scratch_store_dwordx4 off, v[98:101], off offset:240
	v_lshl_add_u64 v[48:49], v[102:103], 4, s[0:1]
	v_lshl_add_u64 v[50:51], v[104:105], 4, s[0:1]
	v_lshl_add_u64 v[52:53], v[106:107], 4, s[0:1]
	v_lshl_add_u64 v[54:55], v[108:109], 4, s[0:1]
	v_lshl_add_u64 v[56:57], v[110:111], 4, s[0:1]
	v_lshl_add_u64 v[58:59], v[112:113], 4, s[0:1]
	v_lshl_add_u64 v[60:61], v[114:115], 4, s[0:1]
	v_ashrrev_i32_e32 v143, 31, v142
	v_lshl_add_u64 v[64:65], v[150:151], 4, s[0:1]
	v_ashrrev_i32_e32 v153, 31, v152
	v_lshl_add_u64 v[68:69], v[158:159], 4, s[0:1]
	;; [unrolled: 2-line block ×13, first 2 shown]
	v_ashrrev_i32_e32 v249, 31, v248
	global_load_dwordx4 v[2:5], v[46:47], off
	global_load_dwordx4 v[6:9], v[48:49], off
	;; [unrolled: 1-line block ×7, first 2 shown]
	v_lshl_add_u64 v[62:63], v[142:143], 4, s[0:1]
	global_load_dwordx4 v[142:145], v[60:61], off
	global_load_dwordx4 v[146:149], v[62:63], off
	v_lshl_add_u64 v[66:67], v[152:153], 4, s[0:1]
	global_load_dwordx4 v[150:153], v[64:65], off
	global_load_dwordx4 v[154:157], v[66:67], off
	;; [unrolled: 3-line block ×14, first 2 shown]
	s_cmpk_lg_i32 s5, 0x84
	s_cselect_b64 s[6:7], -1, 0
	s_cmpk_eq_i32 s5, 0x84
	s_waitcnt vmcnt(34)
	scratch_store_dwordx4 off, v[2:5], off offset:256
	s_waitcnt vmcnt(34)
	scratch_store_dwordx4 off, v[6:9], off offset:272
	;; [unrolled: 2-line block ×35, first 2 shown]
	scratch_store_dwordx4 off, v[118:121], off offset:816
	s_cbranch_scc1 .LBB115_7
; %bb.2:
	scratch_load_dwordx4 v[8:11], v116, off
                                        ; implicit-def: $vgpr6_vgpr7
	s_waitcnt vmcnt(0)
	v_xor_b32_e32 v3, 0x80000000, v9
	v_cmp_gt_f64_e32 vcc, 0, v[8:9]
	v_xor_b32_e32 v4, 0x80000000, v11
	v_mov_b32_e32 v2, v8
	v_cndmask_b32_e32 v3, v9, v3, vcc
	v_cmp_gt_f64_e32 vcc, 0, v[10:11]
	s_nop 1
	v_cndmask_b32_e32 v5, v11, v4, vcc
	v_mov_b32_e32 v4, v10
	v_cmp_ngt_f64_e32 vcc, v[2:3], v[4:5]
                                        ; implicit-def: $vgpr2_vgpr3
	s_and_saveexec_b64 s[0:1], vcc
	s_xor_b64 s[0:1], exec, s[0:1]
	s_cbranch_execz .LBB115_4
; %bb.3:
	v_div_scale_f64 v[2:3], s[2:3], v[10:11], v[10:11], v[8:9]
	v_rcp_f64_e32 v[4:5], v[2:3]
	v_div_scale_f64 v[6:7], vcc, v[8:9], v[10:11], v[8:9]
	v_fma_f64 v[118:119], -v[2:3], v[4:5], 1.0
	v_fmac_f64_e32 v[4:5], v[4:5], v[118:119]
	v_fma_f64 v[118:119], -v[2:3], v[4:5], 1.0
	v_fmac_f64_e32 v[4:5], v[4:5], v[118:119]
	v_mul_f64 v[118:119], v[6:7], v[4:5]
	v_fma_f64 v[2:3], -v[2:3], v[118:119], v[6:7]
	v_div_fmas_f64 v[2:3], v[2:3], v[4:5], v[118:119]
	v_div_fixup_f64 v[2:3], v[2:3], v[10:11], v[8:9]
	v_fmac_f64_e32 v[10:11], v[8:9], v[2:3]
	v_div_scale_f64 v[4:5], s[2:3], v[10:11], v[10:11], 1.0
	v_rcp_f64_e32 v[6:7], v[4:5]
	s_nop 0
	v_fma_f64 v[8:9], -v[4:5], v[6:7], 1.0
	v_fmac_f64_e32 v[6:7], v[6:7], v[8:9]
	v_fma_f64 v[8:9], -v[4:5], v[6:7], 1.0
	v_fmac_f64_e32 v[6:7], v[6:7], v[8:9]
	v_div_scale_f64 v[8:9], vcc, 1.0, v[10:11], 1.0
	v_mul_f64 v[118:119], v[8:9], v[6:7]
	v_fma_f64 v[4:5], -v[4:5], v[118:119], v[8:9]
                                        ; implicit-def: $vgpr8_vgpr9
	s_nop 1
	v_div_fmas_f64 v[4:5], v[4:5], v[6:7], v[118:119]
	v_div_fixup_f64 v[4:5], v[4:5], v[10:11], 1.0
	v_mul_f64 v[2:3], v[2:3], v[4:5]
	v_xor_b32_e32 v5, 0x80000000, v5
	v_xor_b32_e32 v7, 0x80000000, v3
	v_mov_b32_e32 v6, v2
.LBB115_4:
	s_or_saveexec_b64 s[0:1], s[0:1]
	v_add_u32_e32 v117, 0, v116
	s_xor_b64 exec, exec, s[0:1]
	s_cbranch_execz .LBB115_6
; %bb.5:
	v_div_scale_f64 v[2:3], s[2:3], v[8:9], v[8:9], v[10:11]
	v_rcp_f64_e32 v[4:5], v[2:3]
	v_div_scale_f64 v[6:7], vcc, v[10:11], v[8:9], v[10:11]
	v_fma_f64 v[118:119], -v[2:3], v[4:5], 1.0
	v_fmac_f64_e32 v[4:5], v[4:5], v[118:119]
	v_fma_f64 v[118:119], -v[2:3], v[4:5], 1.0
	v_fmac_f64_e32 v[4:5], v[4:5], v[118:119]
	v_mul_f64 v[118:119], v[6:7], v[4:5]
	v_fma_f64 v[2:3], -v[2:3], v[118:119], v[6:7]
	v_div_fmas_f64 v[2:3], v[2:3], v[4:5], v[118:119]
	v_div_fixup_f64 v[4:5], v[2:3], v[8:9], v[10:11]
	v_fmac_f64_e32 v[8:9], v[10:11], v[4:5]
	v_div_scale_f64 v[2:3], s[2:3], v[8:9], v[8:9], 1.0
	v_rcp_f64_e32 v[6:7], v[2:3]
	s_nop 0
	v_fma_f64 v[10:11], -v[2:3], v[6:7], 1.0
	v_fmac_f64_e32 v[6:7], v[6:7], v[10:11]
	v_fma_f64 v[10:11], -v[2:3], v[6:7], 1.0
	v_fmac_f64_e32 v[6:7], v[6:7], v[10:11]
	v_div_scale_f64 v[10:11], vcc, 1.0, v[8:9], 1.0
	v_mul_f64 v[118:119], v[10:11], v[6:7]
	v_fma_f64 v[2:3], -v[2:3], v[118:119], v[10:11]
	s_nop 1
	v_div_fmas_f64 v[2:3], v[2:3], v[6:7], v[118:119]
	v_div_fixup_f64 v[2:3], v[2:3], v[8:9], 1.0
	v_xor_b32_e32 v7, 0x80000000, v3
	v_mov_b32_e32 v6, v2
	v_mul_f64 v[4:5], v[4:5], -v[2:3]
.LBB115_6:
	s_or_b64 exec, exec, s[0:1]
	scratch_store_dwordx4 v117, v[2:5], off
	s_nop 1
	v_xor_b32_e32 v5, 0x80000000, v5
	s_branch .LBB115_8
.LBB115_7:
	v_mov_b64_e32 v[4:5], 0
	v_mov_b64_e32 v[6:7], -1.0
.LBB115_8:
	v_mov_b32_e32 v8, v4
	v_mov_b32_e32 v9, v5
	v_add_u32_e32 v164, 16, v1
	v_add_u32_e32 v163, 32, v1
	;; [unrolled: 1-line block ×51, first 2 shown]
	ds_write_b128 v116, v[6:9]
	s_cmpk_eq_i32 s4, 0x79
	v_add_u32_e32 v9, 0x340, v116
	v_add_u32_e32 v8, 0, v116
	s_cbranch_scc1 .LBB115_412
; %bb.9:
	scratch_load_dwordx4 v[2:5], v174, off
	v_cmp_eq_u32_e64 s[0:1], 51, v0
	s_waitcnt vmcnt(0)
	ds_write_b128 v9, v[2:5]
	s_waitcnt lgkmcnt(0)
	; wave barrier
	s_waitcnt lgkmcnt(0)
	s_and_saveexec_b64 s[2:3], s[0:1]
	s_cbranch_execz .LBB115_13
; %bb.10:
	ds_read_b128 v[2:5], v9
	s_andn2_b64 vcc, exec, s[6:7]
	s_cbranch_vccnz .LBB115_12
; %bb.11:
	scratch_load_dwordx4 v[166:169], v8, off
	s_waitcnt vmcnt(0) lgkmcnt(0)
	v_mul_f64 v[118:119], v[2:3], v[168:169]
	v_mul_f64 v[6:7], v[4:5], v[168:169]
	v_fmac_f64_e32 v[118:119], v[4:5], v[166:167]
	v_fma_f64 v[2:3], v[2:3], v[166:167], -v[6:7]
	v_mov_b64_e32 v[4:5], v[118:119]
.LBB115_12:
	v_mov_b32_e32 v6, 0
	ds_read_b128 v[166:169], v6 offset:800
	s_waitcnt lgkmcnt(0)
	v_mul_f64 v[6:7], v[4:5], v[168:169]
	v_mul_f64 v[170:171], v[2:3], v[168:169]
	v_fma_f64 v[168:169], v[2:3], v[166:167], -v[6:7]
	v_fmac_f64_e32 v[170:171], v[4:5], v[166:167]
	scratch_store_dwordx4 off, v[168:171], off offset:800
.LBB115_13:
	s_or_b64 exec, exec, s[2:3]
	scratch_load_dwordx4 v[2:5], v175, off
	v_cmp_lt_u32_e64 s[2:3], 49, v0
	s_waitcnt vmcnt(0)
	ds_write_b128 v9, v[2:5]
	s_waitcnt lgkmcnt(0)
	; wave barrier
	s_waitcnt lgkmcnt(0)
	s_and_saveexec_b64 s[4:5], s[2:3]
	s_cbranch_execz .LBB115_19
; %bb.14:
	ds_read_b128 v[2:5], v9
	s_andn2_b64 vcc, exec, s[6:7]
	s_cbranch_vccnz .LBB115_16
; %bb.15:
	scratch_load_dwordx4 v[166:169], v8, off
	s_waitcnt vmcnt(0) lgkmcnt(0)
	v_mul_f64 v[118:119], v[2:3], v[168:169]
	v_mul_f64 v[6:7], v[4:5], v[168:169]
	v_fmac_f64_e32 v[118:119], v[4:5], v[166:167]
	v_fma_f64 v[2:3], v[2:3], v[166:167], -v[6:7]
	v_mov_b64_e32 v[4:5], v[118:119]
.LBB115_16:
	s_and_saveexec_b64 s[8:9], s[0:1]
	s_cbranch_execz .LBB115_18
; %bb.17:
	scratch_load_dwordx4 v[166:169], off, off offset:800
	v_mov_b32_e32 v6, 0
	ds_read_b128 v[170:173], v6 offset:1632
	s_waitcnt vmcnt(0) lgkmcnt(0)
	v_mul_f64 v[6:7], v[170:171], v[168:169]
	v_mul_f64 v[118:119], v[172:173], v[168:169]
	v_fmac_f64_e32 v[6:7], v[172:173], v[166:167]
	v_fma_f64 v[118:119], v[170:171], v[166:167], -v[118:119]
	v_add_f64 v[4:5], v[4:5], v[6:7]
	v_add_f64 v[2:3], v[2:3], v[118:119]
.LBB115_18:
	s_or_b64 exec, exec, s[8:9]
	v_mov_b32_e32 v6, 0
	ds_read_b128 v[166:169], v6 offset:784
	s_waitcnt lgkmcnt(0)
	v_mul_f64 v[6:7], v[4:5], v[168:169]
	v_mul_f64 v[170:171], v[2:3], v[168:169]
	v_fma_f64 v[168:169], v[2:3], v[166:167], -v[6:7]
	v_fmac_f64_e32 v[170:171], v[4:5], v[166:167]
	scratch_store_dwordx4 off, v[168:171], off offset:784
.LBB115_19:
	s_or_b64 exec, exec, s[4:5]
	scratch_load_dwordx4 v[2:5], v10, off
	v_cmp_lt_u32_e64 s[0:1], 48, v0
	s_waitcnt vmcnt(0)
	ds_write_b128 v9, v[2:5]
	s_waitcnt lgkmcnt(0)
	; wave barrier
	s_waitcnt lgkmcnt(0)
	s_and_saveexec_b64 s[4:5], s[0:1]
	s_cbranch_execz .LBB115_27
; %bb.20:
	ds_read_b128 v[2:5], v9
	s_andn2_b64 vcc, exec, s[6:7]
	s_cbranch_vccnz .LBB115_22
; %bb.21:
	scratch_load_dwordx4 v[166:169], v8, off
	s_waitcnt vmcnt(0) lgkmcnt(0)
	v_mul_f64 v[118:119], v[2:3], v[168:169]
	v_mul_f64 v[6:7], v[4:5], v[168:169]
	v_fmac_f64_e32 v[118:119], v[4:5], v[166:167]
	v_fma_f64 v[2:3], v[2:3], v[166:167], -v[6:7]
	v_mov_b64_e32 v[4:5], v[118:119]
.LBB115_22:
	s_and_saveexec_b64 s[8:9], s[2:3]
	s_cbranch_execz .LBB115_26
; %bb.23:
	v_mov_b32_e32 v7, 0
	v_subrev_u32_e32 v6, 49, v0
	v_add_u32_e32 v7, 0x318, v7
	s_movk_i32 s10, 0x650
	s_mov_b64 s[2:3], 0
.LBB115_24:                             ; =>This Inner Loop Header: Depth=1
	v_add_u32_e32 v117, -8, v7
	scratch_load_dwordx4 v[166:169], v117, off
	v_mov_b32_e32 v117, s10
	ds_read_b128 v[170:173], v117
	v_add_u32_e32 v6, -1, v6
	s_add_i32 s10, s10, 16
	v_cmp_eq_u32_e32 vcc, 0, v6
	v_add_u32_e32 v7, 16, v7
	s_or_b64 s[2:3], vcc, s[2:3]
	s_waitcnt vmcnt(0) lgkmcnt(0)
	v_mul_f64 v[118:119], v[172:173], v[168:169]
	v_mul_f64 v[168:169], v[170:171], v[168:169]
	v_fma_f64 v[118:119], v[170:171], v[166:167], -v[118:119]
	v_fmac_f64_e32 v[168:169], v[172:173], v[166:167]
	v_add_f64 v[2:3], v[2:3], v[118:119]
	v_add_f64 v[4:5], v[4:5], v[168:169]
	s_andn2_b64 exec, exec, s[2:3]
	s_cbranch_execnz .LBB115_24
; %bb.25:
	s_or_b64 exec, exec, s[2:3]
.LBB115_26:
	s_or_b64 exec, exec, s[8:9]
	v_mov_b32_e32 v6, 0
	ds_read_b128 v[166:169], v6 offset:768
	s_waitcnt lgkmcnt(0)
	v_mul_f64 v[6:7], v[4:5], v[168:169]
	v_mul_f64 v[170:171], v[2:3], v[168:169]
	v_fma_f64 v[168:169], v[2:3], v[166:167], -v[6:7]
	v_fmac_f64_e32 v[170:171], v[4:5], v[166:167]
	scratch_store_dwordx4 off, v[168:171], off offset:768
.LBB115_27:
	s_or_b64 exec, exec, s[4:5]
	scratch_load_dwordx4 v[2:5], v11, off
	v_cmp_lt_u32_e64 s[2:3], 47, v0
	s_waitcnt vmcnt(0)
	ds_write_b128 v9, v[2:5]
	s_waitcnt lgkmcnt(0)
	; wave barrier
	s_waitcnt lgkmcnt(0)
	s_and_saveexec_b64 s[4:5], s[2:3]
	s_cbranch_execz .LBB115_35
; %bb.28:
	ds_read_b128 v[2:5], v9
	s_andn2_b64 vcc, exec, s[6:7]
	s_cbranch_vccnz .LBB115_30
; %bb.29:
	scratch_load_dwordx4 v[166:169], v8, off
	s_waitcnt vmcnt(0) lgkmcnt(0)
	v_mul_f64 v[118:119], v[2:3], v[168:169]
	v_mul_f64 v[6:7], v[4:5], v[168:169]
	v_fmac_f64_e32 v[118:119], v[4:5], v[166:167]
	v_fma_f64 v[2:3], v[2:3], v[166:167], -v[6:7]
	v_mov_b64_e32 v[4:5], v[118:119]
.LBB115_30:
	s_and_saveexec_b64 s[8:9], s[0:1]
	s_cbranch_execz .LBB115_34
; %bb.31:
	v_mov_b32_e32 v7, 0
	v_subrev_u32_e32 v6, 48, v0
	v_add_u32_e32 v7, 0x308, v7
	s_movk_i32 s10, 0x640
	s_mov_b64 s[0:1], 0
.LBB115_32:                             ; =>This Inner Loop Header: Depth=1
	v_add_u32_e32 v117, -8, v7
	scratch_load_dwordx4 v[166:169], v117, off
	v_mov_b32_e32 v117, s10
	ds_read_b128 v[170:173], v117
	v_add_u32_e32 v6, -1, v6
	s_add_i32 s10, s10, 16
	v_cmp_eq_u32_e32 vcc, 0, v6
	v_add_u32_e32 v7, 16, v7
	s_or_b64 s[0:1], vcc, s[0:1]
	s_waitcnt vmcnt(0) lgkmcnt(0)
	v_mul_f64 v[118:119], v[172:173], v[168:169]
	v_mul_f64 v[168:169], v[170:171], v[168:169]
	v_fma_f64 v[118:119], v[170:171], v[166:167], -v[118:119]
	v_fmac_f64_e32 v[168:169], v[172:173], v[166:167]
	v_add_f64 v[2:3], v[2:3], v[118:119]
	v_add_f64 v[4:5], v[4:5], v[168:169]
	s_andn2_b64 exec, exec, s[0:1]
	s_cbranch_execnz .LBB115_32
; %bb.33:
	s_or_b64 exec, exec, s[0:1]
.LBB115_34:
	s_or_b64 exec, exec, s[8:9]
	v_mov_b32_e32 v6, 0
	ds_read_b128 v[166:169], v6 offset:752
	s_waitcnt lgkmcnt(0)
	v_mul_f64 v[6:7], v[4:5], v[168:169]
	v_mul_f64 v[170:171], v[2:3], v[168:169]
	v_fma_f64 v[168:169], v[2:3], v[166:167], -v[6:7]
	v_fmac_f64_e32 v[170:171], v[4:5], v[166:167]
	scratch_store_dwordx4 off, v[168:171], off offset:752
.LBB115_35:
	;; [unrolled: 63-line block ×10, first 2 shown]
	s_or_b64 exec, exec, s[4:5]
	scratch_load_dwordx4 v[2:5], v127, off
	v_cmp_lt_u32_e64 s[0:1], 38, v0
	s_waitcnt vmcnt(0)
	ds_write_b128 v9, v[2:5]
	s_waitcnt lgkmcnt(0)
	; wave barrier
	s_waitcnt lgkmcnt(0)
	s_and_saveexec_b64 s[4:5], s[0:1]
	s_cbranch_execz .LBB115_107
; %bb.100:
	ds_read_b128 v[2:5], v9
	s_andn2_b64 vcc, exec, s[6:7]
	s_cbranch_vccnz .LBB115_102
; %bb.101:
	scratch_load_dwordx4 v[166:169], v8, off
	s_waitcnt vmcnt(0) lgkmcnt(0)
	v_mul_f64 v[118:119], v[2:3], v[168:169]
	v_mul_f64 v[6:7], v[4:5], v[168:169]
	v_fmac_f64_e32 v[118:119], v[4:5], v[166:167]
	v_fma_f64 v[2:3], v[2:3], v[166:167], -v[6:7]
	v_mov_b64_e32 v[4:5], v[118:119]
.LBB115_102:
	s_and_saveexec_b64 s[8:9], s[2:3]
	s_cbranch_execz .LBB115_106
; %bb.103:
	v_mov_b32_e32 v7, 0
	v_subrev_u32_e32 v6, 39, v0
	v_add_u32_e32 v7, 0x278, v7
	s_movk_i32 s10, 0x5b0
	s_mov_b64 s[2:3], 0
.LBB115_104:                            ; =>This Inner Loop Header: Depth=1
	v_add_u32_e32 v117, -8, v7
	scratch_load_dwordx4 v[166:169], v117, off
	v_mov_b32_e32 v117, s10
	ds_read_b128 v[170:173], v117
	v_add_u32_e32 v6, -1, v6
	s_add_i32 s10, s10, 16
	v_cmp_eq_u32_e32 vcc, 0, v6
	v_add_u32_e32 v7, 16, v7
	s_or_b64 s[2:3], vcc, s[2:3]
	s_waitcnt vmcnt(0) lgkmcnt(0)
	v_mul_f64 v[118:119], v[172:173], v[168:169]
	v_mul_f64 v[168:169], v[170:171], v[168:169]
	v_fma_f64 v[118:119], v[170:171], v[166:167], -v[118:119]
	v_fmac_f64_e32 v[168:169], v[172:173], v[166:167]
	v_add_f64 v[2:3], v[2:3], v[118:119]
	v_add_f64 v[4:5], v[4:5], v[168:169]
	s_andn2_b64 exec, exec, s[2:3]
	s_cbranch_execnz .LBB115_104
; %bb.105:
	s_or_b64 exec, exec, s[2:3]
.LBB115_106:
	s_or_b64 exec, exec, s[8:9]
	v_mov_b32_e32 v6, 0
	ds_read_b128 v[166:169], v6 offset:608
	s_waitcnt lgkmcnt(0)
	v_mul_f64 v[6:7], v[4:5], v[168:169]
	v_mul_f64 v[170:171], v[2:3], v[168:169]
	v_fma_f64 v[168:169], v[2:3], v[166:167], -v[6:7]
	v_fmac_f64_e32 v[170:171], v[4:5], v[166:167]
	scratch_store_dwordx4 off, v[168:171], off offset:608
.LBB115_107:
	s_or_b64 exec, exec, s[4:5]
	scratch_load_dwordx4 v[2:5], v128, off
	v_cmp_lt_u32_e64 s[2:3], 37, v0
	s_waitcnt vmcnt(0)
	ds_write_b128 v9, v[2:5]
	s_waitcnt lgkmcnt(0)
	; wave barrier
	s_waitcnt lgkmcnt(0)
	s_and_saveexec_b64 s[4:5], s[2:3]
	s_cbranch_execz .LBB115_115
; %bb.108:
	ds_read_b128 v[2:5], v9
	s_andn2_b64 vcc, exec, s[6:7]
	s_cbranch_vccnz .LBB115_110
; %bb.109:
	scratch_load_dwordx4 v[166:169], v8, off
	s_waitcnt vmcnt(0) lgkmcnt(0)
	v_mul_f64 v[118:119], v[2:3], v[168:169]
	v_mul_f64 v[6:7], v[4:5], v[168:169]
	v_fmac_f64_e32 v[118:119], v[4:5], v[166:167]
	v_fma_f64 v[2:3], v[2:3], v[166:167], -v[6:7]
	v_mov_b64_e32 v[4:5], v[118:119]
.LBB115_110:
	s_and_saveexec_b64 s[8:9], s[0:1]
	s_cbranch_execz .LBB115_114
; %bb.111:
	v_mov_b32_e32 v7, 0
	v_subrev_u32_e32 v6, 38, v0
	v_add_u32_e32 v7, 0x268, v7
	s_movk_i32 s10, 0x5a0
	s_mov_b64 s[0:1], 0
.LBB115_112:                            ; =>This Inner Loop Header: Depth=1
	v_add_u32_e32 v117, -8, v7
	scratch_load_dwordx4 v[166:169], v117, off
	v_mov_b32_e32 v117, s10
	ds_read_b128 v[170:173], v117
	v_add_u32_e32 v6, -1, v6
	s_add_i32 s10, s10, 16
	v_cmp_eq_u32_e32 vcc, 0, v6
	v_add_u32_e32 v7, 16, v7
	s_or_b64 s[0:1], vcc, s[0:1]
	s_waitcnt vmcnt(0) lgkmcnt(0)
	v_mul_f64 v[118:119], v[172:173], v[168:169]
	v_mul_f64 v[168:169], v[170:171], v[168:169]
	v_fma_f64 v[118:119], v[170:171], v[166:167], -v[118:119]
	v_fmac_f64_e32 v[168:169], v[172:173], v[166:167]
	v_add_f64 v[2:3], v[2:3], v[118:119]
	v_add_f64 v[4:5], v[4:5], v[168:169]
	s_andn2_b64 exec, exec, s[0:1]
	s_cbranch_execnz .LBB115_112
; %bb.113:
	s_or_b64 exec, exec, s[0:1]
.LBB115_114:
	s_or_b64 exec, exec, s[8:9]
	v_mov_b32_e32 v6, 0
	ds_read_b128 v[166:169], v6 offset:592
	s_waitcnt lgkmcnt(0)
	v_mul_f64 v[6:7], v[4:5], v[168:169]
	v_mul_f64 v[170:171], v[2:3], v[168:169]
	v_fma_f64 v[168:169], v[2:3], v[166:167], -v[6:7]
	v_fmac_f64_e32 v[170:171], v[4:5], v[166:167]
	scratch_store_dwordx4 off, v[168:171], off offset:592
.LBB115_115:
	;; [unrolled: 63-line block ×23, first 2 shown]
	s_or_b64 exec, exec, s[4:5]
	scratch_load_dwordx4 v[2:5], v150, off
	v_cmp_lt_u32_e64 s[2:3], 15, v0
	s_waitcnt vmcnt(0)
	ds_write_b128 v9, v[2:5]
	s_waitcnt lgkmcnt(0)
	; wave barrier
	s_waitcnt lgkmcnt(0)
	s_and_saveexec_b64 s[4:5], s[2:3]
	s_cbranch_execz .LBB115_291
; %bb.284:
	ds_read_b128 v[2:5], v9
	s_andn2_b64 vcc, exec, s[6:7]
	s_cbranch_vccnz .LBB115_286
; %bb.285:
	scratch_load_dwordx4 v[166:169], v8, off
	s_waitcnt vmcnt(0) lgkmcnt(0)
	v_mul_f64 v[118:119], v[2:3], v[168:169]
	v_mul_f64 v[6:7], v[4:5], v[168:169]
	v_fmac_f64_e32 v[118:119], v[4:5], v[166:167]
	v_fma_f64 v[2:3], v[2:3], v[166:167], -v[6:7]
	v_mov_b64_e32 v[4:5], v[118:119]
.LBB115_286:
	s_and_saveexec_b64 s[8:9], s[0:1]
	s_cbranch_execz .LBB115_290
; %bb.287:
	v_mov_b32_e32 v7, 0
	v_add_u32_e32 v6, -16, v0
	v_add_u32_e32 v7, 0x108, v7
	s_movk_i32 s10, 0x440
	s_mov_b64 s[0:1], 0
.LBB115_288:                            ; =>This Inner Loop Header: Depth=1
	v_add_u32_e32 v117, -8, v7
	scratch_load_dwordx4 v[166:169], v117, off
	v_mov_b32_e32 v117, s10
	ds_read_b128 v[170:173], v117
	v_add_u32_e32 v6, -1, v6
	s_add_i32 s10, s10, 16
	v_cmp_eq_u32_e32 vcc, 0, v6
	v_add_u32_e32 v7, 16, v7
	s_or_b64 s[0:1], vcc, s[0:1]
	s_waitcnt vmcnt(0) lgkmcnt(0)
	v_mul_f64 v[118:119], v[172:173], v[168:169]
	v_mul_f64 v[168:169], v[170:171], v[168:169]
	v_fma_f64 v[118:119], v[170:171], v[166:167], -v[118:119]
	v_fmac_f64_e32 v[168:169], v[172:173], v[166:167]
	v_add_f64 v[2:3], v[2:3], v[118:119]
	v_add_f64 v[4:5], v[4:5], v[168:169]
	s_andn2_b64 exec, exec, s[0:1]
	s_cbranch_execnz .LBB115_288
; %bb.289:
	s_or_b64 exec, exec, s[0:1]
.LBB115_290:
	s_or_b64 exec, exec, s[8:9]
	v_mov_b32_e32 v6, 0
	ds_read_b128 v[166:169], v6 offset:240
	s_waitcnt lgkmcnt(0)
	v_mul_f64 v[6:7], v[4:5], v[168:169]
	v_mul_f64 v[170:171], v[2:3], v[168:169]
	v_fma_f64 v[168:169], v[2:3], v[166:167], -v[6:7]
	v_fmac_f64_e32 v[170:171], v[4:5], v[166:167]
	scratch_store_dwordx4 off, v[168:171], off offset:240
.LBB115_291:
	s_or_b64 exec, exec, s[4:5]
	scratch_load_dwordx4 v[2:5], v151, off
	v_cmp_lt_u32_e64 s[0:1], 14, v0
	s_waitcnt vmcnt(0)
	ds_write_b128 v9, v[2:5]
	s_waitcnt lgkmcnt(0)
	; wave barrier
	s_waitcnt lgkmcnt(0)
	s_and_saveexec_b64 s[4:5], s[0:1]
	s_cbranch_execz .LBB115_299
; %bb.292:
	ds_read_b128 v[2:5], v9
	s_andn2_b64 vcc, exec, s[6:7]
	s_cbranch_vccnz .LBB115_294
; %bb.293:
	scratch_load_dwordx4 v[166:169], v8, off
	s_waitcnt vmcnt(0) lgkmcnt(0)
	v_mul_f64 v[118:119], v[2:3], v[168:169]
	v_mul_f64 v[6:7], v[4:5], v[168:169]
	v_fmac_f64_e32 v[118:119], v[4:5], v[166:167]
	v_fma_f64 v[2:3], v[2:3], v[166:167], -v[6:7]
	v_mov_b64_e32 v[4:5], v[118:119]
.LBB115_294:
	s_and_saveexec_b64 s[8:9], s[2:3]
	s_cbranch_execz .LBB115_298
; %bb.295:
	v_mov_b32_e32 v7, 0
	v_add_u32_e32 v6, -15, v0
	v_add_u32_e32 v7, 0xf8, v7
	s_movk_i32 s10, 0x430
	s_mov_b64 s[2:3], 0
.LBB115_296:                            ; =>This Inner Loop Header: Depth=1
	v_add_u32_e32 v117, -8, v7
	scratch_load_dwordx4 v[166:169], v117, off
	v_mov_b32_e32 v117, s10
	ds_read_b128 v[170:173], v117
	v_add_u32_e32 v6, -1, v6
	s_add_i32 s10, s10, 16
	v_cmp_eq_u32_e32 vcc, 0, v6
	v_add_u32_e32 v7, 16, v7
	s_or_b64 s[2:3], vcc, s[2:3]
	s_waitcnt vmcnt(0) lgkmcnt(0)
	v_mul_f64 v[118:119], v[172:173], v[168:169]
	v_mul_f64 v[168:169], v[170:171], v[168:169]
	v_fma_f64 v[118:119], v[170:171], v[166:167], -v[118:119]
	v_fmac_f64_e32 v[168:169], v[172:173], v[166:167]
	v_add_f64 v[2:3], v[2:3], v[118:119]
	v_add_f64 v[4:5], v[4:5], v[168:169]
	s_andn2_b64 exec, exec, s[2:3]
	s_cbranch_execnz .LBB115_296
; %bb.297:
	s_or_b64 exec, exec, s[2:3]
.LBB115_298:
	s_or_b64 exec, exec, s[8:9]
	v_mov_b32_e32 v6, 0
	ds_read_b128 v[166:169], v6 offset:224
	s_waitcnt lgkmcnt(0)
	v_mul_f64 v[6:7], v[4:5], v[168:169]
	v_mul_f64 v[170:171], v[2:3], v[168:169]
	v_fma_f64 v[168:169], v[2:3], v[166:167], -v[6:7]
	v_fmac_f64_e32 v[170:171], v[4:5], v[166:167]
	scratch_store_dwordx4 off, v[168:171], off offset:224
.LBB115_299:
	;; [unrolled: 63-line block ×15, first 2 shown]
	s_or_b64 exec, exec, s[2:3]
	scratch_load_dwordx4 v[2:5], off, off
	v_cmp_ne_u32_e32 vcc, 0, v0
	s_mov_b64 s[2:3], 0
	s_mov_b64 s[4:5], 0
                                        ; implicit-def: $vgpr6_vgpr7
                                        ; implicit-def: $vgpr165
	s_waitcnt vmcnt(0)
	ds_write_b128 v9, v[2:5]
	s_waitcnt lgkmcnt(0)
	; wave barrier
	s_waitcnt lgkmcnt(0)
	s_and_saveexec_b64 s[8:9], vcc
	s_cbranch_execz .LBB115_411
; %bb.404:
	ds_read_b128 v[2:5], v9
	s_andn2_b64 vcc, exec, s[6:7]
	s_cbranch_vccnz .LBB115_406
; %bb.405:
	scratch_load_dwordx4 v[166:169], v8, off
	s_waitcnt vmcnt(0) lgkmcnt(0)
	v_mul_f64 v[118:119], v[2:3], v[168:169]
	v_mul_f64 v[6:7], v[4:5], v[168:169]
	v_fmac_f64_e32 v[118:119], v[4:5], v[166:167]
	v_fma_f64 v[2:3], v[2:3], v[166:167], -v[6:7]
	v_mov_b64_e32 v[4:5], v[118:119]
.LBB115_406:
	s_and_saveexec_b64 s[4:5], s[0:1]
	s_cbranch_execz .LBB115_410
; %bb.407:
	v_mov_b32_e32 v7, 0
	v_add_u32_e32 v6, -1, v0
	v_add_u32_e32 v7, 24, v7
	s_movk_i32 s10, 0x350
	s_mov_b64 s[0:1], 0
.LBB115_408:                            ; =>This Inner Loop Header: Depth=1
	v_add_u32_e32 v117, -8, v7
	scratch_load_dwordx4 v[166:169], v117, off
	v_mov_b32_e32 v117, s10
	ds_read_b128 v[170:173], v117
	v_add_u32_e32 v6, -1, v6
	s_add_i32 s10, s10, 16
	v_cmp_eq_u32_e32 vcc, 0, v6
	v_add_u32_e32 v7, 16, v7
	s_or_b64 s[0:1], vcc, s[0:1]
	s_waitcnt vmcnt(0) lgkmcnt(0)
	v_mul_f64 v[118:119], v[172:173], v[168:169]
	v_mul_f64 v[168:169], v[170:171], v[168:169]
	v_fma_f64 v[118:119], v[170:171], v[166:167], -v[118:119]
	v_fmac_f64_e32 v[168:169], v[172:173], v[166:167]
	v_add_f64 v[2:3], v[2:3], v[118:119]
	v_add_f64 v[4:5], v[4:5], v[168:169]
	s_andn2_b64 exec, exec, s[0:1]
	s_cbranch_execnz .LBB115_408
; %bb.409:
	s_or_b64 exec, exec, s[0:1]
.LBB115_410:
	s_or_b64 exec, exec, s[4:5]
	v_mov_b32_e32 v6, 0
	ds_read_b128 v[166:169], v6
	v_mov_b32_e32 v6, 0
	v_or_b32_e32 v165, 8, v6
	s_mov_b64 s[4:5], exec
	s_waitcnt lgkmcnt(0)
	v_mul_f64 v[118:119], v[4:5], v[168:169]
	v_mul_f64 v[6:7], v[2:3], v[168:169]
	v_fma_f64 v[2:3], v[2:3], v[166:167], -v[118:119]
	v_fmac_f64_e32 v[6:7], v[4:5], v[166:167]
	scratch_store_dwordx2 off, v[2:3], off
.LBB115_411:
	s_or_b64 exec, exec, s[8:9]
	s_and_b64 vcc, exec, s[2:3]
	s_cbranch_vccnz .LBB115_413
	s_branch .LBB115_816
.LBB115_412:
	s_mov_b64 s[4:5], 0
                                        ; implicit-def: $vgpr6_vgpr7
                                        ; implicit-def: $vgpr165
	s_cbranch_execz .LBB115_816
.LBB115_413:
	scratch_load_dwordx4 v[2:5], v164, off
	v_cndmask_b32_e64 v6, 0, 1, s[6:7]
	v_cmp_eq_u32_e64 s[2:3], 0, v0
	v_cmp_ne_u32_e64 s[0:1], 1, v6
	s_waitcnt vmcnt(0)
	ds_write_b128 v9, v[2:5]
	s_waitcnt lgkmcnt(0)
	; wave barrier
	s_waitcnt lgkmcnt(0)
	s_and_saveexec_b64 s[6:7], s[2:3]
	s_cbranch_execz .LBB115_417
; %bb.414:
	ds_read_b128 v[2:5], v9
	s_and_b64 vcc, exec, s[0:1]
	s_cbranch_vccnz .LBB115_416
; %bb.415:
	scratch_load_dwordx4 v[166:169], v8, off
	s_waitcnt vmcnt(0) lgkmcnt(0)
	v_mul_f64 v[118:119], v[2:3], v[168:169]
	v_mul_f64 v[6:7], v[4:5], v[168:169]
	v_fmac_f64_e32 v[118:119], v[4:5], v[166:167]
	v_fma_f64 v[2:3], v[2:3], v[166:167], -v[6:7]
	v_mov_b64_e32 v[4:5], v[118:119]
.LBB115_416:
	v_mov_b32_e32 v6, 0
	ds_read_b128 v[166:169], v6 offset:16
	s_waitcnt lgkmcnt(0)
	v_mul_f64 v[6:7], v[4:5], v[168:169]
	v_mul_f64 v[170:171], v[2:3], v[168:169]
	v_fma_f64 v[168:169], v[2:3], v[166:167], -v[6:7]
	v_fmac_f64_e32 v[170:171], v[4:5], v[166:167]
	scratch_store_dwordx4 off, v[168:171], off offset:16
.LBB115_417:
	s_or_b64 exec, exec, s[6:7]
	scratch_load_dwordx4 v[2:5], v163, off
	v_cmp_gt_u32_e32 vcc, 2, v0
	s_waitcnt vmcnt(0)
	ds_write_b128 v9, v[2:5]
	s_waitcnt lgkmcnt(0)
	; wave barrier
	s_waitcnt lgkmcnt(0)
	s_and_saveexec_b64 s[6:7], vcc
	s_cbranch_execz .LBB115_423
; %bb.418:
	ds_read_b128 v[2:5], v9
	s_and_b64 vcc, exec, s[0:1]
	s_cbranch_vccnz .LBB115_420
; %bb.419:
	scratch_load_dwordx4 v[166:169], v8, off
	s_waitcnt vmcnt(0) lgkmcnt(0)
	v_mul_f64 v[118:119], v[2:3], v[168:169]
	v_mul_f64 v[6:7], v[4:5], v[168:169]
	v_fmac_f64_e32 v[118:119], v[4:5], v[166:167]
	v_fma_f64 v[2:3], v[2:3], v[166:167], -v[6:7]
	v_mov_b64_e32 v[4:5], v[118:119]
.LBB115_420:
	s_and_saveexec_b64 s[8:9], s[2:3]
	s_cbranch_execz .LBB115_422
; %bb.421:
	scratch_load_dwordx4 v[166:169], v8, off offset:16
	ds_read_b128 v[170:173], v9 offset:16
	s_waitcnt vmcnt(0) lgkmcnt(0)
	v_mul_f64 v[6:7], v[172:173], v[168:169]
	v_mul_f64 v[118:119], v[170:171], v[168:169]
	v_fma_f64 v[6:7], v[170:171], v[166:167], -v[6:7]
	v_fmac_f64_e32 v[118:119], v[172:173], v[166:167]
	v_add_f64 v[2:3], v[2:3], v[6:7]
	v_add_f64 v[4:5], v[4:5], v[118:119]
.LBB115_422:
	s_or_b64 exec, exec, s[8:9]
	v_mov_b32_e32 v6, 0
	ds_read_b128 v[166:169], v6 offset:32
	s_waitcnt lgkmcnt(0)
	v_mul_f64 v[6:7], v[4:5], v[168:169]
	v_mul_f64 v[170:171], v[2:3], v[168:169]
	v_fma_f64 v[168:169], v[2:3], v[166:167], -v[6:7]
	v_fmac_f64_e32 v[170:171], v[4:5], v[166:167]
	scratch_store_dwordx4 off, v[168:171], off offset:32
.LBB115_423:
	s_or_b64 exec, exec, s[6:7]
	scratch_load_dwordx4 v[2:5], v162, off
	v_cmp_gt_u32_e32 vcc, 3, v0
	s_waitcnt vmcnt(0)
	ds_write_b128 v9, v[2:5]
	s_waitcnt lgkmcnt(0)
	; wave barrier
	s_waitcnt lgkmcnt(0)
	s_and_saveexec_b64 s[6:7], vcc
	s_cbranch_execz .LBB115_431
; %bb.424:
	ds_read_b128 v[2:5], v9
	s_and_b64 vcc, exec, s[0:1]
	s_cbranch_vccnz .LBB115_426
; %bb.425:
	scratch_load_dwordx4 v[166:169], v8, off
	s_waitcnt vmcnt(0) lgkmcnt(0)
	v_mul_f64 v[118:119], v[2:3], v[168:169]
	v_mul_f64 v[6:7], v[4:5], v[168:169]
	v_fmac_f64_e32 v[118:119], v[4:5], v[166:167]
	v_fma_f64 v[2:3], v[2:3], v[166:167], -v[6:7]
	v_mov_b64_e32 v[4:5], v[118:119]
.LBB115_426:
	v_cmp_ne_u32_e32 vcc, 2, v0
	s_and_saveexec_b64 s[8:9], vcc
	s_cbranch_execz .LBB115_430
; %bb.427:
	scratch_load_dwordx4 v[166:169], v8, off offset:16
	ds_read_b128 v[170:173], v9 offset:16
	s_waitcnt vmcnt(0) lgkmcnt(0)
	v_mul_f64 v[6:7], v[172:173], v[168:169]
	v_mul_f64 v[118:119], v[170:171], v[168:169]
	v_fma_f64 v[6:7], v[170:171], v[166:167], -v[6:7]
	v_fmac_f64_e32 v[118:119], v[172:173], v[166:167]
	v_add_f64 v[2:3], v[2:3], v[6:7]
	v_add_f64 v[4:5], v[4:5], v[118:119]
	s_and_saveexec_b64 s[10:11], s[2:3]
	s_cbranch_execz .LBB115_429
; %bb.428:
	scratch_load_dwordx4 v[166:169], off, off offset:32
	v_mov_b32_e32 v6, 0
	ds_read_b128 v[170:173], v6 offset:864
	s_waitcnt vmcnt(0) lgkmcnt(0)
	v_mul_f64 v[6:7], v[170:171], v[168:169]
	v_mul_f64 v[118:119], v[172:173], v[168:169]
	v_fmac_f64_e32 v[6:7], v[172:173], v[166:167]
	v_fma_f64 v[118:119], v[170:171], v[166:167], -v[118:119]
	v_add_f64 v[4:5], v[4:5], v[6:7]
	v_add_f64 v[2:3], v[2:3], v[118:119]
.LBB115_429:
	s_or_b64 exec, exec, s[10:11]
.LBB115_430:
	s_or_b64 exec, exec, s[8:9]
	v_mov_b32_e32 v6, 0
	ds_read_b128 v[166:169], v6 offset:48
	s_waitcnt lgkmcnt(0)
	v_mul_f64 v[6:7], v[4:5], v[168:169]
	v_mul_f64 v[170:171], v[2:3], v[168:169]
	v_fma_f64 v[168:169], v[2:3], v[166:167], -v[6:7]
	v_fmac_f64_e32 v[170:171], v[4:5], v[166:167]
	scratch_store_dwordx4 off, v[168:171], off offset:48
.LBB115_431:
	s_or_b64 exec, exec, s[6:7]
	scratch_load_dwordx4 v[2:5], v161, off
	v_cmp_gt_u32_e32 vcc, 4, v0
	s_waitcnt vmcnt(0)
	ds_write_b128 v9, v[2:5]
	s_waitcnt lgkmcnt(0)
	; wave barrier
	s_waitcnt lgkmcnt(0)
	s_and_saveexec_b64 s[2:3], vcc
	s_cbranch_execz .LBB115_439
; %bb.432:
	ds_read_b128 v[2:5], v9
	s_and_b64 vcc, exec, s[0:1]
	s_cbranch_vccnz .LBB115_434
; %bb.433:
	scratch_load_dwordx4 v[166:169], v8, off
	s_waitcnt vmcnt(0) lgkmcnt(0)
	v_mul_f64 v[118:119], v[2:3], v[168:169]
	v_mul_f64 v[6:7], v[4:5], v[168:169]
	v_fmac_f64_e32 v[118:119], v[4:5], v[166:167]
	v_fma_f64 v[2:3], v[2:3], v[166:167], -v[6:7]
	v_mov_b64_e32 v[4:5], v[118:119]
.LBB115_434:
	v_cmp_ne_u32_e32 vcc, 3, v0
	s_and_saveexec_b64 s[6:7], vcc
	s_cbranch_execz .LBB115_438
; %bb.435:
	v_mov_b32_e32 v7, 0
	v_add_u32_e32 v6, 0x350, v116
	v_add3_u32 v7, v116, v7, 24
	s_mov_b64 s[8:9], 0
	v_mov_b32_e32 v165, v0
.LBB115_436:                            ; =>This Inner Loop Header: Depth=1
	v_add_u32_e32 v117, -8, v7
	scratch_load_dwordx4 v[166:169], v117, off
	ds_read_b128 v[170:173], v6
	v_add_u32_e32 v165, 1, v165
	v_cmp_lt_u32_e32 vcc, 2, v165
	v_add_u32_e32 v6, 16, v6
	v_add_u32_e32 v7, 16, v7
	s_or_b64 s[8:9], vcc, s[8:9]
	s_waitcnt vmcnt(0) lgkmcnt(0)
	v_mul_f64 v[118:119], v[172:173], v[168:169]
	v_mul_f64 v[168:169], v[170:171], v[168:169]
	v_fma_f64 v[118:119], v[170:171], v[166:167], -v[118:119]
	v_fmac_f64_e32 v[168:169], v[172:173], v[166:167]
	v_add_f64 v[2:3], v[2:3], v[118:119]
	v_add_f64 v[4:5], v[4:5], v[168:169]
	s_andn2_b64 exec, exec, s[8:9]
	s_cbranch_execnz .LBB115_436
; %bb.437:
	s_or_b64 exec, exec, s[8:9]
.LBB115_438:
	s_or_b64 exec, exec, s[6:7]
	v_mov_b32_e32 v6, 0
	ds_read_b128 v[166:169], v6 offset:64
	s_waitcnt lgkmcnt(0)
	v_mul_f64 v[6:7], v[4:5], v[168:169]
	v_mul_f64 v[170:171], v[2:3], v[168:169]
	v_fma_f64 v[168:169], v[2:3], v[166:167], -v[6:7]
	v_fmac_f64_e32 v[170:171], v[4:5], v[166:167]
	scratch_store_dwordx4 off, v[168:171], off offset:64
.LBB115_439:
	s_or_b64 exec, exec, s[2:3]
	scratch_load_dwordx4 v[2:5], v160, off
	v_cmp_gt_u32_e32 vcc, 5, v0
	s_waitcnt vmcnt(0)
	ds_write_b128 v9, v[2:5]
	s_waitcnt lgkmcnt(0)
	; wave barrier
	s_waitcnt lgkmcnt(0)
	s_and_saveexec_b64 s[2:3], vcc
	s_cbranch_execz .LBB115_447
; %bb.440:
	ds_read_b128 v[2:5], v9
	s_and_b64 vcc, exec, s[0:1]
	s_cbranch_vccnz .LBB115_442
; %bb.441:
	scratch_load_dwordx4 v[166:169], v8, off
	s_waitcnt vmcnt(0) lgkmcnt(0)
	v_mul_f64 v[118:119], v[2:3], v[168:169]
	v_mul_f64 v[6:7], v[4:5], v[168:169]
	v_fmac_f64_e32 v[118:119], v[4:5], v[166:167]
	v_fma_f64 v[2:3], v[2:3], v[166:167], -v[6:7]
	v_mov_b64_e32 v[4:5], v[118:119]
.LBB115_442:
	v_cmp_ne_u32_e32 vcc, 4, v0
	s_and_saveexec_b64 s[6:7], vcc
	s_cbranch_execz .LBB115_446
; %bb.443:
	v_mov_b32_e32 v7, 0
	v_add_u32_e32 v6, 0x350, v116
	v_add3_u32 v7, v116, v7, 24
	s_mov_b64 s[8:9], 0
	v_mov_b32_e32 v165, v0
.LBB115_444:                            ; =>This Inner Loop Header: Depth=1
	v_add_u32_e32 v117, -8, v7
	scratch_load_dwordx4 v[166:169], v117, off
	ds_read_b128 v[170:173], v6
	v_add_u32_e32 v165, 1, v165
	v_cmp_lt_u32_e32 vcc, 3, v165
	v_add_u32_e32 v6, 16, v6
	v_add_u32_e32 v7, 16, v7
	s_or_b64 s[8:9], vcc, s[8:9]
	s_waitcnt vmcnt(0) lgkmcnt(0)
	v_mul_f64 v[118:119], v[172:173], v[168:169]
	v_mul_f64 v[168:169], v[170:171], v[168:169]
	v_fma_f64 v[118:119], v[170:171], v[166:167], -v[118:119]
	v_fmac_f64_e32 v[168:169], v[172:173], v[166:167]
	v_add_f64 v[2:3], v[2:3], v[118:119]
	v_add_f64 v[4:5], v[4:5], v[168:169]
	s_andn2_b64 exec, exec, s[8:9]
	s_cbranch_execnz .LBB115_444
; %bb.445:
	s_or_b64 exec, exec, s[8:9]
.LBB115_446:
	s_or_b64 exec, exec, s[6:7]
	v_mov_b32_e32 v6, 0
	ds_read_b128 v[166:169], v6 offset:80
	s_waitcnt lgkmcnt(0)
	v_mul_f64 v[6:7], v[4:5], v[168:169]
	v_mul_f64 v[170:171], v[2:3], v[168:169]
	v_fma_f64 v[168:169], v[2:3], v[166:167], -v[6:7]
	v_fmac_f64_e32 v[170:171], v[4:5], v[166:167]
	scratch_store_dwordx4 off, v[168:171], off offset:80
.LBB115_447:
	;; [unrolled: 63-line block ×46, first 2 shown]
	s_or_b64 exec, exec, s[2:3]
	scratch_load_dwordx4 v[2:5], v174, off
	v_cmp_gt_u32_e64 s[2:3], 50, v0
	s_waitcnt vmcnt(0)
	ds_write_b128 v9, v[2:5]
	s_waitcnt lgkmcnt(0)
	; wave barrier
	s_waitcnt lgkmcnt(0)
	s_and_saveexec_b64 s[6:7], s[2:3]
	s_cbranch_execz .LBB115_807
; %bb.800:
	ds_read_b128 v[2:5], v9
	s_and_b64 vcc, exec, s[0:1]
	s_cbranch_vccnz .LBB115_802
; %bb.801:
	scratch_load_dwordx4 v[166:169], v8, off
	s_waitcnt vmcnt(0) lgkmcnt(0)
	v_mul_f64 v[118:119], v[2:3], v[168:169]
	v_mul_f64 v[6:7], v[4:5], v[168:169]
	v_fmac_f64_e32 v[118:119], v[4:5], v[166:167]
	v_fma_f64 v[2:3], v[2:3], v[166:167], -v[6:7]
	v_mov_b64_e32 v[4:5], v[118:119]
.LBB115_802:
	v_cmp_ne_u32_e32 vcc, 49, v0
	s_and_saveexec_b64 s[8:9], vcc
	s_cbranch_execz .LBB115_806
; %bb.803:
	v_mov_b32_e32 v7, 0
	v_add_u32_e32 v6, 0x350, v116
	v_add3_u32 v7, v116, v7, 24
	s_mov_b64 s[10:11], 0
	v_mov_b32_e32 v165, v0
.LBB115_804:                            ; =>This Inner Loop Header: Depth=1
	v_add_u32_e32 v117, -8, v7
	scratch_load_dwordx4 v[166:169], v117, off
	ds_read_b128 v[170:173], v6
	v_add_u32_e32 v165, 1, v165
	v_cmp_lt_u32_e32 vcc, 48, v165
	v_add_u32_e32 v6, 16, v6
	v_add_u32_e32 v7, 16, v7
	s_or_b64 s[10:11], vcc, s[10:11]
	s_waitcnt vmcnt(0) lgkmcnt(0)
	v_mul_f64 v[118:119], v[172:173], v[168:169]
	v_mul_f64 v[168:169], v[170:171], v[168:169]
	v_fma_f64 v[118:119], v[170:171], v[166:167], -v[118:119]
	v_fmac_f64_e32 v[168:169], v[172:173], v[166:167]
	v_add_f64 v[2:3], v[2:3], v[118:119]
	v_add_f64 v[4:5], v[4:5], v[168:169]
	s_andn2_b64 exec, exec, s[10:11]
	s_cbranch_execnz .LBB115_804
; %bb.805:
	s_or_b64 exec, exec, s[10:11]
.LBB115_806:
	s_or_b64 exec, exec, s[8:9]
	v_mov_b32_e32 v6, 0
	ds_read_b128 v[166:169], v6 offset:800
	s_waitcnt lgkmcnt(0)
	v_mul_f64 v[6:7], v[4:5], v[168:169]
	v_mul_f64 v[170:171], v[2:3], v[168:169]
	v_fma_f64 v[168:169], v[2:3], v[166:167], -v[6:7]
	v_fmac_f64_e32 v[170:171], v[4:5], v[166:167]
	scratch_store_dwordx4 off, v[168:171], off offset:800
.LBB115_807:
	s_or_b64 exec, exec, s[6:7]
	scratch_load_dwordx4 v[2:5], v1, off
	v_cmp_ne_u32_e32 vcc, 51, v0
                                        ; implicit-def: $vgpr6_vgpr7
                                        ; implicit-def: $vgpr165
	s_waitcnt vmcnt(0)
	ds_write_b128 v9, v[2:5]
	s_waitcnt lgkmcnt(0)
	; wave barrier
	s_waitcnt lgkmcnt(0)
	s_and_saveexec_b64 s[6:7], vcc
	s_cbranch_execz .LBB115_815
; %bb.808:
	ds_read_b128 v[2:5], v9
	s_and_b64 vcc, exec, s[0:1]
	s_cbranch_vccnz .LBB115_810
; %bb.809:
	scratch_load_dwordx4 v[6:9], v8, off
	s_waitcnt vmcnt(0) lgkmcnt(0)
	v_mul_f64 v[118:119], v[4:5], v[8:9]
	v_mul_f64 v[8:9], v[2:3], v[8:9]
	v_fmac_f64_e32 v[8:9], v[4:5], v[6:7]
	v_fma_f64 v[2:3], v[2:3], v[6:7], -v[118:119]
	v_mov_b64_e32 v[4:5], v[8:9]
.LBB115_810:
	s_and_saveexec_b64 s[0:1], s[2:3]
	s_cbranch_execz .LBB115_814
; %bb.811:
	v_mov_b32_e32 v7, 0
	v_add_u32_e32 v6, 0x350, v116
	v_add3_u32 v7, v116, v7, 24
	s_mov_b64 s[2:3], 0
.LBB115_812:                            ; =>This Inner Loop Header: Depth=1
	v_add_u32_e32 v8, -8, v7
	scratch_load_dwordx4 v[166:169], v8, off
	ds_read_b128 v[170:173], v6
	v_add_u32_e32 v0, 1, v0
	v_cmp_lt_u32_e32 vcc, 49, v0
	v_add_u32_e32 v6, 16, v6
	v_add_u32_e32 v7, 16, v7
	s_or_b64 s[2:3], vcc, s[2:3]
	s_waitcnt vmcnt(0) lgkmcnt(0)
	v_mul_f64 v[8:9], v[172:173], v[168:169]
	v_mul_f64 v[116:117], v[170:171], v[168:169]
	v_fma_f64 v[8:9], v[170:171], v[166:167], -v[8:9]
	v_fmac_f64_e32 v[116:117], v[172:173], v[166:167]
	v_add_f64 v[2:3], v[2:3], v[8:9]
	v_add_f64 v[4:5], v[4:5], v[116:117]
	s_andn2_b64 exec, exec, s[2:3]
	s_cbranch_execnz .LBB115_812
; %bb.813:
	s_or_b64 exec, exec, s[2:3]
.LBB115_814:
	s_or_b64 exec, exec, s[0:1]
	v_mov_b32_e32 v0, 0
	ds_read_b128 v[166:169], v0 offset:816
	v_mov_b32_e32 v0, 0
	v_add_u32_e32 v165, 0x338, v0
	s_or_b64 s[4:5], s[4:5], exec
	s_waitcnt lgkmcnt(0)
	v_mul_f64 v[8:9], v[4:5], v[168:169]
	v_mul_f64 v[6:7], v[2:3], v[168:169]
	v_fma_f64 v[2:3], v[2:3], v[166:167], -v[8:9]
	v_fmac_f64_e32 v[6:7], v[4:5], v[166:167]
	scratch_store_dwordx2 off, v[2:3], off offset:816
.LBB115_815:
	s_or_b64 exec, exec, s[6:7]
.LBB115_816:
	v_accvgpr_write_b32 a1, v176
	v_accvgpr_write_b32 a0, v175
	v_mov_b32_e32 v0, v174
	s_and_saveexec_b64 s[0:1], s[4:5]
	s_cbranch_execz .LBB115_818
; %bb.817:
	scratch_store_dwordx2 v165, v[6:7], off
.LBB115_818:
	s_or_b64 exec, exec, s[0:1]
	scratch_load_dwordx4 v[2:5], off, off
	scratch_load_dwordx4 v[6:9], v164, off
	s_nop 0
	scratch_load_dwordx4 v[164:167], v163, off
	scratch_load_dwordx4 v[168:171], v162, off
	scratch_load_dwordx4 v[172:175], v161, off
	s_nop 0
	scratch_load_dwordx4 v[160:163], v160, off
	s_nop 0
	scratch_load_dwordx4 v[176:179], v159, off
	scratch_load_dwordx4 v[180:183], v158, off
	scratch_load_dwordx4 v[184:187], v157, off
	s_nop 0
	;; [unrolled: 6-line block ×7, first 2 shown]
	scratch_load_dwordx4 v[136:139], v136, off
	s_nop 0
	scratch_load_dwordx4 v[248:251], v135, off
	scratch_load_dwordx4 v[252:255], v134, off
	s_waitcnt vmcnt(31)
	global_store_dwordx4 v[40:41], v[2:5], off
	scratch_load_dwordx4 v[2:5], v133, off
	s_nop 0
	scratch_load_dwordx4 v[132:135], v132, off
	s_waitcnt vmcnt(33)
	global_store_dwordx4 v[38:39], v[6:9], off
	scratch_load_dwordx4 v[6:9], v131, off
	s_nop 0
	;; [unrolled: 5-line block ×7, first 2 shown]
	scratch_load_dwordx4 v[120:123], v120, off
	v_accvgpr_read_b32 v18, a1
	s_waitcnt vmcnt(45)
	global_store_dwordx4 v[20:21], v[180:183], off
	scratch_load_dwordx4 v[18:21], v18, off
	s_nop 0
	scratch_load_dwordx4 v[176:179], v11, off
	scratch_load_dwordx4 v[180:183], v10, off
	v_accvgpr_read_b32 v10, a0
	s_waitcnt vmcnt(48)
	global_store_dwordx4 v[14:15], v[184:187], off
	s_waitcnt vmcnt(48)
	global_store_dwordx4 v[16:17], v[156:159], off
	scratch_load_dwordx4 v[184:187], v10, off
	s_nop 0
	scratch_load_dwordx4 v[14:17], v0, off
	scratch_load_dwordx4 v[156:159], v1, off
	s_waitcnt vmcnt(51)
	global_store_dwordx4 v[12:13], v[188:191], off
	s_waitcnt vmcnt(51)
	global_store_dwordx4 v[22:23], v[192:195], off
	;; [unrolled: 2-line block ×42, first 2 shown]
.LBB115_819:
	s_endpgm
	.section	.rodata,"a",@progbits
	.p2align	6, 0x0
	.amdhsa_kernel _ZN9rocsolver6v33100L18trti2_kernel_smallILi52E19rocblas_complex_numIdEPKPS3_EEv13rocblas_fill_17rocblas_diagonal_T1_iil
		.amdhsa_group_segment_fixed_size 1664
		.amdhsa_private_segment_fixed_size 848
		.amdhsa_kernarg_size 32
		.amdhsa_user_sgpr_count 2
		.amdhsa_user_sgpr_dispatch_ptr 0
		.amdhsa_user_sgpr_queue_ptr 0
		.amdhsa_user_sgpr_kernarg_segment_ptr 1
		.amdhsa_user_sgpr_dispatch_id 0
		.amdhsa_user_sgpr_kernarg_preload_length 0
		.amdhsa_user_sgpr_kernarg_preload_offset 0
		.amdhsa_user_sgpr_private_segment_size 0
		.amdhsa_uses_dynamic_stack 0
		.amdhsa_enable_private_segment 1
		.amdhsa_system_sgpr_workgroup_id_x 1
		.amdhsa_system_sgpr_workgroup_id_y 0
		.amdhsa_system_sgpr_workgroup_id_z 0
		.amdhsa_system_sgpr_workgroup_info 0
		.amdhsa_system_vgpr_workitem_id 0
		.amdhsa_next_free_vgpr 258
		.amdhsa_next_free_sgpr 12
		.amdhsa_accum_offset 256
		.amdhsa_reserve_vcc 1
		.amdhsa_float_round_mode_32 0
		.amdhsa_float_round_mode_16_64 0
		.amdhsa_float_denorm_mode_32 3
		.amdhsa_float_denorm_mode_16_64 3
		.amdhsa_dx10_clamp 1
		.amdhsa_ieee_mode 1
		.amdhsa_fp16_overflow 0
		.amdhsa_tg_split 0
		.amdhsa_exception_fp_ieee_invalid_op 0
		.amdhsa_exception_fp_denorm_src 0
		.amdhsa_exception_fp_ieee_div_zero 0
		.amdhsa_exception_fp_ieee_overflow 0
		.amdhsa_exception_fp_ieee_underflow 0
		.amdhsa_exception_fp_ieee_inexact 0
		.amdhsa_exception_int_div_zero 0
	.end_amdhsa_kernel
	.section	.text._ZN9rocsolver6v33100L18trti2_kernel_smallILi52E19rocblas_complex_numIdEPKPS3_EEv13rocblas_fill_17rocblas_diagonal_T1_iil,"axG",@progbits,_ZN9rocsolver6v33100L18trti2_kernel_smallILi52E19rocblas_complex_numIdEPKPS3_EEv13rocblas_fill_17rocblas_diagonal_T1_iil,comdat
.Lfunc_end115:
	.size	_ZN9rocsolver6v33100L18trti2_kernel_smallILi52E19rocblas_complex_numIdEPKPS3_EEv13rocblas_fill_17rocblas_diagonal_T1_iil, .Lfunc_end115-_ZN9rocsolver6v33100L18trti2_kernel_smallILi52E19rocblas_complex_numIdEPKPS3_EEv13rocblas_fill_17rocblas_diagonal_T1_iil
                                        ; -- End function
	.section	.AMDGPU.csdata,"",@progbits
; Kernel info:
; codeLenInByte = 34356
; NumSgprs: 18
; NumVgprs: 256
; NumAgprs: 2
; TotalNumVgprs: 258
; ScratchSize: 848
; MemoryBound: 0
; FloatMode: 240
; IeeeMode: 1
; LDSByteSize: 1664 bytes/workgroup (compile time only)
; SGPRBlocks: 2
; VGPRBlocks: 32
; NumSGPRsForWavesPerEU: 18
; NumVGPRsForWavesPerEU: 258
; AccumOffset: 256
; Occupancy: 1
; WaveLimiterHint : 1
; COMPUTE_PGM_RSRC2:SCRATCH_EN: 1
; COMPUTE_PGM_RSRC2:USER_SGPR: 2
; COMPUTE_PGM_RSRC2:TRAP_HANDLER: 0
; COMPUTE_PGM_RSRC2:TGID_X_EN: 1
; COMPUTE_PGM_RSRC2:TGID_Y_EN: 0
; COMPUTE_PGM_RSRC2:TGID_Z_EN: 0
; COMPUTE_PGM_RSRC2:TIDIG_COMP_CNT: 0
; COMPUTE_PGM_RSRC3_GFX90A:ACCUM_OFFSET: 63
; COMPUTE_PGM_RSRC3_GFX90A:TG_SPLIT: 0
	.section	.text._ZN9rocsolver6v33100L18trti2_kernel_smallILi53E19rocblas_complex_numIdEPKPS3_EEv13rocblas_fill_17rocblas_diagonal_T1_iil,"axG",@progbits,_ZN9rocsolver6v33100L18trti2_kernel_smallILi53E19rocblas_complex_numIdEPKPS3_EEv13rocblas_fill_17rocblas_diagonal_T1_iil,comdat
	.globl	_ZN9rocsolver6v33100L18trti2_kernel_smallILi53E19rocblas_complex_numIdEPKPS3_EEv13rocblas_fill_17rocblas_diagonal_T1_iil ; -- Begin function _ZN9rocsolver6v33100L18trti2_kernel_smallILi53E19rocblas_complex_numIdEPKPS3_EEv13rocblas_fill_17rocblas_diagonal_T1_iil
	.p2align	8
	.type	_ZN9rocsolver6v33100L18trti2_kernel_smallILi53E19rocblas_complex_numIdEPKPS3_EEv13rocblas_fill_17rocblas_diagonal_T1_iil,@function
_ZN9rocsolver6v33100L18trti2_kernel_smallILi53E19rocblas_complex_numIdEPKPS3_EEv13rocblas_fill_17rocblas_diagonal_T1_iil: ; @_ZN9rocsolver6v33100L18trti2_kernel_smallILi53E19rocblas_complex_numIdEPKPS3_EEv13rocblas_fill_17rocblas_diagonal_T1_iil
; %bb.0:
	v_cmp_gt_u32_e32 vcc, 53, v0
	s_and_saveexec_b64 s[4:5], vcc
	s_cbranch_execz .LBB116_835
; %bb.1:
	s_load_dwordx2 s[8:9], s[0:1], 0x10
	s_load_dwordx4 s[4:7], s[0:1], 0x0
	s_ashr_i32 s3, s2, 31
	s_lshl_b64 s[0:1], s[2:3], 3
	v_lshlrev_b32_e32 v68, 4, v0
	s_waitcnt lgkmcnt(0)
	s_ashr_i32 s3, s8, 31
	s_add_u32 s0, s6, s0
	s_addc_u32 s1, s7, s1
	s_load_dwordx2 s[0:1], s[0:1], 0x0
	s_mov_b32 s2, s8
	s_lshl_b64 s[2:3], s[2:3], 4
	v_mov_b32_e32 v69, 0
	v_mov_b32_e32 v1, 0
	s_waitcnt lgkmcnt(0)
	s_add_u32 s0, s0, s2
	s_addc_u32 s1, s1, s3
	v_lshl_add_u64 v[14:15], s[0:1], 0, v[68:69]
	s_ashr_i32 s3, s9, 31
	s_mov_b32 s2, s9
	v_lshl_add_u64 v[16:17], s[2:3], 4, v[14:15]
	s_add_i32 s2, s9, s9
	v_add_u32_e32 v2, s2, v0
	v_ashrrev_i32_e32 v3, 31, v2
	v_lshl_add_u64 v[18:19], v[2:3], 4, s[0:1]
	v_add_u32_e32 v2, s9, v2
	v_ashrrev_i32_e32 v3, 31, v2
	v_lshl_add_u64 v[20:21], v[2:3], 4, s[0:1]
	;; [unrolled: 3-line block ×6, first 2 shown]
	v_add_u32_e32 v2, s9, v2
	v_ashrrev_i32_e32 v3, 31, v2
	v_add_u32_e32 v4, s9, v2
	v_lshl_add_u64 v[30:31], v[2:3], 4, s[0:1]
	v_ashrrev_i32_e32 v5, 31, v4
	v_add_u32_e32 v2, s9, v4
	v_lshl_add_u64 v[32:33], v[4:5], 4, s[0:1]
	;; [unrolled: 3-line block ×8, first 2 shown]
	v_ashrrev_i32_e32 v3, 31, v2
	global_load_dwordx4 v[6:9], v68, s[0:1]
	global_load_dwordx4 v[10:13], v[16:17], off
	global_load_dwordx4 v[56:59], v[18:19], off
	;; [unrolled: 1-line block ×14, first 2 shown]
	v_lshl_add_u64 v[46:47], v[2:3], 4, s[0:1]
	global_load_dwordx4 v[110:113], v[44:45], off
	global_load_dwordx4 v[114:117], v[46:47], off
	v_add_u32_e32 v4, s9, v2
	v_ashrrev_i32_e32 v5, 31, v4
	v_lshl_add_u64 v[48:49], v[4:5], 4, s[0:1]
	global_load_dwordx4 v[118:121], v[48:49], off
	v_add_u32_e32 v2, s9, v4
	v_add_u32_e32 v36, s9, v2
	v_ashrrev_i32_e32 v37, 31, v36
	v_add_u32_e32 v122, s9, v36
	v_ashrrev_i32_e32 v3, 31, v2
	v_lshl_add_u64 v[52:53], v[36:37], 4, s[0:1]
	v_add_u32_e32 v36, s9, v122
	v_lshl_add_u64 v[50:51], v[2:3], 4, s[0:1]
	global_load_dwordx4 v[2:5], v[50:51], off
	v_ashrrev_i32_e32 v37, 31, v36
	v_ashrrev_i32_e32 v123, 31, v122
	v_lshl_add_u64 v[54:55], v[122:123], 4, s[0:1]
	s_cmpk_lg_i32 s5, 0x84
	s_cselect_b64 s[6:7], -1, 0
	s_cmpk_eq_i32 s5, 0x84
	s_waitcnt vmcnt(18)
	scratch_store_dwordx4 off, v[6:9], off
	s_waitcnt vmcnt(18)
	scratch_store_dwordx4 off, v[10:13], off offset:16
	s_waitcnt vmcnt(18)
	scratch_store_dwordx4 off, v[56:59], off offset:32
	;; [unrolled: 2-line block ×17, first 2 shown]
	v_lshl_add_u64 v[56:57], v[36:37], 4, s[0:1]
	v_add_u32_e32 v36, s9, v36
	v_ashrrev_i32_e32 v37, 31, v36
	v_lshl_add_u64 v[58:59], v[36:37], 4, s[0:1]
	v_add_u32_e32 v36, s9, v36
	v_ashrrev_i32_e32 v37, 31, v36
	;; [unrolled: 3-line block ×31, first 2 shown]
	global_load_dwordx4 v[6:9], v[52:53], off
	global_load_dwordx4 v[10:13], v[54:55], off
	;; [unrolled: 1-line block ×32, first 2 shown]
	v_lshl_add_u64 v[120:121], v[36:37], 4, s[0:1]
	global_load_dwordx4 v[242:245], v[118:119], off
	global_load_dwordx4 v[246:249], v[120:121], off
	s_waitcnt vmcnt(52)
	scratch_store_dwordx4 off, v[2:5], off offset:288
	s_waitcnt vmcnt(34)
	scratch_store_dwordx4 off, v[6:9], off offset:304
	s_waitcnt vmcnt(34)
	scratch_store_dwordx4 off, v[10:13], off offset:320
	s_waitcnt vmcnt(34)
	scratch_store_dwordx4 off, v[122:125], off offset:336
	s_waitcnt vmcnt(34)
	scratch_store_dwordx4 off, v[126:129], off offset:352
	s_waitcnt vmcnt(34)
	scratch_store_dwordx4 off, v[130:133], off offset:368
	s_waitcnt vmcnt(34)
	scratch_store_dwordx4 off, v[134:137], off offset:384
	s_waitcnt vmcnt(34)
	scratch_store_dwordx4 off, v[138:141], off offset:400
	s_waitcnt vmcnt(34)
	scratch_store_dwordx4 off, v[142:145], off offset:416
	s_waitcnt vmcnt(34)
	scratch_store_dwordx4 off, v[146:149], off offset:432
	s_waitcnt vmcnt(34)
	scratch_store_dwordx4 off, v[150:153], off offset:448
	s_waitcnt vmcnt(34)
	scratch_store_dwordx4 off, v[154:157], off offset:464
	s_waitcnt vmcnt(34)
	scratch_store_dwordx4 off, v[158:161], off offset:480
	s_waitcnt vmcnt(34)
	scratch_store_dwordx4 off, v[162:165], off offset:496
	s_waitcnt vmcnt(34)
	scratch_store_dwordx4 off, v[166:169], off offset:512
	s_waitcnt vmcnt(34)
	scratch_store_dwordx4 off, v[170:173], off offset:528
	s_waitcnt vmcnt(34)
	scratch_store_dwordx4 off, v[174:177], off offset:544
	s_waitcnt vmcnt(34)
	scratch_store_dwordx4 off, v[178:181], off offset:560
	s_waitcnt vmcnt(34)
	scratch_store_dwordx4 off, v[182:185], off offset:576
	s_waitcnt vmcnt(34)
	scratch_store_dwordx4 off, v[186:189], off offset:592
	s_waitcnt vmcnt(34)
	scratch_store_dwordx4 off, v[190:193], off offset:608
	s_waitcnt vmcnt(34)
	scratch_store_dwordx4 off, v[194:197], off offset:624
	s_waitcnt vmcnt(34)
	scratch_store_dwordx4 off, v[198:201], off offset:640
	s_waitcnt vmcnt(34)
	scratch_store_dwordx4 off, v[202:205], off offset:656
	s_waitcnt vmcnt(34)
	scratch_store_dwordx4 off, v[206:209], off offset:672
	s_waitcnt vmcnt(34)
	scratch_store_dwordx4 off, v[210:213], off offset:688
	s_waitcnt vmcnt(34)
	scratch_store_dwordx4 off, v[214:217], off offset:704
	s_waitcnt vmcnt(34)
	scratch_store_dwordx4 off, v[218:221], off offset:720
	s_waitcnt vmcnt(34)
	scratch_store_dwordx4 off, v[222:225], off offset:736
	s_waitcnt vmcnt(34)
	scratch_store_dwordx4 off, v[226:229], off offset:752
	s_waitcnt vmcnt(34)
	scratch_store_dwordx4 off, v[230:233], off offset:768
	s_waitcnt vmcnt(34)
	scratch_store_dwordx4 off, v[234:237], off offset:784
	s_waitcnt vmcnt(34)
	scratch_store_dwordx4 off, v[238:241], off offset:800
	s_waitcnt vmcnt(34)
	scratch_store_dwordx4 off, v[242:245], off offset:816
	s_waitcnt vmcnt(34)
	scratch_store_dwordx4 off, v[246:249], off offset:832
	s_cbranch_scc1 .LBB116_7
; %bb.2:
	scratch_load_dwordx4 v[8:11], v68, off
                                        ; implicit-def: $vgpr6_vgpr7
	s_waitcnt vmcnt(0)
	v_xor_b32_e32 v3, 0x80000000, v9
	v_cmp_gt_f64_e32 vcc, 0, v[8:9]
	v_xor_b32_e32 v4, 0x80000000, v11
	v_mov_b32_e32 v2, v8
	v_cndmask_b32_e32 v3, v9, v3, vcc
	v_cmp_gt_f64_e32 vcc, 0, v[10:11]
	s_nop 1
	v_cndmask_b32_e32 v5, v11, v4, vcc
	v_mov_b32_e32 v4, v10
	v_cmp_ngt_f64_e32 vcc, v[2:3], v[4:5]
                                        ; implicit-def: $vgpr2_vgpr3
	s_and_saveexec_b64 s[0:1], vcc
	s_xor_b64 s[0:1], exec, s[0:1]
	s_cbranch_execz .LBB116_4
; %bb.3:
	v_div_scale_f64 v[2:3], s[2:3], v[10:11], v[10:11], v[8:9]
	v_rcp_f64_e32 v[4:5], v[2:3]
	v_div_scale_f64 v[6:7], vcc, v[8:9], v[10:11], v[8:9]
	v_fma_f64 v[12:13], -v[2:3], v[4:5], 1.0
	v_fmac_f64_e32 v[4:5], v[4:5], v[12:13]
	v_fma_f64 v[12:13], -v[2:3], v[4:5], 1.0
	v_fmac_f64_e32 v[4:5], v[4:5], v[12:13]
	v_mul_f64 v[12:13], v[6:7], v[4:5]
	v_fma_f64 v[2:3], -v[2:3], v[12:13], v[6:7]
	v_div_fmas_f64 v[2:3], v[2:3], v[4:5], v[12:13]
	v_div_fixup_f64 v[2:3], v[2:3], v[10:11], v[8:9]
	v_fmac_f64_e32 v[10:11], v[8:9], v[2:3]
	v_div_scale_f64 v[4:5], s[2:3], v[10:11], v[10:11], 1.0
	v_rcp_f64_e32 v[6:7], v[4:5]
	s_nop 0
	v_fma_f64 v[8:9], -v[4:5], v[6:7], 1.0
	v_fmac_f64_e32 v[6:7], v[6:7], v[8:9]
	v_fma_f64 v[8:9], -v[4:5], v[6:7], 1.0
	v_fmac_f64_e32 v[6:7], v[6:7], v[8:9]
	v_div_scale_f64 v[8:9], vcc, 1.0, v[10:11], 1.0
	v_mul_f64 v[12:13], v[8:9], v[6:7]
	v_fma_f64 v[4:5], -v[4:5], v[12:13], v[8:9]
                                        ; implicit-def: $vgpr8_vgpr9
	s_nop 1
	v_div_fmas_f64 v[4:5], v[4:5], v[6:7], v[12:13]
	v_div_fixup_f64 v[4:5], v[4:5], v[10:11], 1.0
	v_mul_f64 v[2:3], v[2:3], v[4:5]
	v_xor_b32_e32 v5, 0x80000000, v5
	v_xor_b32_e32 v7, 0x80000000, v3
	v_mov_b32_e32 v6, v2
.LBB116_4:
	s_or_saveexec_b64 s[0:1], s[0:1]
	v_add_u32_e32 v12, 0, v68
	s_xor_b64 exec, exec, s[0:1]
	s_cbranch_execz .LBB116_6
; %bb.5:
	v_div_scale_f64 v[2:3], s[2:3], v[8:9], v[8:9], v[10:11]
	v_rcp_f64_e32 v[4:5], v[2:3]
	v_div_scale_f64 v[6:7], vcc, v[10:11], v[8:9], v[10:11]
	v_fma_f64 v[36:37], -v[2:3], v[4:5], 1.0
	v_fmac_f64_e32 v[4:5], v[4:5], v[36:37]
	v_fma_f64 v[36:37], -v[2:3], v[4:5], 1.0
	v_fmac_f64_e32 v[4:5], v[4:5], v[36:37]
	v_mul_f64 v[36:37], v[6:7], v[4:5]
	v_fma_f64 v[2:3], -v[2:3], v[36:37], v[6:7]
	v_div_fmas_f64 v[2:3], v[2:3], v[4:5], v[36:37]
	v_div_fixup_f64 v[4:5], v[2:3], v[8:9], v[10:11]
	v_fmac_f64_e32 v[8:9], v[10:11], v[4:5]
	v_div_scale_f64 v[2:3], s[2:3], v[8:9], v[8:9], 1.0
	v_rcp_f64_e32 v[6:7], v[2:3]
	s_nop 0
	v_fma_f64 v[10:11], -v[2:3], v[6:7], 1.0
	v_fmac_f64_e32 v[6:7], v[6:7], v[10:11]
	v_fma_f64 v[10:11], -v[2:3], v[6:7], 1.0
	v_fmac_f64_e32 v[6:7], v[6:7], v[10:11]
	v_div_scale_f64 v[10:11], vcc, 1.0, v[8:9], 1.0
	v_mul_f64 v[36:37], v[10:11], v[6:7]
	v_fma_f64 v[2:3], -v[2:3], v[36:37], v[10:11]
	s_nop 1
	v_div_fmas_f64 v[2:3], v[2:3], v[6:7], v[36:37]
	v_div_fixup_f64 v[2:3], v[2:3], v[8:9], 1.0
	v_xor_b32_e32 v7, 0x80000000, v3
	v_mov_b32_e32 v6, v2
	v_mul_f64 v[4:5], v[4:5], -v[2:3]
.LBB116_6:
	s_or_b64 exec, exec, s[0:1]
	scratch_store_dwordx4 v12, v[2:5], off
	s_nop 1
	v_xor_b32_e32 v5, 0x80000000, v5
	s_branch .LBB116_8
.LBB116_7:
	v_mov_b64_e32 v[4:5], 0
	v_mov_b64_e32 v[6:7], -1.0
.LBB116_8:
	v_mov_b32_e32 v8, v4
	v_mov_b32_e32 v9, v5
	v_add_u32_e32 v167, 16, v1
	v_add_u32_e32 v166, 32, v1
	;; [unrolled: 1-line block ×52, first 2 shown]
	ds_write_b128 v68, v[6:9]
	s_cmpk_eq_i32 s4, 0x79
	v_add_u32_e32 v9, 0x350, v68
	v_add_u32_e32 v8, 0, v68
	s_cbranch_scc1 .LBB116_420
; %bb.9:
	scratch_load_dwordx4 v[2:5], v36, off
	v_cmp_eq_u32_e64 s[0:1], 52, v0
	s_waitcnt vmcnt(0)
	ds_write_b128 v9, v[2:5]
	s_waitcnt lgkmcnt(0)
	; wave barrier
	s_waitcnt lgkmcnt(0)
	s_and_saveexec_b64 s[2:3], s[0:1]
	s_cbranch_execz .LBB116_13
; %bb.10:
	ds_read_b128 v[2:5], v9
	s_andn2_b64 vcc, exec, s[6:7]
	s_cbranch_vccnz .LBB116_12
; %bb.11:
	scratch_load_dwordx4 v[168:171], v8, off
	s_waitcnt vmcnt(0) lgkmcnt(0)
	v_mul_f64 v[10:11], v[2:3], v[170:171]
	v_mul_f64 v[6:7], v[4:5], v[170:171]
	v_fmac_f64_e32 v[10:11], v[4:5], v[168:169]
	v_fma_f64 v[2:3], v[2:3], v[168:169], -v[6:7]
	v_mov_b64_e32 v[4:5], v[10:11]
.LBB116_12:
	v_mov_b32_e32 v6, 0
	ds_read_b128 v[168:171], v6 offset:816
	s_waitcnt lgkmcnt(0)
	v_mul_f64 v[6:7], v[4:5], v[170:171]
	v_mul_f64 v[172:173], v[2:3], v[170:171]
	v_fma_f64 v[170:171], v[2:3], v[168:169], -v[6:7]
	v_fmac_f64_e32 v[172:173], v[4:5], v[168:169]
	scratch_store_dwordx4 off, v[170:173], off offset:816
.LBB116_13:
	s_or_b64 exec, exec, s[2:3]
	scratch_load_dwordx4 v[2:5], v37, off
	v_cmp_lt_u32_e64 s[2:3], 50, v0
	s_waitcnt vmcnt(0)
	ds_write_b128 v9, v[2:5]
	s_waitcnt lgkmcnt(0)
	; wave barrier
	s_waitcnt lgkmcnt(0)
	s_and_saveexec_b64 s[4:5], s[2:3]
	s_cbranch_execz .LBB116_19
; %bb.14:
	ds_read_b128 v[2:5], v9
	s_andn2_b64 vcc, exec, s[6:7]
	s_cbranch_vccnz .LBB116_16
; %bb.15:
	scratch_load_dwordx4 v[168:171], v8, off
	s_waitcnt vmcnt(0) lgkmcnt(0)
	v_mul_f64 v[10:11], v[2:3], v[170:171]
	v_mul_f64 v[6:7], v[4:5], v[170:171]
	v_fmac_f64_e32 v[10:11], v[4:5], v[168:169]
	v_fma_f64 v[2:3], v[2:3], v[168:169], -v[6:7]
	v_mov_b64_e32 v[4:5], v[10:11]
.LBB116_16:
	s_and_saveexec_b64 s[8:9], s[0:1]
	s_cbranch_execz .LBB116_18
; %bb.17:
	scratch_load_dwordx4 v[168:171], off, off offset:816
	v_mov_b32_e32 v6, 0
	ds_read_b128 v[172:175], v6 offset:1664
	s_waitcnt vmcnt(0) lgkmcnt(0)
	v_mul_f64 v[6:7], v[172:173], v[170:171]
	v_mul_f64 v[10:11], v[174:175], v[170:171]
	v_fmac_f64_e32 v[6:7], v[174:175], v[168:169]
	v_fma_f64 v[10:11], v[172:173], v[168:169], -v[10:11]
	v_add_f64 v[4:5], v[4:5], v[6:7]
	v_add_f64 v[2:3], v[2:3], v[10:11]
.LBB116_18:
	s_or_b64 exec, exec, s[8:9]
	v_mov_b32_e32 v6, 0
	ds_read_b128 v[168:171], v6 offset:800
	s_waitcnt lgkmcnt(0)
	v_mul_f64 v[6:7], v[4:5], v[170:171]
	v_mul_f64 v[172:173], v[2:3], v[170:171]
	v_fma_f64 v[170:171], v[2:3], v[168:169], -v[6:7]
	v_fmac_f64_e32 v[172:173], v[4:5], v[168:169]
	scratch_store_dwordx4 off, v[170:173], off offset:800
.LBB116_19:
	s_or_b64 exec, exec, s[4:5]
	scratch_load_dwordx4 v[2:5], v178, off
	v_cmp_lt_u32_e64 s[0:1], 49, v0
	s_waitcnt vmcnt(0)
	ds_write_b128 v9, v[2:5]
	s_waitcnt lgkmcnt(0)
	; wave barrier
	s_waitcnt lgkmcnt(0)
	s_and_saveexec_b64 s[4:5], s[0:1]
	s_cbranch_execz .LBB116_27
; %bb.20:
	ds_read_b128 v[2:5], v9
	s_andn2_b64 vcc, exec, s[6:7]
	s_cbranch_vccnz .LBB116_22
; %bb.21:
	scratch_load_dwordx4 v[168:171], v8, off
	s_waitcnt vmcnt(0) lgkmcnt(0)
	v_mul_f64 v[10:11], v[2:3], v[170:171]
	v_mul_f64 v[6:7], v[4:5], v[170:171]
	v_fmac_f64_e32 v[10:11], v[4:5], v[168:169]
	v_fma_f64 v[2:3], v[2:3], v[168:169], -v[6:7]
	v_mov_b64_e32 v[4:5], v[10:11]
.LBB116_22:
	s_and_saveexec_b64 s[8:9], s[2:3]
	s_cbranch_execz .LBB116_26
; %bb.23:
	v_mov_b32_e32 v7, 0
	v_subrev_u32_e32 v6, 50, v0
	v_add_u32_e32 v7, 0x328, v7
	s_movk_i32 s10, 0x670
	s_mov_b64 s[2:3], 0
.LBB116_24:                             ; =>This Inner Loop Header: Depth=1
	v_add_u32_e32 v10, -8, v7
	scratch_load_dwordx4 v[168:171], v10, off
	v_mov_b32_e32 v10, s10
	ds_read_b128 v[172:175], v10
	v_add_u32_e32 v6, -1, v6
	s_add_i32 s10, s10, 16
	v_cmp_eq_u32_e32 vcc, 0, v6
	v_add_u32_e32 v7, 16, v7
	s_or_b64 s[2:3], vcc, s[2:3]
	s_waitcnt vmcnt(0) lgkmcnt(0)
	v_mul_f64 v[10:11], v[174:175], v[170:171]
	v_mul_f64 v[12:13], v[172:173], v[170:171]
	v_fma_f64 v[10:11], v[172:173], v[168:169], -v[10:11]
	v_fmac_f64_e32 v[12:13], v[174:175], v[168:169]
	v_add_f64 v[2:3], v[2:3], v[10:11]
	v_add_f64 v[4:5], v[4:5], v[12:13]
	s_andn2_b64 exec, exec, s[2:3]
	s_cbranch_execnz .LBB116_24
; %bb.25:
	s_or_b64 exec, exec, s[2:3]
.LBB116_26:
	s_or_b64 exec, exec, s[8:9]
	v_mov_b32_e32 v6, 0
	ds_read_b128 v[168:171], v6 offset:784
	s_waitcnt lgkmcnt(0)
	v_mul_f64 v[6:7], v[4:5], v[170:171]
	v_mul_f64 v[172:173], v[2:3], v[170:171]
	v_fma_f64 v[170:171], v[2:3], v[168:169], -v[6:7]
	v_fmac_f64_e32 v[172:173], v[4:5], v[168:169]
	scratch_store_dwordx4 off, v[170:173], off offset:784
.LBB116_27:
	s_or_b64 exec, exec, s[4:5]
	scratch_load_dwordx4 v[2:5], v179, off
	v_cmp_lt_u32_e64 s[2:3], 48, v0
	s_waitcnt vmcnt(0)
	ds_write_b128 v9, v[2:5]
	s_waitcnt lgkmcnt(0)
	; wave barrier
	s_waitcnt lgkmcnt(0)
	s_and_saveexec_b64 s[4:5], s[2:3]
	s_cbranch_execz .LBB116_35
; %bb.28:
	ds_read_b128 v[2:5], v9
	s_andn2_b64 vcc, exec, s[6:7]
	s_cbranch_vccnz .LBB116_30
; %bb.29:
	scratch_load_dwordx4 v[168:171], v8, off
	s_waitcnt vmcnt(0) lgkmcnt(0)
	v_mul_f64 v[10:11], v[2:3], v[170:171]
	v_mul_f64 v[6:7], v[4:5], v[170:171]
	v_fmac_f64_e32 v[10:11], v[4:5], v[168:169]
	v_fma_f64 v[2:3], v[2:3], v[168:169], -v[6:7]
	v_mov_b64_e32 v[4:5], v[10:11]
.LBB116_30:
	s_and_saveexec_b64 s[8:9], s[0:1]
	s_cbranch_execz .LBB116_34
; %bb.31:
	v_mov_b32_e32 v7, 0
	v_subrev_u32_e32 v6, 49, v0
	v_add_u32_e32 v7, 0x318, v7
	s_movk_i32 s10, 0x660
	s_mov_b64 s[0:1], 0
.LBB116_32:                             ; =>This Inner Loop Header: Depth=1
	v_add_u32_e32 v10, -8, v7
	scratch_load_dwordx4 v[168:171], v10, off
	v_mov_b32_e32 v10, s10
	ds_read_b128 v[172:175], v10
	v_add_u32_e32 v6, -1, v6
	s_add_i32 s10, s10, 16
	v_cmp_eq_u32_e32 vcc, 0, v6
	v_add_u32_e32 v7, 16, v7
	s_or_b64 s[0:1], vcc, s[0:1]
	s_waitcnt vmcnt(0) lgkmcnt(0)
	v_mul_f64 v[10:11], v[174:175], v[170:171]
	v_mul_f64 v[12:13], v[172:173], v[170:171]
	v_fma_f64 v[10:11], v[172:173], v[168:169], -v[10:11]
	v_fmac_f64_e32 v[12:13], v[174:175], v[168:169]
	v_add_f64 v[2:3], v[2:3], v[10:11]
	v_add_f64 v[4:5], v[4:5], v[12:13]
	s_andn2_b64 exec, exec, s[0:1]
	s_cbranch_execnz .LBB116_32
; %bb.33:
	s_or_b64 exec, exec, s[0:1]
.LBB116_34:
	s_or_b64 exec, exec, s[8:9]
	v_mov_b32_e32 v6, 0
	ds_read_b128 v[168:171], v6 offset:768
	s_waitcnt lgkmcnt(0)
	v_mul_f64 v[6:7], v[4:5], v[170:171]
	v_mul_f64 v[172:173], v[2:3], v[170:171]
	v_fma_f64 v[170:171], v[2:3], v[168:169], -v[6:7]
	v_fmac_f64_e32 v[172:173], v[4:5], v[168:169]
	scratch_store_dwordx4 off, v[170:173], off offset:768
.LBB116_35:
	;; [unrolled: 63-line block ×10, first 2 shown]
	s_or_b64 exec, exec, s[4:5]
	scratch_load_dwordx4 v[2:5], v129, off
	v_cmp_lt_u32_e64 s[0:1], 39, v0
	s_waitcnt vmcnt(0)
	ds_write_b128 v9, v[2:5]
	s_waitcnt lgkmcnt(0)
	; wave barrier
	s_waitcnt lgkmcnt(0)
	s_and_saveexec_b64 s[4:5], s[0:1]
	s_cbranch_execz .LBB116_107
; %bb.100:
	ds_read_b128 v[2:5], v9
	s_andn2_b64 vcc, exec, s[6:7]
	s_cbranch_vccnz .LBB116_102
; %bb.101:
	scratch_load_dwordx4 v[168:171], v8, off
	s_waitcnt vmcnt(0) lgkmcnt(0)
	v_mul_f64 v[10:11], v[2:3], v[170:171]
	v_mul_f64 v[6:7], v[4:5], v[170:171]
	v_fmac_f64_e32 v[10:11], v[4:5], v[168:169]
	v_fma_f64 v[2:3], v[2:3], v[168:169], -v[6:7]
	v_mov_b64_e32 v[4:5], v[10:11]
.LBB116_102:
	s_and_saveexec_b64 s[8:9], s[2:3]
	s_cbranch_execz .LBB116_106
; %bb.103:
	v_mov_b32_e32 v7, 0
	v_subrev_u32_e32 v6, 40, v0
	v_add_u32_e32 v7, 0x288, v7
	s_movk_i32 s10, 0x5d0
	s_mov_b64 s[2:3], 0
.LBB116_104:                            ; =>This Inner Loop Header: Depth=1
	v_add_u32_e32 v10, -8, v7
	scratch_load_dwordx4 v[168:171], v10, off
	v_mov_b32_e32 v10, s10
	ds_read_b128 v[172:175], v10
	v_add_u32_e32 v6, -1, v6
	s_add_i32 s10, s10, 16
	v_cmp_eq_u32_e32 vcc, 0, v6
	v_add_u32_e32 v7, 16, v7
	s_or_b64 s[2:3], vcc, s[2:3]
	s_waitcnt vmcnt(0) lgkmcnt(0)
	v_mul_f64 v[10:11], v[174:175], v[170:171]
	v_mul_f64 v[12:13], v[172:173], v[170:171]
	v_fma_f64 v[10:11], v[172:173], v[168:169], -v[10:11]
	v_fmac_f64_e32 v[12:13], v[174:175], v[168:169]
	v_add_f64 v[2:3], v[2:3], v[10:11]
	v_add_f64 v[4:5], v[4:5], v[12:13]
	s_andn2_b64 exec, exec, s[2:3]
	s_cbranch_execnz .LBB116_104
; %bb.105:
	s_or_b64 exec, exec, s[2:3]
.LBB116_106:
	s_or_b64 exec, exec, s[8:9]
	v_mov_b32_e32 v6, 0
	ds_read_b128 v[168:171], v6 offset:624
	s_waitcnt lgkmcnt(0)
	v_mul_f64 v[6:7], v[4:5], v[170:171]
	v_mul_f64 v[172:173], v[2:3], v[170:171]
	v_fma_f64 v[170:171], v[2:3], v[168:169], -v[6:7]
	v_fmac_f64_e32 v[172:173], v[4:5], v[168:169]
	scratch_store_dwordx4 off, v[170:173], off offset:624
.LBB116_107:
	s_or_b64 exec, exec, s[4:5]
	scratch_load_dwordx4 v[2:5], v130, off
	v_cmp_lt_u32_e64 s[2:3], 38, v0
	s_waitcnt vmcnt(0)
	ds_write_b128 v9, v[2:5]
	s_waitcnt lgkmcnt(0)
	; wave barrier
	s_waitcnt lgkmcnt(0)
	s_and_saveexec_b64 s[4:5], s[2:3]
	s_cbranch_execz .LBB116_115
; %bb.108:
	ds_read_b128 v[2:5], v9
	s_andn2_b64 vcc, exec, s[6:7]
	s_cbranch_vccnz .LBB116_110
; %bb.109:
	scratch_load_dwordx4 v[168:171], v8, off
	s_waitcnt vmcnt(0) lgkmcnt(0)
	v_mul_f64 v[10:11], v[2:3], v[170:171]
	v_mul_f64 v[6:7], v[4:5], v[170:171]
	v_fmac_f64_e32 v[10:11], v[4:5], v[168:169]
	v_fma_f64 v[2:3], v[2:3], v[168:169], -v[6:7]
	v_mov_b64_e32 v[4:5], v[10:11]
.LBB116_110:
	s_and_saveexec_b64 s[8:9], s[0:1]
	s_cbranch_execz .LBB116_114
; %bb.111:
	v_mov_b32_e32 v7, 0
	v_subrev_u32_e32 v6, 39, v0
	v_add_u32_e32 v7, 0x278, v7
	s_movk_i32 s10, 0x5c0
	s_mov_b64 s[0:1], 0
.LBB116_112:                            ; =>This Inner Loop Header: Depth=1
	v_add_u32_e32 v10, -8, v7
	scratch_load_dwordx4 v[168:171], v10, off
	v_mov_b32_e32 v10, s10
	ds_read_b128 v[172:175], v10
	v_add_u32_e32 v6, -1, v6
	s_add_i32 s10, s10, 16
	v_cmp_eq_u32_e32 vcc, 0, v6
	v_add_u32_e32 v7, 16, v7
	s_or_b64 s[0:1], vcc, s[0:1]
	s_waitcnt vmcnt(0) lgkmcnt(0)
	v_mul_f64 v[10:11], v[174:175], v[170:171]
	v_mul_f64 v[12:13], v[172:173], v[170:171]
	v_fma_f64 v[10:11], v[172:173], v[168:169], -v[10:11]
	v_fmac_f64_e32 v[12:13], v[174:175], v[168:169]
	v_add_f64 v[2:3], v[2:3], v[10:11]
	v_add_f64 v[4:5], v[4:5], v[12:13]
	s_andn2_b64 exec, exec, s[0:1]
	s_cbranch_execnz .LBB116_112
; %bb.113:
	s_or_b64 exec, exec, s[0:1]
.LBB116_114:
	s_or_b64 exec, exec, s[8:9]
	v_mov_b32_e32 v6, 0
	ds_read_b128 v[168:171], v6 offset:608
	s_waitcnt lgkmcnt(0)
	v_mul_f64 v[6:7], v[4:5], v[170:171]
	v_mul_f64 v[172:173], v[2:3], v[170:171]
	v_fma_f64 v[170:171], v[2:3], v[168:169], -v[6:7]
	v_fmac_f64_e32 v[172:173], v[4:5], v[168:169]
	scratch_store_dwordx4 off, v[170:173], off offset:608
.LBB116_115:
	;; [unrolled: 63-line block ×24, first 2 shown]
	s_or_b64 exec, exec, s[4:5]
	scratch_load_dwordx4 v[2:5], v153, off
	v_cmp_lt_u32_e64 s[0:1], 15, v0
	s_waitcnt vmcnt(0)
	ds_write_b128 v9, v[2:5]
	s_waitcnt lgkmcnt(0)
	; wave barrier
	s_waitcnt lgkmcnt(0)
	s_and_saveexec_b64 s[4:5], s[0:1]
	s_cbranch_execz .LBB116_299
; %bb.292:
	ds_read_b128 v[2:5], v9
	s_andn2_b64 vcc, exec, s[6:7]
	s_cbranch_vccnz .LBB116_294
; %bb.293:
	scratch_load_dwordx4 v[168:171], v8, off
	s_waitcnt vmcnt(0) lgkmcnt(0)
	v_mul_f64 v[10:11], v[2:3], v[170:171]
	v_mul_f64 v[6:7], v[4:5], v[170:171]
	v_fmac_f64_e32 v[10:11], v[4:5], v[168:169]
	v_fma_f64 v[2:3], v[2:3], v[168:169], -v[6:7]
	v_mov_b64_e32 v[4:5], v[10:11]
.LBB116_294:
	s_and_saveexec_b64 s[8:9], s[2:3]
	s_cbranch_execz .LBB116_298
; %bb.295:
	v_mov_b32_e32 v7, 0
	v_add_u32_e32 v6, -16, v0
	v_add_u32_e32 v7, 0x108, v7
	s_movk_i32 s10, 0x450
	s_mov_b64 s[2:3], 0
.LBB116_296:                            ; =>This Inner Loop Header: Depth=1
	v_add_u32_e32 v10, -8, v7
	scratch_load_dwordx4 v[168:171], v10, off
	v_mov_b32_e32 v10, s10
	ds_read_b128 v[172:175], v10
	v_add_u32_e32 v6, -1, v6
	s_add_i32 s10, s10, 16
	v_cmp_eq_u32_e32 vcc, 0, v6
	v_add_u32_e32 v7, 16, v7
	s_or_b64 s[2:3], vcc, s[2:3]
	s_waitcnt vmcnt(0) lgkmcnt(0)
	v_mul_f64 v[10:11], v[174:175], v[170:171]
	v_mul_f64 v[12:13], v[172:173], v[170:171]
	v_fma_f64 v[10:11], v[172:173], v[168:169], -v[10:11]
	v_fmac_f64_e32 v[12:13], v[174:175], v[168:169]
	v_add_f64 v[2:3], v[2:3], v[10:11]
	v_add_f64 v[4:5], v[4:5], v[12:13]
	s_andn2_b64 exec, exec, s[2:3]
	s_cbranch_execnz .LBB116_296
; %bb.297:
	s_or_b64 exec, exec, s[2:3]
.LBB116_298:
	s_or_b64 exec, exec, s[8:9]
	v_mov_b32_e32 v6, 0
	ds_read_b128 v[168:171], v6 offset:240
	s_waitcnt lgkmcnt(0)
	v_mul_f64 v[6:7], v[4:5], v[170:171]
	v_mul_f64 v[172:173], v[2:3], v[170:171]
	v_fma_f64 v[170:171], v[2:3], v[168:169], -v[6:7]
	v_fmac_f64_e32 v[172:173], v[4:5], v[168:169]
	scratch_store_dwordx4 off, v[170:173], off offset:240
.LBB116_299:
	s_or_b64 exec, exec, s[4:5]
	scratch_load_dwordx4 v[2:5], v154, off
	v_cmp_lt_u32_e64 s[2:3], 14, v0
	s_waitcnt vmcnt(0)
	ds_write_b128 v9, v[2:5]
	s_waitcnt lgkmcnt(0)
	; wave barrier
	s_waitcnt lgkmcnt(0)
	s_and_saveexec_b64 s[4:5], s[2:3]
	s_cbranch_execz .LBB116_307
; %bb.300:
	ds_read_b128 v[2:5], v9
	s_andn2_b64 vcc, exec, s[6:7]
	s_cbranch_vccnz .LBB116_302
; %bb.301:
	scratch_load_dwordx4 v[168:171], v8, off
	s_waitcnt vmcnt(0) lgkmcnt(0)
	v_mul_f64 v[10:11], v[2:3], v[170:171]
	v_mul_f64 v[6:7], v[4:5], v[170:171]
	v_fmac_f64_e32 v[10:11], v[4:5], v[168:169]
	v_fma_f64 v[2:3], v[2:3], v[168:169], -v[6:7]
	v_mov_b64_e32 v[4:5], v[10:11]
.LBB116_302:
	s_and_saveexec_b64 s[8:9], s[0:1]
	s_cbranch_execz .LBB116_306
; %bb.303:
	v_mov_b32_e32 v7, 0
	v_add_u32_e32 v6, -15, v0
	v_add_u32_e32 v7, 0xf8, v7
	s_movk_i32 s10, 0x440
	s_mov_b64 s[0:1], 0
.LBB116_304:                            ; =>This Inner Loop Header: Depth=1
	v_add_u32_e32 v10, -8, v7
	scratch_load_dwordx4 v[168:171], v10, off
	v_mov_b32_e32 v10, s10
	ds_read_b128 v[172:175], v10
	v_add_u32_e32 v6, -1, v6
	s_add_i32 s10, s10, 16
	v_cmp_eq_u32_e32 vcc, 0, v6
	v_add_u32_e32 v7, 16, v7
	s_or_b64 s[0:1], vcc, s[0:1]
	s_waitcnt vmcnt(0) lgkmcnt(0)
	v_mul_f64 v[10:11], v[174:175], v[170:171]
	v_mul_f64 v[12:13], v[172:173], v[170:171]
	v_fma_f64 v[10:11], v[172:173], v[168:169], -v[10:11]
	v_fmac_f64_e32 v[12:13], v[174:175], v[168:169]
	v_add_f64 v[2:3], v[2:3], v[10:11]
	v_add_f64 v[4:5], v[4:5], v[12:13]
	s_andn2_b64 exec, exec, s[0:1]
	s_cbranch_execnz .LBB116_304
; %bb.305:
	s_or_b64 exec, exec, s[0:1]
.LBB116_306:
	s_or_b64 exec, exec, s[8:9]
	v_mov_b32_e32 v6, 0
	ds_read_b128 v[168:171], v6 offset:224
	s_waitcnt lgkmcnt(0)
	v_mul_f64 v[6:7], v[4:5], v[170:171]
	v_mul_f64 v[172:173], v[2:3], v[170:171]
	v_fma_f64 v[170:171], v[2:3], v[168:169], -v[6:7]
	v_fmac_f64_e32 v[172:173], v[4:5], v[168:169]
	scratch_store_dwordx4 off, v[170:173], off offset:224
.LBB116_307:
	;; [unrolled: 63-line block ×15, first 2 shown]
	s_or_b64 exec, exec, s[4:5]
	scratch_load_dwordx4 v[2:5], off, off
	v_cmp_ne_u32_e32 vcc, 0, v0
	s_mov_b64 s[2:3], 0
	s_mov_b64 s[4:5], 0
                                        ; implicit-def: $vgpr6_vgpr7
                                        ; implicit-def: $vgpr168
	s_waitcnt vmcnt(0)
	ds_write_b128 v9, v[2:5]
	s_waitcnt lgkmcnt(0)
	; wave barrier
	s_waitcnt lgkmcnt(0)
	s_and_saveexec_b64 s[8:9], vcc
	s_cbranch_execz .LBB116_419
; %bb.412:
	ds_read_b128 v[2:5], v9
	s_andn2_b64 vcc, exec, s[6:7]
	s_cbranch_vccnz .LBB116_414
; %bb.413:
	scratch_load_dwordx4 v[168:171], v8, off
	s_waitcnt vmcnt(0) lgkmcnt(0)
	v_mul_f64 v[10:11], v[2:3], v[170:171]
	v_mul_f64 v[6:7], v[4:5], v[170:171]
	v_fmac_f64_e32 v[10:11], v[4:5], v[168:169]
	v_fma_f64 v[2:3], v[2:3], v[168:169], -v[6:7]
	v_mov_b64_e32 v[4:5], v[10:11]
.LBB116_414:
	s_and_saveexec_b64 s[4:5], s[0:1]
	s_cbranch_execz .LBB116_418
; %bb.415:
	v_mov_b32_e32 v7, 0
	v_add_u32_e32 v6, -1, v0
	v_add_u32_e32 v7, 24, v7
	s_movk_i32 s10, 0x360
	s_mov_b64 s[0:1], 0
.LBB116_416:                            ; =>This Inner Loop Header: Depth=1
	v_add_u32_e32 v10, -8, v7
	scratch_load_dwordx4 v[168:171], v10, off
	v_mov_b32_e32 v10, s10
	ds_read_b128 v[172:175], v10
	v_add_u32_e32 v6, -1, v6
	s_add_i32 s10, s10, 16
	v_cmp_eq_u32_e32 vcc, 0, v6
	v_add_u32_e32 v7, 16, v7
	s_or_b64 s[0:1], vcc, s[0:1]
	s_waitcnt vmcnt(0) lgkmcnt(0)
	v_mul_f64 v[10:11], v[174:175], v[170:171]
	v_mul_f64 v[12:13], v[172:173], v[170:171]
	v_fma_f64 v[10:11], v[172:173], v[168:169], -v[10:11]
	v_fmac_f64_e32 v[12:13], v[174:175], v[168:169]
	v_add_f64 v[2:3], v[2:3], v[10:11]
	v_add_f64 v[4:5], v[4:5], v[12:13]
	s_andn2_b64 exec, exec, s[0:1]
	s_cbranch_execnz .LBB116_416
; %bb.417:
	s_or_b64 exec, exec, s[0:1]
.LBB116_418:
	s_or_b64 exec, exec, s[4:5]
	v_mov_b32_e32 v6, 0
	ds_read_b128 v[170:173], v6
	v_mov_b32_e32 v6, 0
	v_or_b32_e32 v168, 8, v6
	s_mov_b64 s[4:5], exec
	s_waitcnt lgkmcnt(0)
	v_mul_f64 v[10:11], v[4:5], v[172:173]
	v_mul_f64 v[6:7], v[2:3], v[172:173]
	v_fma_f64 v[2:3], v[2:3], v[170:171], -v[10:11]
	v_fmac_f64_e32 v[6:7], v[4:5], v[170:171]
	scratch_store_dwordx2 off, v[2:3], off
.LBB116_419:
	s_or_b64 exec, exec, s[8:9]
	s_and_b64 vcc, exec, s[2:3]
	s_cbranch_vccnz .LBB116_421
	s_branch .LBB116_832
.LBB116_420:
	s_mov_b64 s[4:5], 0
                                        ; implicit-def: $vgpr6_vgpr7
                                        ; implicit-def: $vgpr168
	s_cbranch_execz .LBB116_832
.LBB116_421:
	scratch_load_dwordx4 v[2:5], v167, off
	v_cndmask_b32_e64 v6, 0, 1, s[6:7]
	v_cmp_eq_u32_e64 s[2:3], 0, v0
	v_cmp_ne_u32_e64 s[0:1], 1, v6
	s_waitcnt vmcnt(0)
	ds_write_b128 v9, v[2:5]
	s_waitcnt lgkmcnt(0)
	; wave barrier
	s_waitcnt lgkmcnt(0)
	s_and_saveexec_b64 s[6:7], s[2:3]
	s_cbranch_execz .LBB116_425
; %bb.422:
	ds_read_b128 v[2:5], v9
	s_and_b64 vcc, exec, s[0:1]
	s_cbranch_vccnz .LBB116_424
; %bb.423:
	scratch_load_dwordx4 v[168:171], v8, off
	s_waitcnt vmcnt(0) lgkmcnt(0)
	v_mul_f64 v[10:11], v[2:3], v[170:171]
	v_mul_f64 v[6:7], v[4:5], v[170:171]
	v_fmac_f64_e32 v[10:11], v[4:5], v[168:169]
	v_fma_f64 v[2:3], v[2:3], v[168:169], -v[6:7]
	v_mov_b64_e32 v[4:5], v[10:11]
.LBB116_424:
	v_mov_b32_e32 v6, 0
	ds_read_b128 v[168:171], v6 offset:16
	s_waitcnt lgkmcnt(0)
	v_mul_f64 v[6:7], v[4:5], v[170:171]
	v_mul_f64 v[172:173], v[2:3], v[170:171]
	v_fma_f64 v[170:171], v[2:3], v[168:169], -v[6:7]
	v_fmac_f64_e32 v[172:173], v[4:5], v[168:169]
	scratch_store_dwordx4 off, v[170:173], off offset:16
.LBB116_425:
	s_or_b64 exec, exec, s[6:7]
	scratch_load_dwordx4 v[2:5], v166, off
	v_cmp_gt_u32_e32 vcc, 2, v0
	s_waitcnt vmcnt(0)
	ds_write_b128 v9, v[2:5]
	s_waitcnt lgkmcnt(0)
	; wave barrier
	s_waitcnt lgkmcnt(0)
	s_and_saveexec_b64 s[6:7], vcc
	s_cbranch_execz .LBB116_431
; %bb.426:
	ds_read_b128 v[2:5], v9
	s_and_b64 vcc, exec, s[0:1]
	s_cbranch_vccnz .LBB116_428
; %bb.427:
	scratch_load_dwordx4 v[168:171], v8, off
	s_waitcnt vmcnt(0) lgkmcnt(0)
	v_mul_f64 v[10:11], v[2:3], v[170:171]
	v_mul_f64 v[6:7], v[4:5], v[170:171]
	v_fmac_f64_e32 v[10:11], v[4:5], v[168:169]
	v_fma_f64 v[2:3], v[2:3], v[168:169], -v[6:7]
	v_mov_b64_e32 v[4:5], v[10:11]
.LBB116_428:
	s_and_saveexec_b64 s[8:9], s[2:3]
	s_cbranch_execz .LBB116_430
; %bb.429:
	scratch_load_dwordx4 v[168:171], v8, off offset:16
	ds_read_b128 v[172:175], v9 offset:16
	s_waitcnt vmcnt(0) lgkmcnt(0)
	v_mul_f64 v[6:7], v[174:175], v[170:171]
	v_mul_f64 v[10:11], v[172:173], v[170:171]
	v_fma_f64 v[6:7], v[172:173], v[168:169], -v[6:7]
	v_fmac_f64_e32 v[10:11], v[174:175], v[168:169]
	v_add_f64 v[2:3], v[2:3], v[6:7]
	v_add_f64 v[4:5], v[4:5], v[10:11]
.LBB116_430:
	s_or_b64 exec, exec, s[8:9]
	v_mov_b32_e32 v6, 0
	ds_read_b128 v[168:171], v6 offset:32
	s_waitcnt lgkmcnt(0)
	v_mul_f64 v[6:7], v[4:5], v[170:171]
	v_mul_f64 v[172:173], v[2:3], v[170:171]
	v_fma_f64 v[170:171], v[2:3], v[168:169], -v[6:7]
	v_fmac_f64_e32 v[172:173], v[4:5], v[168:169]
	scratch_store_dwordx4 off, v[170:173], off offset:32
.LBB116_431:
	s_or_b64 exec, exec, s[6:7]
	scratch_load_dwordx4 v[2:5], v165, off
	v_cmp_gt_u32_e32 vcc, 3, v0
	s_waitcnt vmcnt(0)
	ds_write_b128 v9, v[2:5]
	s_waitcnt lgkmcnt(0)
	; wave barrier
	s_waitcnt lgkmcnt(0)
	s_and_saveexec_b64 s[6:7], vcc
	s_cbranch_execz .LBB116_439
; %bb.432:
	ds_read_b128 v[2:5], v9
	s_and_b64 vcc, exec, s[0:1]
	s_cbranch_vccnz .LBB116_434
; %bb.433:
	scratch_load_dwordx4 v[168:171], v8, off
	s_waitcnt vmcnt(0) lgkmcnt(0)
	v_mul_f64 v[10:11], v[2:3], v[170:171]
	v_mul_f64 v[6:7], v[4:5], v[170:171]
	v_fmac_f64_e32 v[10:11], v[4:5], v[168:169]
	v_fma_f64 v[2:3], v[2:3], v[168:169], -v[6:7]
	v_mov_b64_e32 v[4:5], v[10:11]
.LBB116_434:
	v_cmp_ne_u32_e32 vcc, 2, v0
	s_and_saveexec_b64 s[8:9], vcc
	s_cbranch_execz .LBB116_438
; %bb.435:
	scratch_load_dwordx4 v[168:171], v8, off offset:16
	ds_read_b128 v[172:175], v9 offset:16
	s_waitcnt vmcnt(0) lgkmcnt(0)
	v_mul_f64 v[6:7], v[174:175], v[170:171]
	v_mul_f64 v[10:11], v[172:173], v[170:171]
	v_fma_f64 v[6:7], v[172:173], v[168:169], -v[6:7]
	v_fmac_f64_e32 v[10:11], v[174:175], v[168:169]
	v_add_f64 v[2:3], v[2:3], v[6:7]
	v_add_f64 v[4:5], v[4:5], v[10:11]
	s_and_saveexec_b64 s[10:11], s[2:3]
	s_cbranch_execz .LBB116_437
; %bb.436:
	scratch_load_dwordx4 v[168:171], off, off offset:32
	v_mov_b32_e32 v6, 0
	ds_read_b128 v[172:175], v6 offset:880
	s_waitcnt vmcnt(0) lgkmcnt(0)
	v_mul_f64 v[6:7], v[172:173], v[170:171]
	v_mul_f64 v[10:11], v[174:175], v[170:171]
	v_fmac_f64_e32 v[6:7], v[174:175], v[168:169]
	v_fma_f64 v[10:11], v[172:173], v[168:169], -v[10:11]
	v_add_f64 v[4:5], v[4:5], v[6:7]
	v_add_f64 v[2:3], v[2:3], v[10:11]
.LBB116_437:
	s_or_b64 exec, exec, s[10:11]
.LBB116_438:
	s_or_b64 exec, exec, s[8:9]
	v_mov_b32_e32 v6, 0
	ds_read_b128 v[168:171], v6 offset:48
	s_waitcnt lgkmcnt(0)
	v_mul_f64 v[6:7], v[4:5], v[170:171]
	v_mul_f64 v[172:173], v[2:3], v[170:171]
	v_fma_f64 v[170:171], v[2:3], v[168:169], -v[6:7]
	v_fmac_f64_e32 v[172:173], v[4:5], v[168:169]
	scratch_store_dwordx4 off, v[170:173], off offset:48
.LBB116_439:
	s_or_b64 exec, exec, s[6:7]
	scratch_load_dwordx4 v[2:5], v164, off
	v_cmp_gt_u32_e32 vcc, 4, v0
	s_waitcnt vmcnt(0)
	ds_write_b128 v9, v[2:5]
	s_waitcnt lgkmcnt(0)
	; wave barrier
	s_waitcnt lgkmcnt(0)
	s_and_saveexec_b64 s[2:3], vcc
	s_cbranch_execz .LBB116_447
; %bb.440:
	ds_read_b128 v[2:5], v9
	s_and_b64 vcc, exec, s[0:1]
	s_cbranch_vccnz .LBB116_442
; %bb.441:
	scratch_load_dwordx4 v[168:171], v8, off
	s_waitcnt vmcnt(0) lgkmcnt(0)
	v_mul_f64 v[10:11], v[2:3], v[170:171]
	v_mul_f64 v[6:7], v[4:5], v[170:171]
	v_fmac_f64_e32 v[10:11], v[4:5], v[168:169]
	v_fma_f64 v[2:3], v[2:3], v[168:169], -v[6:7]
	v_mov_b64_e32 v[4:5], v[10:11]
.LBB116_442:
	v_cmp_ne_u32_e32 vcc, 3, v0
	s_and_saveexec_b64 s[6:7], vcc
	s_cbranch_execz .LBB116_446
; %bb.443:
	v_mov_b32_e32 v7, 0
	v_add_u32_e32 v6, 0x360, v68
	v_add3_u32 v7, v68, v7, 24
	s_mov_b64 s[8:9], 0
	v_mov_b32_e32 v168, v0
.LBB116_444:                            ; =>This Inner Loop Header: Depth=1
	v_add_u32_e32 v10, -8, v7
	scratch_load_dwordx4 v[170:173], v10, off
	ds_read_b128 v[174:177], v6
	v_add_u32_e32 v168, 1, v168
	v_cmp_lt_u32_e32 vcc, 2, v168
	v_add_u32_e32 v6, 16, v6
	v_add_u32_e32 v7, 16, v7
	s_or_b64 s[8:9], vcc, s[8:9]
	s_waitcnt vmcnt(0) lgkmcnt(0)
	v_mul_f64 v[10:11], v[176:177], v[172:173]
	v_mul_f64 v[12:13], v[174:175], v[172:173]
	v_fma_f64 v[10:11], v[174:175], v[170:171], -v[10:11]
	v_fmac_f64_e32 v[12:13], v[176:177], v[170:171]
	v_add_f64 v[2:3], v[2:3], v[10:11]
	v_add_f64 v[4:5], v[4:5], v[12:13]
	s_andn2_b64 exec, exec, s[8:9]
	s_cbranch_execnz .LBB116_444
; %bb.445:
	s_or_b64 exec, exec, s[8:9]
.LBB116_446:
	s_or_b64 exec, exec, s[6:7]
	v_mov_b32_e32 v6, 0
	ds_read_b128 v[168:171], v6 offset:64
	s_waitcnt lgkmcnt(0)
	v_mul_f64 v[6:7], v[4:5], v[170:171]
	v_mul_f64 v[172:173], v[2:3], v[170:171]
	v_fma_f64 v[170:171], v[2:3], v[168:169], -v[6:7]
	v_fmac_f64_e32 v[172:173], v[4:5], v[168:169]
	scratch_store_dwordx4 off, v[170:173], off offset:64
.LBB116_447:
	s_or_b64 exec, exec, s[2:3]
	scratch_load_dwordx4 v[2:5], v163, off
	v_cmp_gt_u32_e32 vcc, 5, v0
	s_waitcnt vmcnt(0)
	ds_write_b128 v9, v[2:5]
	s_waitcnt lgkmcnt(0)
	; wave barrier
	s_waitcnt lgkmcnt(0)
	s_and_saveexec_b64 s[2:3], vcc
	s_cbranch_execz .LBB116_455
; %bb.448:
	ds_read_b128 v[2:5], v9
	s_and_b64 vcc, exec, s[0:1]
	s_cbranch_vccnz .LBB116_450
; %bb.449:
	scratch_load_dwordx4 v[168:171], v8, off
	s_waitcnt vmcnt(0) lgkmcnt(0)
	v_mul_f64 v[10:11], v[2:3], v[170:171]
	v_mul_f64 v[6:7], v[4:5], v[170:171]
	v_fmac_f64_e32 v[10:11], v[4:5], v[168:169]
	v_fma_f64 v[2:3], v[2:3], v[168:169], -v[6:7]
	v_mov_b64_e32 v[4:5], v[10:11]
.LBB116_450:
	v_cmp_ne_u32_e32 vcc, 4, v0
	s_and_saveexec_b64 s[6:7], vcc
	s_cbranch_execz .LBB116_454
; %bb.451:
	v_mov_b32_e32 v7, 0
	v_add_u32_e32 v6, 0x360, v68
	v_add3_u32 v7, v68, v7, 24
	s_mov_b64 s[8:9], 0
	v_mov_b32_e32 v168, v0
.LBB116_452:                            ; =>This Inner Loop Header: Depth=1
	v_add_u32_e32 v10, -8, v7
	scratch_load_dwordx4 v[170:173], v10, off
	ds_read_b128 v[174:177], v6
	v_add_u32_e32 v168, 1, v168
	v_cmp_lt_u32_e32 vcc, 3, v168
	v_add_u32_e32 v6, 16, v6
	v_add_u32_e32 v7, 16, v7
	s_or_b64 s[8:9], vcc, s[8:9]
	s_waitcnt vmcnt(0) lgkmcnt(0)
	v_mul_f64 v[10:11], v[176:177], v[172:173]
	v_mul_f64 v[12:13], v[174:175], v[172:173]
	v_fma_f64 v[10:11], v[174:175], v[170:171], -v[10:11]
	v_fmac_f64_e32 v[12:13], v[176:177], v[170:171]
	v_add_f64 v[2:3], v[2:3], v[10:11]
	v_add_f64 v[4:5], v[4:5], v[12:13]
	s_andn2_b64 exec, exec, s[8:9]
	s_cbranch_execnz .LBB116_452
; %bb.453:
	s_or_b64 exec, exec, s[8:9]
.LBB116_454:
	s_or_b64 exec, exec, s[6:7]
	v_mov_b32_e32 v6, 0
	ds_read_b128 v[168:171], v6 offset:80
	s_waitcnt lgkmcnt(0)
	v_mul_f64 v[6:7], v[4:5], v[170:171]
	v_mul_f64 v[172:173], v[2:3], v[170:171]
	v_fma_f64 v[170:171], v[2:3], v[168:169], -v[6:7]
	v_fmac_f64_e32 v[172:173], v[4:5], v[168:169]
	scratch_store_dwordx4 off, v[170:173], off offset:80
.LBB116_455:
	;; [unrolled: 63-line block ×47, first 2 shown]
	s_or_b64 exec, exec, s[2:3]
	scratch_load_dwordx4 v[2:5], v36, off
	v_cmp_gt_u32_e64 s[2:3], 51, v0
	s_waitcnt vmcnt(0)
	ds_write_b128 v9, v[2:5]
	s_waitcnt lgkmcnt(0)
	; wave barrier
	s_waitcnt lgkmcnt(0)
	s_and_saveexec_b64 s[6:7], s[2:3]
	s_cbranch_execz .LBB116_823
; %bb.816:
	ds_read_b128 v[2:5], v9
	s_and_b64 vcc, exec, s[0:1]
	s_cbranch_vccnz .LBB116_818
; %bb.817:
	scratch_load_dwordx4 v[168:171], v8, off
	s_waitcnt vmcnt(0) lgkmcnt(0)
	v_mul_f64 v[10:11], v[2:3], v[170:171]
	v_mul_f64 v[6:7], v[4:5], v[170:171]
	v_fmac_f64_e32 v[10:11], v[4:5], v[168:169]
	v_fma_f64 v[2:3], v[2:3], v[168:169], -v[6:7]
	v_mov_b64_e32 v[4:5], v[10:11]
.LBB116_818:
	v_cmp_ne_u32_e32 vcc, 50, v0
	s_and_saveexec_b64 s[8:9], vcc
	s_cbranch_execz .LBB116_822
; %bb.819:
	v_mov_b32_e32 v7, 0
	v_add_u32_e32 v6, 0x360, v68
	v_add3_u32 v7, v68, v7, 24
	s_mov_b64 s[10:11], 0
	v_mov_b32_e32 v168, v0
.LBB116_820:                            ; =>This Inner Loop Header: Depth=1
	v_add_u32_e32 v10, -8, v7
	scratch_load_dwordx4 v[170:173], v10, off
	ds_read_b128 v[174:177], v6
	v_add_u32_e32 v168, 1, v168
	v_cmp_lt_u32_e32 vcc, 49, v168
	v_add_u32_e32 v6, 16, v6
	v_add_u32_e32 v7, 16, v7
	s_or_b64 s[10:11], vcc, s[10:11]
	s_waitcnt vmcnt(0) lgkmcnt(0)
	v_mul_f64 v[10:11], v[176:177], v[172:173]
	v_mul_f64 v[12:13], v[174:175], v[172:173]
	v_fma_f64 v[10:11], v[174:175], v[170:171], -v[10:11]
	v_fmac_f64_e32 v[12:13], v[176:177], v[170:171]
	v_add_f64 v[2:3], v[2:3], v[10:11]
	v_add_f64 v[4:5], v[4:5], v[12:13]
	s_andn2_b64 exec, exec, s[10:11]
	s_cbranch_execnz .LBB116_820
; %bb.821:
	s_or_b64 exec, exec, s[10:11]
.LBB116_822:
	s_or_b64 exec, exec, s[8:9]
	v_mov_b32_e32 v6, 0
	ds_read_b128 v[168:171], v6 offset:816
	s_waitcnt lgkmcnt(0)
	v_mul_f64 v[6:7], v[4:5], v[170:171]
	v_mul_f64 v[172:173], v[2:3], v[170:171]
	v_fma_f64 v[170:171], v[2:3], v[168:169], -v[6:7]
	v_fmac_f64_e32 v[172:173], v[4:5], v[168:169]
	scratch_store_dwordx4 off, v[170:173], off offset:816
.LBB116_823:
	s_or_b64 exec, exec, s[6:7]
	scratch_load_dwordx4 v[2:5], v1, off
	v_cmp_ne_u32_e32 vcc, 52, v0
                                        ; implicit-def: $vgpr6_vgpr7
                                        ; implicit-def: $vgpr168
	s_waitcnt vmcnt(0)
	ds_write_b128 v9, v[2:5]
	s_waitcnt lgkmcnt(0)
	; wave barrier
	s_waitcnt lgkmcnt(0)
	s_and_saveexec_b64 s[6:7], vcc
	s_cbranch_execz .LBB116_831
; %bb.824:
	ds_read_b128 v[2:5], v9
	s_and_b64 vcc, exec, s[0:1]
	s_cbranch_vccnz .LBB116_826
; %bb.825:
	scratch_load_dwordx4 v[6:9], v8, off
	s_waitcnt vmcnt(0) lgkmcnt(0)
	v_mul_f64 v[10:11], v[4:5], v[8:9]
	v_mul_f64 v[8:9], v[2:3], v[8:9]
	v_fmac_f64_e32 v[8:9], v[4:5], v[6:7]
	v_fma_f64 v[2:3], v[2:3], v[6:7], -v[10:11]
	v_mov_b64_e32 v[4:5], v[8:9]
.LBB116_826:
	s_and_saveexec_b64 s[0:1], s[2:3]
	s_cbranch_execz .LBB116_830
; %bb.827:
	v_mov_b32_e32 v7, 0
	v_add_u32_e32 v6, 0x360, v68
	v_add3_u32 v7, v68, v7, 24
	s_mov_b64 s[2:3], 0
.LBB116_828:                            ; =>This Inner Loop Header: Depth=1
	v_add_u32_e32 v8, -8, v7
	scratch_load_dwordx4 v[168:171], v8, off
	ds_read_b128 v[172:175], v6
	v_add_u32_e32 v0, 1, v0
	v_cmp_lt_u32_e32 vcc, 50, v0
	v_add_u32_e32 v6, 16, v6
	v_add_u32_e32 v7, 16, v7
	s_or_b64 s[2:3], vcc, s[2:3]
	s_waitcnt vmcnt(0) lgkmcnt(0)
	v_mul_f64 v[8:9], v[174:175], v[170:171]
	v_mul_f64 v[10:11], v[172:173], v[170:171]
	v_fma_f64 v[8:9], v[172:173], v[168:169], -v[8:9]
	v_fmac_f64_e32 v[10:11], v[174:175], v[168:169]
	v_add_f64 v[2:3], v[2:3], v[8:9]
	v_add_f64 v[4:5], v[4:5], v[10:11]
	s_andn2_b64 exec, exec, s[2:3]
	s_cbranch_execnz .LBB116_828
; %bb.829:
	s_or_b64 exec, exec, s[2:3]
.LBB116_830:
	s_or_b64 exec, exec, s[0:1]
	v_mov_b32_e32 v0, 0
	ds_read_b128 v[170:173], v0 offset:832
	v_mov_b32_e32 v0, 0
	v_add_u32_e32 v168, 0x348, v0
	s_or_b64 s[4:5], s[4:5], exec
	s_waitcnt lgkmcnt(0)
	v_mul_f64 v[8:9], v[4:5], v[172:173]
	v_mul_f64 v[6:7], v[2:3], v[172:173]
	v_fma_f64 v[2:3], v[2:3], v[170:171], -v[8:9]
	v_fmac_f64_e32 v[6:7], v[4:5], v[170:171]
	scratch_store_dwordx2 off, v[2:3], off offset:832
.LBB116_831:
	s_or_b64 exec, exec, s[6:7]
.LBB116_832:
	v_mov_b32_e32 v68, v179
	v_mov_b32_e32 v0, v178
	s_and_saveexec_b64 s[0:1], s[4:5]
	s_cbranch_execz .LBB116_834
; %bb.833:
	scratch_store_dwordx2 v168, v[6:7], off
.LBB116_834:
	s_or_b64 exec, exec, s[0:1]
	scratch_load_dwordx4 v[2:5], off, off
	scratch_load_dwordx4 v[6:9], v167, off
	s_nop 0
	scratch_load_dwordx4 v[166:169], v166, off
	s_nop 0
	scratch_load_dwordx4 v[170:173], v165, off
	scratch_load_dwordx4 v[174:177], v164, off
	scratch_load_dwordx4 v[178:181], v163, off
	s_nop 0
	scratch_load_dwordx4 v[162:165], v162, off
	s_nop 0
	scratch_load_dwordx4 v[182:185], v161, off
	scratch_load_dwordx4 v[186:189], v160, off
	;; [unrolled: 6-line block ×7, first 2 shown]
	scratch_load_dwordx4 v[250:253], v139, off
	s_nop 0
	scratch_load_dwordx4 v[138:141], v138, off
	s_waitcnt vmcnt(30)
	global_store_dwordx4 v[14:15], v[2:5], off
	scratch_load_dwordx4 v[2:5], v137, off
	s_nop 0
	scratch_load_dwordx4 v[10:13], v136, off
	s_waitcnt vmcnt(32)
	global_store_dwordx4 v[16:17], v[6:9], off
	;; [unrolled: 5-line block ×12, first 2 shown]
	s_waitcnt vmcnt(52)
	global_store_dwordx4 v[38:39], v[198:201], off
	s_waitcnt vmcnt(52)
	global_store_dwordx4 v[40:41], v[202:205], off
	;; [unrolled: 2-line block ×41, first 2 shown]
.LBB116_835:
	s_endpgm
	.section	.rodata,"a",@progbits
	.p2align	6, 0x0
	.amdhsa_kernel _ZN9rocsolver6v33100L18trti2_kernel_smallILi53E19rocblas_complex_numIdEPKPS3_EEv13rocblas_fill_17rocblas_diagonal_T1_iil
		.amdhsa_group_segment_fixed_size 1696
		.amdhsa_private_segment_fixed_size 864
		.amdhsa_kernarg_size 32
		.amdhsa_user_sgpr_count 2
		.amdhsa_user_sgpr_dispatch_ptr 0
		.amdhsa_user_sgpr_queue_ptr 0
		.amdhsa_user_sgpr_kernarg_segment_ptr 1
		.amdhsa_user_sgpr_dispatch_id 0
		.amdhsa_user_sgpr_kernarg_preload_length 0
		.amdhsa_user_sgpr_kernarg_preload_offset 0
		.amdhsa_user_sgpr_private_segment_size 0
		.amdhsa_uses_dynamic_stack 0
		.amdhsa_enable_private_segment 1
		.amdhsa_system_sgpr_workgroup_id_x 1
		.amdhsa_system_sgpr_workgroup_id_y 0
		.amdhsa_system_sgpr_workgroup_id_z 0
		.amdhsa_system_sgpr_workgroup_info 0
		.amdhsa_system_vgpr_workitem_id 0
		.amdhsa_next_free_vgpr 256
		.amdhsa_next_free_sgpr 12
		.amdhsa_accum_offset 256
		.amdhsa_reserve_vcc 1
		.amdhsa_float_round_mode_32 0
		.amdhsa_float_round_mode_16_64 0
		.amdhsa_float_denorm_mode_32 3
		.amdhsa_float_denorm_mode_16_64 3
		.amdhsa_dx10_clamp 1
		.amdhsa_ieee_mode 1
		.amdhsa_fp16_overflow 0
		.amdhsa_tg_split 0
		.amdhsa_exception_fp_ieee_invalid_op 0
		.amdhsa_exception_fp_denorm_src 0
		.amdhsa_exception_fp_ieee_div_zero 0
		.amdhsa_exception_fp_ieee_overflow 0
		.amdhsa_exception_fp_ieee_underflow 0
		.amdhsa_exception_fp_ieee_inexact 0
		.amdhsa_exception_int_div_zero 0
	.end_amdhsa_kernel
	.section	.text._ZN9rocsolver6v33100L18trti2_kernel_smallILi53E19rocblas_complex_numIdEPKPS3_EEv13rocblas_fill_17rocblas_diagonal_T1_iil,"axG",@progbits,_ZN9rocsolver6v33100L18trti2_kernel_smallILi53E19rocblas_complex_numIdEPKPS3_EEv13rocblas_fill_17rocblas_diagonal_T1_iil,comdat
.Lfunc_end116:
	.size	_ZN9rocsolver6v33100L18trti2_kernel_smallILi53E19rocblas_complex_numIdEPKPS3_EEv13rocblas_fill_17rocblas_diagonal_T1_iil, .Lfunc_end116-_ZN9rocsolver6v33100L18trti2_kernel_smallILi53E19rocblas_complex_numIdEPKPS3_EEv13rocblas_fill_17rocblas_diagonal_T1_iil
                                        ; -- End function
	.section	.AMDGPU.csdata,"",@progbits
; Kernel info:
; codeLenInByte = 35004
; NumSgprs: 18
; NumVgprs: 256
; NumAgprs: 0
; TotalNumVgprs: 256
; ScratchSize: 864
; MemoryBound: 0
; FloatMode: 240
; IeeeMode: 1
; LDSByteSize: 1696 bytes/workgroup (compile time only)
; SGPRBlocks: 2
; VGPRBlocks: 31
; NumSGPRsForWavesPerEU: 18
; NumVGPRsForWavesPerEU: 256
; AccumOffset: 256
; Occupancy: 2
; WaveLimiterHint : 1
; COMPUTE_PGM_RSRC2:SCRATCH_EN: 1
; COMPUTE_PGM_RSRC2:USER_SGPR: 2
; COMPUTE_PGM_RSRC2:TRAP_HANDLER: 0
; COMPUTE_PGM_RSRC2:TGID_X_EN: 1
; COMPUTE_PGM_RSRC2:TGID_Y_EN: 0
; COMPUTE_PGM_RSRC2:TGID_Z_EN: 0
; COMPUTE_PGM_RSRC2:TIDIG_COMP_CNT: 0
; COMPUTE_PGM_RSRC3_GFX90A:ACCUM_OFFSET: 63
; COMPUTE_PGM_RSRC3_GFX90A:TG_SPLIT: 0
	.section	.text._ZN9rocsolver6v33100L18trti2_kernel_smallILi54E19rocblas_complex_numIdEPKPS3_EEv13rocblas_fill_17rocblas_diagonal_T1_iil,"axG",@progbits,_ZN9rocsolver6v33100L18trti2_kernel_smallILi54E19rocblas_complex_numIdEPKPS3_EEv13rocblas_fill_17rocblas_diagonal_T1_iil,comdat
	.globl	_ZN9rocsolver6v33100L18trti2_kernel_smallILi54E19rocblas_complex_numIdEPKPS3_EEv13rocblas_fill_17rocblas_diagonal_T1_iil ; -- Begin function _ZN9rocsolver6v33100L18trti2_kernel_smallILi54E19rocblas_complex_numIdEPKPS3_EEv13rocblas_fill_17rocblas_diagonal_T1_iil
	.p2align	8
	.type	_ZN9rocsolver6v33100L18trti2_kernel_smallILi54E19rocblas_complex_numIdEPKPS3_EEv13rocblas_fill_17rocblas_diagonal_T1_iil,@function
_ZN9rocsolver6v33100L18trti2_kernel_smallILi54E19rocblas_complex_numIdEPKPS3_EEv13rocblas_fill_17rocblas_diagonal_T1_iil: ; @_ZN9rocsolver6v33100L18trti2_kernel_smallILi54E19rocblas_complex_numIdEPKPS3_EEv13rocblas_fill_17rocblas_diagonal_T1_iil
; %bb.0:
	v_cmp_gt_u32_e32 vcc, 54, v0
	s_and_saveexec_b64 s[4:5], vcc
	s_cbranch_execz .LBB117_851
; %bb.1:
	s_load_dwordx2 s[8:9], s[0:1], 0x10
	s_load_dwordx4 s[4:7], s[0:1], 0x0
	s_ashr_i32 s3, s2, 31
	s_lshl_b64 s[2:3], s[2:3], 3
	v_lshlrev_b32_e32 v118, 4, v0
	s_waitcnt lgkmcnt(0)
	s_ashr_i32 s1, s8, 31
	s_add_u32 s2, s6, s2
	s_addc_u32 s3, s7, s3
	s_load_dwordx2 s[2:3], s[2:3], 0x0
	s_mov_b32 s0, s8
	s_lshl_b64 s[0:1], s[0:1], 4
	v_mov_b32_e32 v119, 0
	v_mov_b32_e32 v1, 0
	s_waitcnt lgkmcnt(0)
	s_add_u32 s0, s2, s0
	s_addc_u32 s1, s3, s1
	s_add_i32 s2, s9, s9
	v_add_u32_e32 v6, s2, v0
	v_add_u32_e32 v10, s9, v6
	;; [unrolled: 1-line block ×13, first 2 shown]
	v_ashrrev_i32_e32 v11, 31, v10
	v_ashrrev_i32_e32 v27, 31, v26
	v_add_u32_e32 v50, s9, v46
	s_mov_b32 s2, s9
	s_ashr_i32 s3, s9, 31
	v_lshl_add_u64 v[48:49], s[0:1], 0, v[118:119]
	v_lshl_add_u64 v[36:37], v[10:11], 4, s[0:1]
	v_ashrrev_i32_e32 v13, 31, v12
	v_ashrrev_i32_e32 v15, 31, v14
	;; [unrolled: 1-line block ×3, first 2 shown]
	v_lshl_add_u64 v[10:11], v[26:27], 4, s[0:1]
	v_ashrrev_i32_e32 v39, 31, v38
	v_add_u32_e32 v104, s9, v50
	v_ashrrev_i32_e32 v7, 31, v6
	v_lshl_add_u64 v[42:43], s[2:3], 4, v[48:49]
	v_lshl_add_u64 v[32:33], v[12:13], 4, s[0:1]
	;; [unrolled: 1-line block ×3, first 2 shown]
	v_ashrrev_i32_e32 v17, 31, v16
	v_lshl_add_u64 v[28:29], v[18:19], 4, s[0:1]
	v_ashrrev_i32_e32 v21, 31, v20
	v_accvgpr_write_b32 a2, v10
	v_lshl_add_u64 v[12:13], v[38:39], 4, s[0:1]
	v_ashrrev_i32_e32 v41, 31, v40
	global_load_dwordx4 v[2:5], v118, s[0:1]
	v_add_u32_e32 v112, s9, v104
	v_lshl_add_u64 v[30:31], v[6:7], 4, s[0:1]
	global_load_dwordx4 v[6:9], v[42:43], off
	global_load_dwordx4 v[52:55], v[30:31], off
	;; [unrolled: 1-line block ×4, first 2 shown]
	v_lshl_add_u64 v[24:25], v[16:17], 4, s[0:1]
	global_load_dwordx4 v[64:67], v[34:35], off
	global_load_dwordx4 v[68:71], v[24:25], off
	v_lshl_add_u64 v[18:19], v[20:21], 4, s[0:1]
	global_load_dwordx4 v[72:75], v[28:29], off
	global_load_dwordx4 v[76:79], v[18:19], off
	v_accvgpr_write_b32 a3, v11
	global_load_dwordx4 v[84:87], v[10:11], off
	global_load_dwordx4 v[88:91], v[12:13], off
	v_lshl_add_u64 v[10:11], v[40:41], 4, s[0:1]
	v_accvgpr_write_b32 a4, v12
	v_ashrrev_i32_e32 v47, 31, v46
	v_add_u32_e32 v116, s9, v112
	v_ashrrev_i32_e32 v23, 31, v22
	v_accvgpr_write_b32 a5, v13
	v_accvgpr_write_b32 a0, v10
	v_ashrrev_i32_e32 v45, 31, v44
	v_lshl_add_u64 v[12:13], v[46:47], 4, s[0:1]
	v_ashrrev_i32_e32 v51, 31, v50
	v_ashrrev_i32_e32 v113, 31, v112
	v_lshl_add_u64 v[20:21], v[22:23], 4, s[0:1]
	v_accvgpr_write_b32 a1, v11
	global_load_dwordx4 v[92:95], v[10:11], off
	global_load_dwordx4 v[100:103], v[12:13], off
	v_lshl_add_u64 v[10:11], v[44:45], 4, s[0:1]
	v_lshl_add_u64 v[38:39], v[50:51], 4, s[0:1]
	v_ashrrev_i32_e32 v105, 31, v104
	v_lshl_add_u64 v[44:45], v[112:113], 4, s[0:1]
	v_ashrrev_i32_e32 v117, 31, v116
	global_load_dwordx4 v[80:83], v[20:21], off
	global_load_dwordx4 v[96:99], v[10:11], off
	v_lshl_add_u64 v[40:41], v[104:105], 4, s[0:1]
	global_load_dwordx4 v[104:107], v[38:39], off
	global_load_dwordx4 v[108:111], v[40:41], off
	v_lshl_add_u64 v[46:47], v[116:117], 4, s[0:1]
	global_load_dwordx4 v[112:115], v[44:45], off
	global_load_dwordx4 v[120:123], v[46:47], off
	v_accvgpr_write_b32 a6, v10
	v_accvgpr_write_b32 a7, v11
	;; [unrolled: 1-line block ×3, first 2 shown]
	v_add_u32_e32 v10, s9, v116
	v_accvgpr_write_b32 a9, v13
	v_add_u32_e32 v12, s9, v10
	v_add_u32_e32 v14, s9, v12
	;; [unrolled: 1-line block ×34, first 2 shown]
	v_ashrrev_i32_e32 v51, 31, v50
	v_lshl_add_u64 v[50:51], v[50:51], 4, s[0:1]
	v_ashrrev_i32_e32 v11, 31, v10
	v_ashrrev_i32_e32 v15, 31, v14
	;; [unrolled: 1-line block ×17, first 2 shown]
	global_load_dwordx4 v[124:127], v[50:51], off
	s_waitcnt vmcnt(19)
	scratch_store_dwordx4 off, v[2:5], off
	s_waitcnt vmcnt(19)
	scratch_store_dwordx4 off, v[6:9], off offset:16
	s_waitcnt vmcnt(19)
	scratch_store_dwordx4 off, v[52:55], off offset:32
	s_waitcnt vmcnt(19)
	scratch_store_dwordx4 off, v[56:59], off offset:48
	s_waitcnt vmcnt(19)
	scratch_store_dwordx4 off, v[60:63], off offset:64
	s_waitcnt vmcnt(19)
	scratch_store_dwordx4 off, v[64:67], off offset:80
	s_waitcnt vmcnt(19)
	scratch_store_dwordx4 off, v[68:71], off offset:96
	s_waitcnt vmcnt(19)
	scratch_store_dwordx4 off, v[72:75], off offset:112
	s_waitcnt vmcnt(19)
	scratch_store_dwordx4 off, v[76:79], off offset:128
	s_waitcnt vmcnt(15)
	scratch_store_dwordx4 off, v[80:83], off offset:144
	scratch_store_dwordx4 off, v[84:87], off offset:160
	scratch_store_dwordx4 off, v[88:91], off offset:176
	;; [unrolled: 1-line block ×3, first 2 shown]
	s_waitcnt vmcnt(18)
	scratch_store_dwordx4 off, v[96:99], off offset:208
	scratch_store_dwordx4 off, v[100:103], off offset:224
	s_waitcnt vmcnt(19)
	scratch_store_dwordx4 off, v[104:107], off offset:240
	s_waitcnt vmcnt(19)
	;; [unrolled: 2-line block ×4, first 2 shown]
	scratch_store_dwordx4 off, v[120:123], off offset:288
	v_lshl_add_u64 v[52:53], v[10:11], 4, s[0:1]
	v_ashrrev_i32_e32 v13, 31, v12
	v_lshl_add_u64 v[56:57], v[14:15], 4, s[0:1]
	v_ashrrev_i32_e32 v17, 31, v16
	;; [unrolled: 2-line block ×17, first 2 shown]
	v_lshl_add_u64 v[54:55], v[12:13], 4, s[0:1]
	global_load_dwordx4 v[2:5], v[52:53], off
	global_load_dwordx4 v[6:9], v[54:55], off
	v_lshl_add_u64 v[58:59], v[16:17], 4, s[0:1]
	global_load_dwordx4 v[128:131], v[56:57], off
	global_load_dwordx4 v[132:135], v[58:59], off
	;; [unrolled: 3-line block ×17, first 2 shown]
	s_cmpk_lg_i32 s5, 0x84
	s_cselect_b64 s[6:7], -1, 0
	s_cmpk_eq_i32 s5, 0x84
	s_waitcnt vmcnt(33)
	scratch_store_dwordx4 off, v[2:5], off offset:304
	s_waitcnt vmcnt(33)
	scratch_store_dwordx4 off, v[6:9], off offset:320
	;; [unrolled: 2-line block ×34, first 2 shown]
	scratch_store_dwordx4 off, v[124:127], off offset:848
	s_cbranch_scc1 .LBB117_7
; %bb.2:
	scratch_load_dwordx4 v[8:11], v118, off
                                        ; implicit-def: $vgpr6_vgpr7
	s_waitcnt vmcnt(0)
	v_xor_b32_e32 v3, 0x80000000, v9
	v_cmp_gt_f64_e32 vcc, 0, v[8:9]
	v_xor_b32_e32 v4, 0x80000000, v11
	v_mov_b32_e32 v2, v8
	v_cndmask_b32_e32 v3, v9, v3, vcc
	v_cmp_gt_f64_e32 vcc, 0, v[10:11]
	s_nop 1
	v_cndmask_b32_e32 v5, v11, v4, vcc
	v_mov_b32_e32 v4, v10
	v_cmp_ngt_f64_e32 vcc, v[2:3], v[4:5]
                                        ; implicit-def: $vgpr2_vgpr3
	s_and_saveexec_b64 s[0:1], vcc
	s_xor_b64 s[0:1], exec, s[0:1]
	s_cbranch_execz .LBB117_4
; %bb.3:
	v_div_scale_f64 v[2:3], s[2:3], v[10:11], v[10:11], v[8:9]
	v_rcp_f64_e32 v[4:5], v[2:3]
	v_div_scale_f64 v[6:7], vcc, v[8:9], v[10:11], v[8:9]
	v_fma_f64 v[12:13], -v[2:3], v[4:5], 1.0
	v_fmac_f64_e32 v[4:5], v[4:5], v[12:13]
	v_fma_f64 v[12:13], -v[2:3], v[4:5], 1.0
	v_fmac_f64_e32 v[4:5], v[4:5], v[12:13]
	v_mul_f64 v[12:13], v[6:7], v[4:5]
	v_fma_f64 v[2:3], -v[2:3], v[12:13], v[6:7]
	v_div_fmas_f64 v[2:3], v[2:3], v[4:5], v[12:13]
	v_div_fixup_f64 v[2:3], v[2:3], v[10:11], v[8:9]
	v_fmac_f64_e32 v[10:11], v[8:9], v[2:3]
	v_div_scale_f64 v[4:5], s[2:3], v[10:11], v[10:11], 1.0
	v_rcp_f64_e32 v[6:7], v[4:5]
	s_nop 0
	v_fma_f64 v[8:9], -v[4:5], v[6:7], 1.0
	v_fmac_f64_e32 v[6:7], v[6:7], v[8:9]
	v_fma_f64 v[8:9], -v[4:5], v[6:7], 1.0
	v_fmac_f64_e32 v[6:7], v[6:7], v[8:9]
	v_div_scale_f64 v[8:9], vcc, 1.0, v[10:11], 1.0
	v_mul_f64 v[12:13], v[8:9], v[6:7]
	v_fma_f64 v[4:5], -v[4:5], v[12:13], v[8:9]
                                        ; implicit-def: $vgpr8_vgpr9
	s_nop 1
	v_div_fmas_f64 v[4:5], v[4:5], v[6:7], v[12:13]
	v_div_fixup_f64 v[4:5], v[4:5], v[10:11], 1.0
	v_mul_f64 v[2:3], v[2:3], v[4:5]
	v_xor_b32_e32 v5, 0x80000000, v5
	v_xor_b32_e32 v7, 0x80000000, v3
	v_mov_b32_e32 v6, v2
.LBB117_4:
	s_or_saveexec_b64 s[0:1], s[0:1]
	v_add_u32_e32 v119, 0, v118
	s_xor_b64 exec, exec, s[0:1]
	s_cbranch_execz .LBB117_6
; %bb.5:
	v_div_scale_f64 v[2:3], s[2:3], v[8:9], v[8:9], v[10:11]
	v_rcp_f64_e32 v[4:5], v[2:3]
	v_div_scale_f64 v[6:7], vcc, v[10:11], v[8:9], v[10:11]
	v_fma_f64 v[12:13], -v[2:3], v[4:5], 1.0
	v_fmac_f64_e32 v[4:5], v[4:5], v[12:13]
	v_fma_f64 v[12:13], -v[2:3], v[4:5], 1.0
	v_fmac_f64_e32 v[4:5], v[4:5], v[12:13]
	v_mul_f64 v[12:13], v[6:7], v[4:5]
	v_fma_f64 v[2:3], -v[2:3], v[12:13], v[6:7]
	v_div_fmas_f64 v[2:3], v[2:3], v[4:5], v[12:13]
	v_div_fixup_f64 v[4:5], v[2:3], v[8:9], v[10:11]
	v_fmac_f64_e32 v[8:9], v[10:11], v[4:5]
	v_div_scale_f64 v[2:3], s[2:3], v[8:9], v[8:9], 1.0
	v_rcp_f64_e32 v[6:7], v[2:3]
	s_nop 0
	v_fma_f64 v[10:11], -v[2:3], v[6:7], 1.0
	v_fmac_f64_e32 v[6:7], v[6:7], v[10:11]
	v_fma_f64 v[10:11], -v[2:3], v[6:7], 1.0
	v_fmac_f64_e32 v[6:7], v[6:7], v[10:11]
	v_div_scale_f64 v[10:11], vcc, 1.0, v[8:9], 1.0
	v_mul_f64 v[12:13], v[10:11], v[6:7]
	v_fma_f64 v[2:3], -v[2:3], v[12:13], v[10:11]
	s_nop 1
	v_div_fmas_f64 v[2:3], v[2:3], v[6:7], v[12:13]
	v_div_fixup_f64 v[2:3], v[2:3], v[8:9], 1.0
	v_xor_b32_e32 v7, 0x80000000, v3
	v_mov_b32_e32 v6, v2
	v_mul_f64 v[4:5], v[4:5], -v[2:3]
.LBB117_6:
	s_or_b64 exec, exec, s[0:1]
	scratch_store_dwordx4 v119, v[2:5], off
	s_nop 1
	v_xor_b32_e32 v5, 0x80000000, v5
	s_branch .LBB117_8
.LBB117_7:
	v_mov_b64_e32 v[4:5], 0
	v_mov_b64_e32 v[6:7], -1.0
.LBB117_8:
	v_mov_b32_e32 v8, v4
	v_mov_b32_e32 v9, v5
	v_add_u32_e32 v170, 16, v1
	v_add_u32_e32 v169, 32, v1
	;; [unrolled: 1-line block ×53, first 2 shown]
	ds_write_b128 v118, v[6:9]
	s_cmpk_eq_i32 s4, 0x79
	v_add_u32_e32 v9, 0x360, v118
	v_add_u32_e32 v8, 0, v118
	s_cbranch_scc1 .LBB117_428
; %bb.9:
	scratch_load_dwordx4 v[2:5], v16, off
	v_cmp_eq_u32_e64 s[0:1], 53, v0
	s_waitcnt vmcnt(0)
	ds_write_b128 v9, v[2:5]
	s_waitcnt lgkmcnt(0)
	; wave barrier
	s_waitcnt lgkmcnt(0)
	s_and_saveexec_b64 s[2:3], s[0:1]
	s_cbranch_execz .LBB117_13
; %bb.10:
	ds_read_b128 v[2:5], v9
	s_andn2_b64 vcc, exec, s[6:7]
	s_cbranch_vccnz .LBB117_12
; %bb.11:
	scratch_load_dwordx4 v[172:175], v8, off
	s_waitcnt vmcnt(0) lgkmcnt(0)
	v_mul_f64 v[12:13], v[2:3], v[174:175]
	v_mul_f64 v[6:7], v[4:5], v[174:175]
	v_fmac_f64_e32 v[12:13], v[4:5], v[172:173]
	v_fma_f64 v[2:3], v[2:3], v[172:173], -v[6:7]
	v_mov_b64_e32 v[4:5], v[12:13]
.LBB117_12:
	v_mov_b32_e32 v6, 0
	ds_read_b128 v[172:175], v6 offset:832
	s_waitcnt lgkmcnt(0)
	v_mul_f64 v[6:7], v[4:5], v[174:175]
	v_mul_f64 v[176:177], v[2:3], v[174:175]
	v_fma_f64 v[174:175], v[2:3], v[172:173], -v[6:7]
	v_fmac_f64_e32 v[176:177], v[4:5], v[172:173]
	scratch_store_dwordx4 off, v[174:177], off offset:832
.LBB117_13:
	s_or_b64 exec, exec, s[2:3]
	scratch_load_dwordx4 v[2:5], v26, off
	v_cmp_lt_u32_e64 s[2:3], 51, v0
	s_waitcnt vmcnt(0)
	ds_write_b128 v9, v[2:5]
	s_waitcnt lgkmcnt(0)
	; wave barrier
	s_waitcnt lgkmcnt(0)
	s_and_saveexec_b64 s[4:5], s[2:3]
	s_cbranch_execz .LBB117_19
; %bb.14:
	ds_read_b128 v[2:5], v9
	s_andn2_b64 vcc, exec, s[6:7]
	s_cbranch_vccnz .LBB117_16
; %bb.15:
	scratch_load_dwordx4 v[172:175], v8, off
	s_waitcnt vmcnt(0) lgkmcnt(0)
	v_mul_f64 v[12:13], v[2:3], v[174:175]
	v_mul_f64 v[6:7], v[4:5], v[174:175]
	v_fmac_f64_e32 v[12:13], v[4:5], v[172:173]
	v_fma_f64 v[2:3], v[2:3], v[172:173], -v[6:7]
	v_mov_b64_e32 v[4:5], v[12:13]
.LBB117_16:
	s_and_saveexec_b64 s[8:9], s[0:1]
	s_cbranch_execz .LBB117_18
; %bb.17:
	scratch_load_dwordx4 v[172:175], off, off offset:832
	v_mov_b32_e32 v6, 0
	ds_read_b128 v[176:179], v6 offset:1696
	s_waitcnt vmcnt(0) lgkmcnt(0)
	v_mul_f64 v[6:7], v[176:177], v[174:175]
	v_mul_f64 v[12:13], v[178:179], v[174:175]
	v_fmac_f64_e32 v[6:7], v[178:179], v[172:173]
	v_fma_f64 v[12:13], v[176:177], v[172:173], -v[12:13]
	v_add_f64 v[4:5], v[4:5], v[6:7]
	v_add_f64 v[2:3], v[2:3], v[12:13]
.LBB117_18:
	s_or_b64 exec, exec, s[8:9]
	v_mov_b32_e32 v6, 0
	ds_read_b128 v[172:175], v6 offset:816
	s_waitcnt lgkmcnt(0)
	v_mul_f64 v[6:7], v[4:5], v[174:175]
	v_mul_f64 v[176:177], v[2:3], v[174:175]
	v_fma_f64 v[174:175], v[2:3], v[172:173], -v[6:7]
	v_fmac_f64_e32 v[176:177], v[4:5], v[172:173]
	scratch_store_dwordx4 off, v[174:177], off offset:816
.LBB117_19:
	s_or_b64 exec, exec, s[4:5]
	scratch_load_dwordx4 v[2:5], v27, off
	v_cmp_lt_u32_e64 s[0:1], 50, v0
	s_waitcnt vmcnt(0)
	ds_write_b128 v9, v[2:5]
	s_waitcnt lgkmcnt(0)
	; wave barrier
	s_waitcnt lgkmcnt(0)
	s_and_saveexec_b64 s[4:5], s[0:1]
	s_cbranch_execz .LBB117_27
; %bb.20:
	ds_read_b128 v[2:5], v9
	s_andn2_b64 vcc, exec, s[6:7]
	s_cbranch_vccnz .LBB117_22
; %bb.21:
	scratch_load_dwordx4 v[172:175], v8, off
	s_waitcnt vmcnt(0) lgkmcnt(0)
	v_mul_f64 v[12:13], v[2:3], v[174:175]
	v_mul_f64 v[6:7], v[4:5], v[174:175]
	v_fmac_f64_e32 v[12:13], v[4:5], v[172:173]
	v_fma_f64 v[2:3], v[2:3], v[172:173], -v[6:7]
	v_mov_b64_e32 v[4:5], v[12:13]
.LBB117_22:
	s_and_saveexec_b64 s[8:9], s[2:3]
	s_cbranch_execz .LBB117_26
; %bb.23:
	v_mov_b32_e32 v7, 0
	v_subrev_u32_e32 v6, 51, v0
	v_add_u32_e32 v7, 0x338, v7
	s_movk_i32 s10, 0x690
	s_mov_b64 s[2:3], 0
.LBB117_24:                             ; =>This Inner Loop Header: Depth=1
	v_add_u32_e32 v11, -8, v7
	scratch_load_dwordx4 v[172:175], v11, off
	v_mov_b32_e32 v11, s10
	ds_read_b128 v[176:179], v11
	v_add_u32_e32 v6, -1, v6
	s_add_i32 s10, s10, 16
	v_cmp_eq_u32_e32 vcc, 0, v6
	v_add_u32_e32 v7, 16, v7
	s_or_b64 s[2:3], vcc, s[2:3]
	s_waitcnt vmcnt(0) lgkmcnt(0)
	v_mul_f64 v[12:13], v[178:179], v[174:175]
	v_mul_f64 v[14:15], v[176:177], v[174:175]
	v_fma_f64 v[12:13], v[176:177], v[172:173], -v[12:13]
	v_fmac_f64_e32 v[14:15], v[178:179], v[172:173]
	v_add_f64 v[2:3], v[2:3], v[12:13]
	v_add_f64 v[4:5], v[4:5], v[14:15]
	s_andn2_b64 exec, exec, s[2:3]
	s_cbranch_execnz .LBB117_24
; %bb.25:
	s_or_b64 exec, exec, s[2:3]
.LBB117_26:
	s_or_b64 exec, exec, s[8:9]
	v_mov_b32_e32 v6, 0
	ds_read_b128 v[172:175], v6 offset:800
	s_waitcnt lgkmcnt(0)
	v_mul_f64 v[6:7], v[4:5], v[174:175]
	v_mul_f64 v[176:177], v[2:3], v[174:175]
	v_fma_f64 v[174:175], v[2:3], v[172:173], -v[6:7]
	v_fmac_f64_e32 v[176:177], v[4:5], v[172:173]
	scratch_store_dwordx4 off, v[174:177], off offset:800
.LBB117_27:
	s_or_b64 exec, exec, s[4:5]
	scratch_load_dwordx4 v[2:5], v22, off
	v_cmp_lt_u32_e64 s[2:3], 49, v0
	s_waitcnt vmcnt(0)
	ds_write_b128 v9, v[2:5]
	s_waitcnt lgkmcnt(0)
	; wave barrier
	s_waitcnt lgkmcnt(0)
	s_and_saveexec_b64 s[4:5], s[2:3]
	s_cbranch_execz .LBB117_35
; %bb.28:
	ds_read_b128 v[2:5], v9
	s_andn2_b64 vcc, exec, s[6:7]
	s_cbranch_vccnz .LBB117_30
; %bb.29:
	scratch_load_dwordx4 v[172:175], v8, off
	s_waitcnt vmcnt(0) lgkmcnt(0)
	v_mul_f64 v[12:13], v[2:3], v[174:175]
	v_mul_f64 v[6:7], v[4:5], v[174:175]
	v_fmac_f64_e32 v[12:13], v[4:5], v[172:173]
	v_fma_f64 v[2:3], v[2:3], v[172:173], -v[6:7]
	v_mov_b64_e32 v[4:5], v[12:13]
.LBB117_30:
	s_and_saveexec_b64 s[8:9], s[0:1]
	s_cbranch_execz .LBB117_34
; %bb.31:
	v_mov_b32_e32 v7, 0
	v_subrev_u32_e32 v6, 50, v0
	v_add_u32_e32 v7, 0x328, v7
	s_movk_i32 s10, 0x680
	s_mov_b64 s[0:1], 0
.LBB117_32:                             ; =>This Inner Loop Header: Depth=1
	v_add_u32_e32 v11, -8, v7
	scratch_load_dwordx4 v[172:175], v11, off
	v_mov_b32_e32 v11, s10
	ds_read_b128 v[176:179], v11
	v_add_u32_e32 v6, -1, v6
	s_add_i32 s10, s10, 16
	v_cmp_eq_u32_e32 vcc, 0, v6
	v_add_u32_e32 v7, 16, v7
	s_or_b64 s[0:1], vcc, s[0:1]
	s_waitcnt vmcnt(0) lgkmcnt(0)
	v_mul_f64 v[12:13], v[178:179], v[174:175]
	v_mul_f64 v[14:15], v[176:177], v[174:175]
	v_fma_f64 v[12:13], v[176:177], v[172:173], -v[12:13]
	v_fmac_f64_e32 v[14:15], v[178:179], v[172:173]
	v_add_f64 v[2:3], v[2:3], v[12:13]
	v_add_f64 v[4:5], v[4:5], v[14:15]
	s_andn2_b64 exec, exec, s[0:1]
	s_cbranch_execnz .LBB117_32
; %bb.33:
	s_or_b64 exec, exec, s[0:1]
.LBB117_34:
	s_or_b64 exec, exec, s[8:9]
	v_mov_b32_e32 v6, 0
	ds_read_b128 v[172:175], v6 offset:784
	s_waitcnt lgkmcnt(0)
	v_mul_f64 v[6:7], v[4:5], v[174:175]
	v_mul_f64 v[176:177], v[2:3], v[174:175]
	v_fma_f64 v[174:175], v[2:3], v[172:173], -v[6:7]
	v_fmac_f64_e32 v[176:177], v[4:5], v[172:173]
	scratch_store_dwordx4 off, v[174:177], off offset:784
.LBB117_35:
	;; [unrolled: 63-line block ×10, first 2 shown]
	s_or_b64 exec, exec, s[4:5]
	scratch_load_dwordx4 v[2:5], v131, off
	v_cmp_lt_u32_e64 s[0:1], 40, v0
	s_waitcnt vmcnt(0)
	ds_write_b128 v9, v[2:5]
	s_waitcnt lgkmcnt(0)
	; wave barrier
	s_waitcnt lgkmcnt(0)
	s_and_saveexec_b64 s[4:5], s[0:1]
	s_cbranch_execz .LBB117_107
; %bb.100:
	ds_read_b128 v[2:5], v9
	s_andn2_b64 vcc, exec, s[6:7]
	s_cbranch_vccnz .LBB117_102
; %bb.101:
	scratch_load_dwordx4 v[172:175], v8, off
	s_waitcnt vmcnt(0) lgkmcnt(0)
	v_mul_f64 v[12:13], v[2:3], v[174:175]
	v_mul_f64 v[6:7], v[4:5], v[174:175]
	v_fmac_f64_e32 v[12:13], v[4:5], v[172:173]
	v_fma_f64 v[2:3], v[2:3], v[172:173], -v[6:7]
	v_mov_b64_e32 v[4:5], v[12:13]
.LBB117_102:
	s_and_saveexec_b64 s[8:9], s[2:3]
	s_cbranch_execz .LBB117_106
; %bb.103:
	v_mov_b32_e32 v7, 0
	v_subrev_u32_e32 v6, 41, v0
	v_add_u32_e32 v7, 0x298, v7
	s_movk_i32 s10, 0x5f0
	s_mov_b64 s[2:3], 0
.LBB117_104:                            ; =>This Inner Loop Header: Depth=1
	v_add_u32_e32 v11, -8, v7
	scratch_load_dwordx4 v[172:175], v11, off
	v_mov_b32_e32 v11, s10
	ds_read_b128 v[176:179], v11
	v_add_u32_e32 v6, -1, v6
	s_add_i32 s10, s10, 16
	v_cmp_eq_u32_e32 vcc, 0, v6
	v_add_u32_e32 v7, 16, v7
	s_or_b64 s[2:3], vcc, s[2:3]
	s_waitcnt vmcnt(0) lgkmcnt(0)
	v_mul_f64 v[12:13], v[178:179], v[174:175]
	v_mul_f64 v[14:15], v[176:177], v[174:175]
	v_fma_f64 v[12:13], v[176:177], v[172:173], -v[12:13]
	v_fmac_f64_e32 v[14:15], v[178:179], v[172:173]
	v_add_f64 v[2:3], v[2:3], v[12:13]
	v_add_f64 v[4:5], v[4:5], v[14:15]
	s_andn2_b64 exec, exec, s[2:3]
	s_cbranch_execnz .LBB117_104
; %bb.105:
	s_or_b64 exec, exec, s[2:3]
.LBB117_106:
	s_or_b64 exec, exec, s[8:9]
	v_mov_b32_e32 v6, 0
	ds_read_b128 v[172:175], v6 offset:640
	s_waitcnt lgkmcnt(0)
	v_mul_f64 v[6:7], v[4:5], v[174:175]
	v_mul_f64 v[176:177], v[2:3], v[174:175]
	v_fma_f64 v[174:175], v[2:3], v[172:173], -v[6:7]
	v_fmac_f64_e32 v[176:177], v[4:5], v[172:173]
	scratch_store_dwordx4 off, v[174:177], off offset:640
.LBB117_107:
	s_or_b64 exec, exec, s[4:5]
	scratch_load_dwordx4 v[2:5], v132, off
	v_cmp_lt_u32_e64 s[2:3], 39, v0
	s_waitcnt vmcnt(0)
	ds_write_b128 v9, v[2:5]
	s_waitcnt lgkmcnt(0)
	; wave barrier
	s_waitcnt lgkmcnt(0)
	s_and_saveexec_b64 s[4:5], s[2:3]
	s_cbranch_execz .LBB117_115
; %bb.108:
	ds_read_b128 v[2:5], v9
	s_andn2_b64 vcc, exec, s[6:7]
	s_cbranch_vccnz .LBB117_110
; %bb.109:
	scratch_load_dwordx4 v[172:175], v8, off
	s_waitcnt vmcnt(0) lgkmcnt(0)
	v_mul_f64 v[12:13], v[2:3], v[174:175]
	v_mul_f64 v[6:7], v[4:5], v[174:175]
	v_fmac_f64_e32 v[12:13], v[4:5], v[172:173]
	v_fma_f64 v[2:3], v[2:3], v[172:173], -v[6:7]
	v_mov_b64_e32 v[4:5], v[12:13]
.LBB117_110:
	s_and_saveexec_b64 s[8:9], s[0:1]
	s_cbranch_execz .LBB117_114
; %bb.111:
	v_mov_b32_e32 v7, 0
	v_subrev_u32_e32 v6, 40, v0
	v_add_u32_e32 v7, 0x288, v7
	s_movk_i32 s10, 0x5e0
	s_mov_b64 s[0:1], 0
.LBB117_112:                            ; =>This Inner Loop Header: Depth=1
	v_add_u32_e32 v11, -8, v7
	scratch_load_dwordx4 v[172:175], v11, off
	v_mov_b32_e32 v11, s10
	ds_read_b128 v[176:179], v11
	v_add_u32_e32 v6, -1, v6
	s_add_i32 s10, s10, 16
	v_cmp_eq_u32_e32 vcc, 0, v6
	v_add_u32_e32 v7, 16, v7
	s_or_b64 s[0:1], vcc, s[0:1]
	s_waitcnt vmcnt(0) lgkmcnt(0)
	v_mul_f64 v[12:13], v[178:179], v[174:175]
	v_mul_f64 v[14:15], v[176:177], v[174:175]
	v_fma_f64 v[12:13], v[176:177], v[172:173], -v[12:13]
	v_fmac_f64_e32 v[14:15], v[178:179], v[172:173]
	v_add_f64 v[2:3], v[2:3], v[12:13]
	v_add_f64 v[4:5], v[4:5], v[14:15]
	s_andn2_b64 exec, exec, s[0:1]
	s_cbranch_execnz .LBB117_112
; %bb.113:
	s_or_b64 exec, exec, s[0:1]
.LBB117_114:
	s_or_b64 exec, exec, s[8:9]
	v_mov_b32_e32 v6, 0
	ds_read_b128 v[172:175], v6 offset:624
	s_waitcnt lgkmcnt(0)
	v_mul_f64 v[6:7], v[4:5], v[174:175]
	v_mul_f64 v[176:177], v[2:3], v[174:175]
	v_fma_f64 v[174:175], v[2:3], v[172:173], -v[6:7]
	v_fmac_f64_e32 v[176:177], v[4:5], v[172:173]
	scratch_store_dwordx4 off, v[174:177], off offset:624
.LBB117_115:
	;; [unrolled: 63-line block ×25, first 2 shown]
	s_or_b64 exec, exec, s[4:5]
	scratch_load_dwordx4 v[2:5], v156, off
	v_cmp_lt_u32_e64 s[2:3], 15, v0
	s_waitcnt vmcnt(0)
	ds_write_b128 v9, v[2:5]
	s_waitcnt lgkmcnt(0)
	; wave barrier
	s_waitcnt lgkmcnt(0)
	s_and_saveexec_b64 s[4:5], s[2:3]
	s_cbranch_execz .LBB117_307
; %bb.300:
	ds_read_b128 v[2:5], v9
	s_andn2_b64 vcc, exec, s[6:7]
	s_cbranch_vccnz .LBB117_302
; %bb.301:
	scratch_load_dwordx4 v[172:175], v8, off
	s_waitcnt vmcnt(0) lgkmcnt(0)
	v_mul_f64 v[12:13], v[2:3], v[174:175]
	v_mul_f64 v[6:7], v[4:5], v[174:175]
	v_fmac_f64_e32 v[12:13], v[4:5], v[172:173]
	v_fma_f64 v[2:3], v[2:3], v[172:173], -v[6:7]
	v_mov_b64_e32 v[4:5], v[12:13]
.LBB117_302:
	s_and_saveexec_b64 s[8:9], s[0:1]
	s_cbranch_execz .LBB117_306
; %bb.303:
	v_mov_b32_e32 v7, 0
	v_add_u32_e32 v6, -16, v0
	v_add_u32_e32 v7, 0x108, v7
	s_movk_i32 s10, 0x460
	s_mov_b64 s[0:1], 0
.LBB117_304:                            ; =>This Inner Loop Header: Depth=1
	v_add_u32_e32 v11, -8, v7
	scratch_load_dwordx4 v[172:175], v11, off
	v_mov_b32_e32 v11, s10
	ds_read_b128 v[176:179], v11
	v_add_u32_e32 v6, -1, v6
	s_add_i32 s10, s10, 16
	v_cmp_eq_u32_e32 vcc, 0, v6
	v_add_u32_e32 v7, 16, v7
	s_or_b64 s[0:1], vcc, s[0:1]
	s_waitcnt vmcnt(0) lgkmcnt(0)
	v_mul_f64 v[12:13], v[178:179], v[174:175]
	v_mul_f64 v[14:15], v[176:177], v[174:175]
	v_fma_f64 v[12:13], v[176:177], v[172:173], -v[12:13]
	v_fmac_f64_e32 v[14:15], v[178:179], v[172:173]
	v_add_f64 v[2:3], v[2:3], v[12:13]
	v_add_f64 v[4:5], v[4:5], v[14:15]
	s_andn2_b64 exec, exec, s[0:1]
	s_cbranch_execnz .LBB117_304
; %bb.305:
	s_or_b64 exec, exec, s[0:1]
.LBB117_306:
	s_or_b64 exec, exec, s[8:9]
	v_mov_b32_e32 v6, 0
	ds_read_b128 v[172:175], v6 offset:240
	s_waitcnt lgkmcnt(0)
	v_mul_f64 v[6:7], v[4:5], v[174:175]
	v_mul_f64 v[176:177], v[2:3], v[174:175]
	v_fma_f64 v[174:175], v[2:3], v[172:173], -v[6:7]
	v_fmac_f64_e32 v[176:177], v[4:5], v[172:173]
	scratch_store_dwordx4 off, v[174:177], off offset:240
.LBB117_307:
	s_or_b64 exec, exec, s[4:5]
	scratch_load_dwordx4 v[2:5], v157, off
	v_cmp_lt_u32_e64 s[0:1], 14, v0
	s_waitcnt vmcnt(0)
	ds_write_b128 v9, v[2:5]
	s_waitcnt lgkmcnt(0)
	; wave barrier
	s_waitcnt lgkmcnt(0)
	s_and_saveexec_b64 s[4:5], s[0:1]
	s_cbranch_execz .LBB117_315
; %bb.308:
	ds_read_b128 v[2:5], v9
	s_andn2_b64 vcc, exec, s[6:7]
	s_cbranch_vccnz .LBB117_310
; %bb.309:
	scratch_load_dwordx4 v[172:175], v8, off
	s_waitcnt vmcnt(0) lgkmcnt(0)
	v_mul_f64 v[12:13], v[2:3], v[174:175]
	v_mul_f64 v[6:7], v[4:5], v[174:175]
	v_fmac_f64_e32 v[12:13], v[4:5], v[172:173]
	v_fma_f64 v[2:3], v[2:3], v[172:173], -v[6:7]
	v_mov_b64_e32 v[4:5], v[12:13]
.LBB117_310:
	s_and_saveexec_b64 s[8:9], s[2:3]
	s_cbranch_execz .LBB117_314
; %bb.311:
	v_mov_b32_e32 v7, 0
	v_add_u32_e32 v6, -15, v0
	v_add_u32_e32 v7, 0xf8, v7
	s_movk_i32 s10, 0x450
	s_mov_b64 s[2:3], 0
.LBB117_312:                            ; =>This Inner Loop Header: Depth=1
	v_add_u32_e32 v11, -8, v7
	scratch_load_dwordx4 v[172:175], v11, off
	v_mov_b32_e32 v11, s10
	ds_read_b128 v[176:179], v11
	v_add_u32_e32 v6, -1, v6
	s_add_i32 s10, s10, 16
	v_cmp_eq_u32_e32 vcc, 0, v6
	v_add_u32_e32 v7, 16, v7
	s_or_b64 s[2:3], vcc, s[2:3]
	s_waitcnt vmcnt(0) lgkmcnt(0)
	v_mul_f64 v[12:13], v[178:179], v[174:175]
	v_mul_f64 v[14:15], v[176:177], v[174:175]
	v_fma_f64 v[12:13], v[176:177], v[172:173], -v[12:13]
	v_fmac_f64_e32 v[14:15], v[178:179], v[172:173]
	v_add_f64 v[2:3], v[2:3], v[12:13]
	v_add_f64 v[4:5], v[4:5], v[14:15]
	s_andn2_b64 exec, exec, s[2:3]
	s_cbranch_execnz .LBB117_312
; %bb.313:
	s_or_b64 exec, exec, s[2:3]
.LBB117_314:
	s_or_b64 exec, exec, s[8:9]
	v_mov_b32_e32 v6, 0
	ds_read_b128 v[172:175], v6 offset:224
	s_waitcnt lgkmcnt(0)
	v_mul_f64 v[6:7], v[4:5], v[174:175]
	v_mul_f64 v[176:177], v[2:3], v[174:175]
	v_fma_f64 v[174:175], v[2:3], v[172:173], -v[6:7]
	v_fmac_f64_e32 v[176:177], v[4:5], v[172:173]
	scratch_store_dwordx4 off, v[174:177], off offset:224
.LBB117_315:
	;; [unrolled: 63-line block ×15, first 2 shown]
	s_or_b64 exec, exec, s[2:3]
	scratch_load_dwordx4 v[2:5], off, off
	v_cmp_ne_u32_e32 vcc, 0, v0
	s_mov_b64 s[2:3], 0
	s_mov_b64 s[4:5], 0
                                        ; implicit-def: $vgpr6_vgpr7
                                        ; implicit-def: $vgpr171
	s_waitcnt vmcnt(0)
	ds_write_b128 v9, v[2:5]
	s_waitcnt lgkmcnt(0)
	; wave barrier
	s_waitcnt lgkmcnt(0)
	s_and_saveexec_b64 s[8:9], vcc
	s_cbranch_execz .LBB117_427
; %bb.420:
	ds_read_b128 v[2:5], v9
	s_andn2_b64 vcc, exec, s[6:7]
	s_cbranch_vccnz .LBB117_422
; %bb.421:
	scratch_load_dwordx4 v[172:175], v8, off
	s_waitcnt vmcnt(0) lgkmcnt(0)
	v_mul_f64 v[12:13], v[2:3], v[174:175]
	v_mul_f64 v[6:7], v[4:5], v[174:175]
	v_fmac_f64_e32 v[12:13], v[4:5], v[172:173]
	v_fma_f64 v[2:3], v[2:3], v[172:173], -v[6:7]
	v_mov_b64_e32 v[4:5], v[12:13]
.LBB117_422:
	s_and_saveexec_b64 s[4:5], s[0:1]
	s_cbranch_execz .LBB117_426
; %bb.423:
	v_mov_b32_e32 v7, 0
	v_add_u32_e32 v6, -1, v0
	v_add_u32_e32 v7, 24, v7
	s_movk_i32 s10, 0x370
	s_mov_b64 s[0:1], 0
.LBB117_424:                            ; =>This Inner Loop Header: Depth=1
	v_add_u32_e32 v11, -8, v7
	scratch_load_dwordx4 v[172:175], v11, off
	v_mov_b32_e32 v11, s10
	ds_read_b128 v[176:179], v11
	v_add_u32_e32 v6, -1, v6
	s_add_i32 s10, s10, 16
	v_cmp_eq_u32_e32 vcc, 0, v6
	v_add_u32_e32 v7, 16, v7
	s_or_b64 s[0:1], vcc, s[0:1]
	s_waitcnt vmcnt(0) lgkmcnt(0)
	v_mul_f64 v[12:13], v[178:179], v[174:175]
	v_mul_f64 v[14:15], v[176:177], v[174:175]
	v_fma_f64 v[12:13], v[176:177], v[172:173], -v[12:13]
	v_fmac_f64_e32 v[14:15], v[178:179], v[172:173]
	v_add_f64 v[2:3], v[2:3], v[12:13]
	v_add_f64 v[4:5], v[4:5], v[14:15]
	s_andn2_b64 exec, exec, s[0:1]
	s_cbranch_execnz .LBB117_424
; %bb.425:
	s_or_b64 exec, exec, s[0:1]
.LBB117_426:
	s_or_b64 exec, exec, s[4:5]
	v_mov_b32_e32 v6, 0
	ds_read_b128 v[172:175], v6
	v_mov_b32_e32 v6, 0
	v_or_b32_e32 v171, 8, v6
	s_mov_b64 s[4:5], exec
	s_waitcnt lgkmcnt(0)
	v_mul_f64 v[12:13], v[4:5], v[174:175]
	v_mul_f64 v[6:7], v[2:3], v[174:175]
	v_fma_f64 v[2:3], v[2:3], v[172:173], -v[12:13]
	v_fmac_f64_e32 v[6:7], v[4:5], v[172:173]
	scratch_store_dwordx2 off, v[2:3], off
.LBB117_427:
	s_or_b64 exec, exec, s[8:9]
	s_and_b64 vcc, exec, s[2:3]
	s_cbranch_vccnz .LBB117_429
	s_branch .LBB117_848
.LBB117_428:
	s_mov_b64 s[4:5], 0
                                        ; implicit-def: $vgpr6_vgpr7
                                        ; implicit-def: $vgpr171
	s_cbranch_execz .LBB117_848
.LBB117_429:
	scratch_load_dwordx4 v[2:5], v170, off
	v_cndmask_b32_e64 v6, 0, 1, s[6:7]
	v_cmp_eq_u32_e64 s[2:3], 0, v0
	v_cmp_ne_u32_e64 s[0:1], 1, v6
	s_waitcnt vmcnt(0)
	ds_write_b128 v9, v[2:5]
	s_waitcnt lgkmcnt(0)
	; wave barrier
	s_waitcnt lgkmcnt(0)
	s_and_saveexec_b64 s[6:7], s[2:3]
	s_cbranch_execz .LBB117_433
; %bb.430:
	ds_read_b128 v[2:5], v9
	s_and_b64 vcc, exec, s[0:1]
	s_cbranch_vccnz .LBB117_432
; %bb.431:
	scratch_load_dwordx4 v[172:175], v8, off
	s_waitcnt vmcnt(0) lgkmcnt(0)
	v_mul_f64 v[12:13], v[2:3], v[174:175]
	v_mul_f64 v[6:7], v[4:5], v[174:175]
	v_fmac_f64_e32 v[12:13], v[4:5], v[172:173]
	v_fma_f64 v[2:3], v[2:3], v[172:173], -v[6:7]
	v_mov_b64_e32 v[4:5], v[12:13]
.LBB117_432:
	v_mov_b32_e32 v6, 0
	ds_read_b128 v[172:175], v6 offset:16
	s_waitcnt lgkmcnt(0)
	v_mul_f64 v[6:7], v[4:5], v[174:175]
	v_mul_f64 v[176:177], v[2:3], v[174:175]
	v_fma_f64 v[174:175], v[2:3], v[172:173], -v[6:7]
	v_fmac_f64_e32 v[176:177], v[4:5], v[172:173]
	scratch_store_dwordx4 off, v[174:177], off offset:16
.LBB117_433:
	s_or_b64 exec, exec, s[6:7]
	scratch_load_dwordx4 v[2:5], v169, off
	v_cmp_gt_u32_e32 vcc, 2, v0
	s_waitcnt vmcnt(0)
	ds_write_b128 v9, v[2:5]
	s_waitcnt lgkmcnt(0)
	; wave barrier
	s_waitcnt lgkmcnt(0)
	s_and_saveexec_b64 s[6:7], vcc
	s_cbranch_execz .LBB117_439
; %bb.434:
	ds_read_b128 v[2:5], v9
	s_and_b64 vcc, exec, s[0:1]
	s_cbranch_vccnz .LBB117_436
; %bb.435:
	scratch_load_dwordx4 v[172:175], v8, off
	s_waitcnt vmcnt(0) lgkmcnt(0)
	v_mul_f64 v[12:13], v[2:3], v[174:175]
	v_mul_f64 v[6:7], v[4:5], v[174:175]
	v_fmac_f64_e32 v[12:13], v[4:5], v[172:173]
	v_fma_f64 v[2:3], v[2:3], v[172:173], -v[6:7]
	v_mov_b64_e32 v[4:5], v[12:13]
.LBB117_436:
	s_and_saveexec_b64 s[8:9], s[2:3]
	s_cbranch_execz .LBB117_438
; %bb.437:
	scratch_load_dwordx4 v[172:175], v8, off offset:16
	ds_read_b128 v[176:179], v9 offset:16
	s_waitcnt vmcnt(0) lgkmcnt(0)
	v_mul_f64 v[6:7], v[178:179], v[174:175]
	v_mul_f64 v[12:13], v[176:177], v[174:175]
	v_fma_f64 v[6:7], v[176:177], v[172:173], -v[6:7]
	v_fmac_f64_e32 v[12:13], v[178:179], v[172:173]
	v_add_f64 v[2:3], v[2:3], v[6:7]
	v_add_f64 v[4:5], v[4:5], v[12:13]
.LBB117_438:
	s_or_b64 exec, exec, s[8:9]
	v_mov_b32_e32 v6, 0
	ds_read_b128 v[172:175], v6 offset:32
	s_waitcnt lgkmcnt(0)
	v_mul_f64 v[6:7], v[4:5], v[174:175]
	v_mul_f64 v[176:177], v[2:3], v[174:175]
	v_fma_f64 v[174:175], v[2:3], v[172:173], -v[6:7]
	v_fmac_f64_e32 v[176:177], v[4:5], v[172:173]
	scratch_store_dwordx4 off, v[174:177], off offset:32
.LBB117_439:
	s_or_b64 exec, exec, s[6:7]
	scratch_load_dwordx4 v[2:5], v168, off
	v_cmp_gt_u32_e32 vcc, 3, v0
	s_waitcnt vmcnt(0)
	ds_write_b128 v9, v[2:5]
	s_waitcnt lgkmcnt(0)
	; wave barrier
	s_waitcnt lgkmcnt(0)
	s_and_saveexec_b64 s[6:7], vcc
	s_cbranch_execz .LBB117_447
; %bb.440:
	ds_read_b128 v[2:5], v9
	s_and_b64 vcc, exec, s[0:1]
	s_cbranch_vccnz .LBB117_442
; %bb.441:
	scratch_load_dwordx4 v[172:175], v8, off
	s_waitcnt vmcnt(0) lgkmcnt(0)
	v_mul_f64 v[12:13], v[2:3], v[174:175]
	v_mul_f64 v[6:7], v[4:5], v[174:175]
	v_fmac_f64_e32 v[12:13], v[4:5], v[172:173]
	v_fma_f64 v[2:3], v[2:3], v[172:173], -v[6:7]
	v_mov_b64_e32 v[4:5], v[12:13]
.LBB117_442:
	v_cmp_ne_u32_e32 vcc, 2, v0
	s_and_saveexec_b64 s[8:9], vcc
	s_cbranch_execz .LBB117_446
; %bb.443:
	scratch_load_dwordx4 v[172:175], v8, off offset:16
	ds_read_b128 v[176:179], v9 offset:16
	s_waitcnt vmcnt(0) lgkmcnt(0)
	v_mul_f64 v[6:7], v[178:179], v[174:175]
	v_mul_f64 v[12:13], v[176:177], v[174:175]
	v_fma_f64 v[6:7], v[176:177], v[172:173], -v[6:7]
	v_fmac_f64_e32 v[12:13], v[178:179], v[172:173]
	v_add_f64 v[2:3], v[2:3], v[6:7]
	v_add_f64 v[4:5], v[4:5], v[12:13]
	s_and_saveexec_b64 s[10:11], s[2:3]
	s_cbranch_execz .LBB117_445
; %bb.444:
	scratch_load_dwordx4 v[172:175], off, off offset:32
	v_mov_b32_e32 v6, 0
	ds_read_b128 v[176:179], v6 offset:896
	s_waitcnt vmcnt(0) lgkmcnt(0)
	v_mul_f64 v[6:7], v[176:177], v[174:175]
	v_mul_f64 v[12:13], v[178:179], v[174:175]
	v_fmac_f64_e32 v[6:7], v[178:179], v[172:173]
	v_fma_f64 v[12:13], v[176:177], v[172:173], -v[12:13]
	v_add_f64 v[4:5], v[4:5], v[6:7]
	v_add_f64 v[2:3], v[2:3], v[12:13]
.LBB117_445:
	s_or_b64 exec, exec, s[10:11]
.LBB117_446:
	s_or_b64 exec, exec, s[8:9]
	v_mov_b32_e32 v6, 0
	ds_read_b128 v[172:175], v6 offset:48
	s_waitcnt lgkmcnt(0)
	v_mul_f64 v[6:7], v[4:5], v[174:175]
	v_mul_f64 v[176:177], v[2:3], v[174:175]
	v_fma_f64 v[174:175], v[2:3], v[172:173], -v[6:7]
	v_fmac_f64_e32 v[176:177], v[4:5], v[172:173]
	scratch_store_dwordx4 off, v[174:177], off offset:48
.LBB117_447:
	s_or_b64 exec, exec, s[6:7]
	scratch_load_dwordx4 v[2:5], v167, off
	v_cmp_gt_u32_e32 vcc, 4, v0
	s_waitcnt vmcnt(0)
	ds_write_b128 v9, v[2:5]
	s_waitcnt lgkmcnt(0)
	; wave barrier
	s_waitcnt lgkmcnt(0)
	s_and_saveexec_b64 s[2:3], vcc
	s_cbranch_execz .LBB117_455
; %bb.448:
	ds_read_b128 v[2:5], v9
	s_and_b64 vcc, exec, s[0:1]
	s_cbranch_vccnz .LBB117_450
; %bb.449:
	scratch_load_dwordx4 v[172:175], v8, off
	s_waitcnt vmcnt(0) lgkmcnt(0)
	v_mul_f64 v[12:13], v[2:3], v[174:175]
	v_mul_f64 v[6:7], v[4:5], v[174:175]
	v_fmac_f64_e32 v[12:13], v[4:5], v[172:173]
	v_fma_f64 v[2:3], v[2:3], v[172:173], -v[6:7]
	v_mov_b64_e32 v[4:5], v[12:13]
.LBB117_450:
	v_cmp_ne_u32_e32 vcc, 3, v0
	s_and_saveexec_b64 s[6:7], vcc
	s_cbranch_execz .LBB117_454
; %bb.451:
	v_mov_b32_e32 v7, 0
	v_add_u32_e32 v6, 0x370, v118
	v_add3_u32 v7, v118, v7, 24
	s_mov_b64 s[8:9], 0
	v_mov_b32_e32 v171, v0
.LBB117_452:                            ; =>This Inner Loop Header: Depth=1
	v_add_u32_e32 v11, -8, v7
	scratch_load_dwordx4 v[172:175], v11, off
	ds_read_b128 v[176:179], v6
	v_add_u32_e32 v171, 1, v171
	v_cmp_lt_u32_e32 vcc, 2, v171
	v_add_u32_e32 v6, 16, v6
	v_add_u32_e32 v7, 16, v7
	s_or_b64 s[8:9], vcc, s[8:9]
	s_waitcnt vmcnt(0) lgkmcnt(0)
	v_mul_f64 v[12:13], v[178:179], v[174:175]
	v_mul_f64 v[14:15], v[176:177], v[174:175]
	v_fma_f64 v[12:13], v[176:177], v[172:173], -v[12:13]
	v_fmac_f64_e32 v[14:15], v[178:179], v[172:173]
	v_add_f64 v[2:3], v[2:3], v[12:13]
	v_add_f64 v[4:5], v[4:5], v[14:15]
	s_andn2_b64 exec, exec, s[8:9]
	s_cbranch_execnz .LBB117_452
; %bb.453:
	s_or_b64 exec, exec, s[8:9]
.LBB117_454:
	s_or_b64 exec, exec, s[6:7]
	v_mov_b32_e32 v6, 0
	ds_read_b128 v[172:175], v6 offset:64
	s_waitcnt lgkmcnt(0)
	v_mul_f64 v[6:7], v[4:5], v[174:175]
	v_mul_f64 v[176:177], v[2:3], v[174:175]
	v_fma_f64 v[174:175], v[2:3], v[172:173], -v[6:7]
	v_fmac_f64_e32 v[176:177], v[4:5], v[172:173]
	scratch_store_dwordx4 off, v[174:177], off offset:64
.LBB117_455:
	s_or_b64 exec, exec, s[2:3]
	scratch_load_dwordx4 v[2:5], v166, off
	v_cmp_gt_u32_e32 vcc, 5, v0
	s_waitcnt vmcnt(0)
	ds_write_b128 v9, v[2:5]
	s_waitcnt lgkmcnt(0)
	; wave barrier
	s_waitcnt lgkmcnt(0)
	s_and_saveexec_b64 s[2:3], vcc
	s_cbranch_execz .LBB117_463
; %bb.456:
	ds_read_b128 v[2:5], v9
	s_and_b64 vcc, exec, s[0:1]
	s_cbranch_vccnz .LBB117_458
; %bb.457:
	scratch_load_dwordx4 v[172:175], v8, off
	s_waitcnt vmcnt(0) lgkmcnt(0)
	v_mul_f64 v[12:13], v[2:3], v[174:175]
	v_mul_f64 v[6:7], v[4:5], v[174:175]
	v_fmac_f64_e32 v[12:13], v[4:5], v[172:173]
	v_fma_f64 v[2:3], v[2:3], v[172:173], -v[6:7]
	v_mov_b64_e32 v[4:5], v[12:13]
.LBB117_458:
	v_cmp_ne_u32_e32 vcc, 4, v0
	s_and_saveexec_b64 s[6:7], vcc
	s_cbranch_execz .LBB117_462
; %bb.459:
	v_mov_b32_e32 v7, 0
	v_add_u32_e32 v6, 0x370, v118
	v_add3_u32 v7, v118, v7, 24
	s_mov_b64 s[8:9], 0
	v_mov_b32_e32 v171, v0
.LBB117_460:                            ; =>This Inner Loop Header: Depth=1
	v_add_u32_e32 v11, -8, v7
	scratch_load_dwordx4 v[172:175], v11, off
	ds_read_b128 v[176:179], v6
	v_add_u32_e32 v171, 1, v171
	v_cmp_lt_u32_e32 vcc, 3, v171
	v_add_u32_e32 v6, 16, v6
	v_add_u32_e32 v7, 16, v7
	s_or_b64 s[8:9], vcc, s[8:9]
	s_waitcnt vmcnt(0) lgkmcnt(0)
	v_mul_f64 v[12:13], v[178:179], v[174:175]
	v_mul_f64 v[14:15], v[176:177], v[174:175]
	v_fma_f64 v[12:13], v[176:177], v[172:173], -v[12:13]
	v_fmac_f64_e32 v[14:15], v[178:179], v[172:173]
	v_add_f64 v[2:3], v[2:3], v[12:13]
	v_add_f64 v[4:5], v[4:5], v[14:15]
	s_andn2_b64 exec, exec, s[8:9]
	s_cbranch_execnz .LBB117_460
; %bb.461:
	s_or_b64 exec, exec, s[8:9]
.LBB117_462:
	s_or_b64 exec, exec, s[6:7]
	v_mov_b32_e32 v6, 0
	ds_read_b128 v[172:175], v6 offset:80
	s_waitcnt lgkmcnt(0)
	v_mul_f64 v[6:7], v[4:5], v[174:175]
	v_mul_f64 v[176:177], v[2:3], v[174:175]
	v_fma_f64 v[174:175], v[2:3], v[172:173], -v[6:7]
	v_fmac_f64_e32 v[176:177], v[4:5], v[172:173]
	scratch_store_dwordx4 off, v[174:177], off offset:80
.LBB117_463:
	;; [unrolled: 63-line block ×48, first 2 shown]
	s_or_b64 exec, exec, s[2:3]
	scratch_load_dwordx4 v[2:5], v16, off
	v_cmp_gt_u32_e64 s[2:3], 52, v0
	s_waitcnt vmcnt(0)
	ds_write_b128 v9, v[2:5]
	s_waitcnt lgkmcnt(0)
	; wave barrier
	s_waitcnt lgkmcnt(0)
	s_and_saveexec_b64 s[6:7], s[2:3]
	s_cbranch_execz .LBB117_839
; %bb.832:
	ds_read_b128 v[2:5], v9
	s_and_b64 vcc, exec, s[0:1]
	s_cbranch_vccnz .LBB117_834
; %bb.833:
	scratch_load_dwordx4 v[172:175], v8, off
	s_waitcnt vmcnt(0) lgkmcnt(0)
	v_mul_f64 v[12:13], v[2:3], v[174:175]
	v_mul_f64 v[6:7], v[4:5], v[174:175]
	v_fmac_f64_e32 v[12:13], v[4:5], v[172:173]
	v_fma_f64 v[2:3], v[2:3], v[172:173], -v[6:7]
	v_mov_b64_e32 v[4:5], v[12:13]
.LBB117_834:
	v_cmp_ne_u32_e32 vcc, 51, v0
	s_and_saveexec_b64 s[8:9], vcc
	s_cbranch_execz .LBB117_838
; %bb.835:
	v_mov_b32_e32 v7, 0
	v_add_u32_e32 v6, 0x370, v118
	v_add3_u32 v7, v118, v7, 24
	s_mov_b64 s[10:11], 0
	v_mov_b32_e32 v171, v0
.LBB117_836:                            ; =>This Inner Loop Header: Depth=1
	v_add_u32_e32 v11, -8, v7
	scratch_load_dwordx4 v[172:175], v11, off
	ds_read_b128 v[176:179], v6
	v_add_u32_e32 v171, 1, v171
	v_cmp_lt_u32_e32 vcc, 50, v171
	v_add_u32_e32 v6, 16, v6
	v_add_u32_e32 v7, 16, v7
	s_or_b64 s[10:11], vcc, s[10:11]
	s_waitcnt vmcnt(0) lgkmcnt(0)
	v_mul_f64 v[12:13], v[178:179], v[174:175]
	v_mul_f64 v[14:15], v[176:177], v[174:175]
	v_fma_f64 v[12:13], v[176:177], v[172:173], -v[12:13]
	v_fmac_f64_e32 v[14:15], v[178:179], v[172:173]
	v_add_f64 v[2:3], v[2:3], v[12:13]
	v_add_f64 v[4:5], v[4:5], v[14:15]
	s_andn2_b64 exec, exec, s[10:11]
	s_cbranch_execnz .LBB117_836
; %bb.837:
	s_or_b64 exec, exec, s[10:11]
.LBB117_838:
	s_or_b64 exec, exec, s[8:9]
	v_mov_b32_e32 v6, 0
	ds_read_b128 v[172:175], v6 offset:832
	s_waitcnt lgkmcnt(0)
	v_mul_f64 v[6:7], v[4:5], v[174:175]
	v_mul_f64 v[176:177], v[2:3], v[174:175]
	v_fma_f64 v[174:175], v[2:3], v[172:173], -v[6:7]
	v_fmac_f64_e32 v[176:177], v[4:5], v[172:173]
	scratch_store_dwordx4 off, v[174:177], off offset:832
.LBB117_839:
	s_or_b64 exec, exec, s[6:7]
	scratch_load_dwordx4 v[2:5], v1, off
	v_cmp_ne_u32_e32 vcc, 53, v0
                                        ; implicit-def: $vgpr6_vgpr7
                                        ; implicit-def: $vgpr171
	s_waitcnt vmcnt(0)
	ds_write_b128 v9, v[2:5]
	s_waitcnt lgkmcnt(0)
	; wave barrier
	s_waitcnt lgkmcnt(0)
	s_and_saveexec_b64 s[6:7], vcc
	s_cbranch_execz .LBB117_847
; %bb.840:
	ds_read_b128 v[2:5], v9
	s_and_b64 vcc, exec, s[0:1]
	s_cbranch_vccnz .LBB117_842
; %bb.841:
	scratch_load_dwordx4 v[6:9], v8, off
	s_waitcnt vmcnt(0) lgkmcnt(0)
	v_mul_f64 v[12:13], v[4:5], v[8:9]
	v_mul_f64 v[8:9], v[2:3], v[8:9]
	v_fmac_f64_e32 v[8:9], v[4:5], v[6:7]
	v_fma_f64 v[2:3], v[2:3], v[6:7], -v[12:13]
	v_mov_b64_e32 v[4:5], v[8:9]
.LBB117_842:
	s_and_saveexec_b64 s[0:1], s[2:3]
	s_cbranch_execz .LBB117_846
; %bb.843:
	v_mov_b32_e32 v7, 0
	v_add_u32_e32 v6, 0x370, v118
	v_add3_u32 v7, v118, v7, 24
	s_mov_b64 s[2:3], 0
.LBB117_844:                            ; =>This Inner Loop Header: Depth=1
	v_add_u32_e32 v8, -8, v7
	scratch_load_dwordx4 v[172:175], v8, off
	ds_read_b128 v[176:179], v6
	v_add_u32_e32 v0, 1, v0
	v_cmp_lt_u32_e32 vcc, 51, v0
	v_add_u32_e32 v6, 16, v6
	v_add_u32_e32 v7, 16, v7
	s_or_b64 s[2:3], vcc, s[2:3]
	s_waitcnt vmcnt(0) lgkmcnt(0)
	v_mul_f64 v[8:9], v[178:179], v[174:175]
	v_mul_f64 v[12:13], v[176:177], v[174:175]
	v_fma_f64 v[8:9], v[176:177], v[172:173], -v[8:9]
	v_fmac_f64_e32 v[12:13], v[178:179], v[172:173]
	v_add_f64 v[2:3], v[2:3], v[8:9]
	v_add_f64 v[4:5], v[4:5], v[12:13]
	s_andn2_b64 exec, exec, s[2:3]
	s_cbranch_execnz .LBB117_844
; %bb.845:
	s_or_b64 exec, exec, s[2:3]
.LBB117_846:
	s_or_b64 exec, exec, s[0:1]
	v_mov_b32_e32 v0, 0
	ds_read_b128 v[172:175], v0 offset:848
	v_mov_b32_e32 v0, 0
	v_add_u32_e32 v171, 0x358, v0
	s_or_b64 s[4:5], s[4:5], exec
	s_waitcnt lgkmcnt(0)
	v_mul_f64 v[8:9], v[4:5], v[174:175]
	v_mul_f64 v[6:7], v[2:3], v[174:175]
	v_fma_f64 v[2:3], v[2:3], v[172:173], -v[8:9]
	v_fmac_f64_e32 v[6:7], v[4:5], v[172:173]
	scratch_store_dwordx2 off, v[2:3], off offset:848
.LBB117_847:
	s_or_b64 exec, exec, s[6:7]
.LBB117_848:
	v_mov_b32_e32 v14, v122
	v_mov_b32_e32 v0, v16
	s_and_saveexec_b64 s[0:1], s[4:5]
	s_cbranch_execz .LBB117_850
; %bb.849:
	scratch_store_dwordx2 v171, v[6:7], off
.LBB117_850:
	s_or_b64 exec, exec, s[0:1]
	scratch_load_dwordx4 v[2:5], off, off
	scratch_load_dwordx4 v[6:9], v170, off
	s_nop 0
	scratch_load_dwordx4 v[170:173], v169, off
	scratch_load_dwordx4 v[174:177], v168, off
	scratch_load_dwordx4 v[178:181], v167, off
	s_nop 0
	scratch_load_dwordx4 v[166:169], v166, off
	s_nop 0
	scratch_load_dwordx4 v[182:185], v165, off
	scratch_load_dwordx4 v[186:189], v164, off
	scratch_load_dwordx4 v[190:193], v163, off
	s_nop 0
	;; [unrolled: 6-line block ×7, first 2 shown]
	scratch_load_dwordx4 v[142:145], v142, off
	s_waitcnt vmcnt(29)
	global_store_dwordx4 v[48:49], v[2:5], off
	scratch_load_dwordx4 v[2:5], v141, off
	s_nop 0
	scratch_load_dwordx4 v[122:125], v140, off
	s_waitcnt vmcnt(31)
	global_store_dwordx4 v[42:43], v[6:9], off
	scratch_load_dwordx4 v[6:9], v139, off
	s_nop 0
	;; [unrolled: 5-line block ×10, first 2 shown]
	scratch_load_dwordx4 v[162:165], v22, off
	v_accvgpr_read_b32 v23, a3
	v_accvgpr_read_b32 v22, a2
	s_waitcnt vmcnt(49)
	global_store_dwordx4 v[22:23], v[194:197], off
	scratch_load_dwordx4 v[194:197], v27, off
	s_nop 0
	scratch_load_dwordx4 v[22:25], v26, off
	v_accvgpr_read_b32 v27, a5
	v_accvgpr_read_b32 v26, a4
	s_waitcnt vmcnt(51)
	global_store_dwordx4 v[26:27], v[198:201], off
	scratch_load_dwordx4 v[198:201], v0, off
	s_nop 0
	scratch_load_dwordx4 v[26:29], v1, off
	v_accvgpr_read_b32 v0, a0
	v_accvgpr_read_b32 v1, a1
	s_waitcnt vmcnt(53)
	global_store_dwordx4 v[0:1], v[202:205], off
	v_accvgpr_read_b32 v0, a6
	v_accvgpr_read_b32 v1, a7
	s_waitcnt vmcnt(53)
	global_store_dwordx4 v[0:1], v[158:161], off
	;; [unrolled: 4-line block ×3, first 2 shown]
	s_waitcnt vmcnt(53)
	global_store_dwordx4 v[38:39], v[210:213], off
	s_waitcnt vmcnt(53)
	global_store_dwordx4 v[40:41], v[214:217], off
	;; [unrolled: 2-line block ×39, first 2 shown]
.LBB117_851:
	s_endpgm
	.section	.rodata,"a",@progbits
	.p2align	6, 0x0
	.amdhsa_kernel _ZN9rocsolver6v33100L18trti2_kernel_smallILi54E19rocblas_complex_numIdEPKPS3_EEv13rocblas_fill_17rocblas_diagonal_T1_iil
		.amdhsa_group_segment_fixed_size 1728
		.amdhsa_private_segment_fixed_size 880
		.amdhsa_kernarg_size 32
		.amdhsa_user_sgpr_count 2
		.amdhsa_user_sgpr_dispatch_ptr 0
		.amdhsa_user_sgpr_queue_ptr 0
		.amdhsa_user_sgpr_kernarg_segment_ptr 1
		.amdhsa_user_sgpr_dispatch_id 0
		.amdhsa_user_sgpr_kernarg_preload_length 0
		.amdhsa_user_sgpr_kernarg_preload_offset 0
		.amdhsa_user_sgpr_private_segment_size 0
		.amdhsa_uses_dynamic_stack 0
		.amdhsa_enable_private_segment 1
		.amdhsa_system_sgpr_workgroup_id_x 1
		.amdhsa_system_sgpr_workgroup_id_y 0
		.amdhsa_system_sgpr_workgroup_id_z 0
		.amdhsa_system_sgpr_workgroup_info 0
		.amdhsa_system_vgpr_workitem_id 0
		.amdhsa_next_free_vgpr 266
		.amdhsa_next_free_sgpr 12
		.amdhsa_accum_offset 256
		.amdhsa_reserve_vcc 1
		.amdhsa_float_round_mode_32 0
		.amdhsa_float_round_mode_16_64 0
		.amdhsa_float_denorm_mode_32 3
		.amdhsa_float_denorm_mode_16_64 3
		.amdhsa_dx10_clamp 1
		.amdhsa_ieee_mode 1
		.amdhsa_fp16_overflow 0
		.amdhsa_tg_split 0
		.amdhsa_exception_fp_ieee_invalid_op 0
		.amdhsa_exception_fp_denorm_src 0
		.amdhsa_exception_fp_ieee_div_zero 0
		.amdhsa_exception_fp_ieee_overflow 0
		.amdhsa_exception_fp_ieee_underflow 0
		.amdhsa_exception_fp_ieee_inexact 0
		.amdhsa_exception_int_div_zero 0
	.end_amdhsa_kernel
	.section	.text._ZN9rocsolver6v33100L18trti2_kernel_smallILi54E19rocblas_complex_numIdEPKPS3_EEv13rocblas_fill_17rocblas_diagonal_T1_iil,"axG",@progbits,_ZN9rocsolver6v33100L18trti2_kernel_smallILi54E19rocblas_complex_numIdEPKPS3_EEv13rocblas_fill_17rocblas_diagonal_T1_iil,comdat
.Lfunc_end117:
	.size	_ZN9rocsolver6v33100L18trti2_kernel_smallILi54E19rocblas_complex_numIdEPKPS3_EEv13rocblas_fill_17rocblas_diagonal_T1_iil, .Lfunc_end117-_ZN9rocsolver6v33100L18trti2_kernel_smallILi54E19rocblas_complex_numIdEPKPS3_EEv13rocblas_fill_17rocblas_diagonal_T1_iil
                                        ; -- End function
	.section	.AMDGPU.csdata,"",@progbits
; Kernel info:
; codeLenInByte = 35808
; NumSgprs: 18
; NumVgprs: 256
; NumAgprs: 10
; TotalNumVgprs: 266
; ScratchSize: 880
; MemoryBound: 0
; FloatMode: 240
; IeeeMode: 1
; LDSByteSize: 1728 bytes/workgroup (compile time only)
; SGPRBlocks: 2
; VGPRBlocks: 33
; NumSGPRsForWavesPerEU: 18
; NumVGPRsForWavesPerEU: 266
; AccumOffset: 256
; Occupancy: 1
; WaveLimiterHint : 1
; COMPUTE_PGM_RSRC2:SCRATCH_EN: 1
; COMPUTE_PGM_RSRC2:USER_SGPR: 2
; COMPUTE_PGM_RSRC2:TRAP_HANDLER: 0
; COMPUTE_PGM_RSRC2:TGID_X_EN: 1
; COMPUTE_PGM_RSRC2:TGID_Y_EN: 0
; COMPUTE_PGM_RSRC2:TGID_Z_EN: 0
; COMPUTE_PGM_RSRC2:TIDIG_COMP_CNT: 0
; COMPUTE_PGM_RSRC3_GFX90A:ACCUM_OFFSET: 63
; COMPUTE_PGM_RSRC3_GFX90A:TG_SPLIT: 0
	.section	.text._ZN9rocsolver6v33100L18trti2_kernel_smallILi55E19rocblas_complex_numIdEPKPS3_EEv13rocblas_fill_17rocblas_diagonal_T1_iil,"axG",@progbits,_ZN9rocsolver6v33100L18trti2_kernel_smallILi55E19rocblas_complex_numIdEPKPS3_EEv13rocblas_fill_17rocblas_diagonal_T1_iil,comdat
	.globl	_ZN9rocsolver6v33100L18trti2_kernel_smallILi55E19rocblas_complex_numIdEPKPS3_EEv13rocblas_fill_17rocblas_diagonal_T1_iil ; -- Begin function _ZN9rocsolver6v33100L18trti2_kernel_smallILi55E19rocblas_complex_numIdEPKPS3_EEv13rocblas_fill_17rocblas_diagonal_T1_iil
	.p2align	8
	.type	_ZN9rocsolver6v33100L18trti2_kernel_smallILi55E19rocblas_complex_numIdEPKPS3_EEv13rocblas_fill_17rocblas_diagonal_T1_iil,@function
_ZN9rocsolver6v33100L18trti2_kernel_smallILi55E19rocblas_complex_numIdEPKPS3_EEv13rocblas_fill_17rocblas_diagonal_T1_iil: ; @_ZN9rocsolver6v33100L18trti2_kernel_smallILi55E19rocblas_complex_numIdEPKPS3_EEv13rocblas_fill_17rocblas_diagonal_T1_iil
; %bb.0:
	v_cmp_gt_u32_e32 vcc, 55, v0
	s_and_saveexec_b64 s[4:5], vcc
	s_cbranch_execz .LBB118_867
; %bb.1:
	s_load_dwordx2 s[8:9], s[0:1], 0x10
	s_load_dwordx4 s[4:7], s[0:1], 0x0
	s_ashr_i32 s3, s2, 31
	s_lshl_b64 s[0:1], s[2:3], 3
	v_lshlrev_b32_e32 v66, 4, v0
	s_waitcnt lgkmcnt(0)
	s_ashr_i32 s3, s8, 31
	s_add_u32 s0, s6, s0
	s_addc_u32 s1, s7, s1
	s_load_dwordx2 s[0:1], s[0:1], 0x0
	s_mov_b32 s2, s8
	s_lshl_b64 s[2:3], s[2:3], 4
	v_mov_b32_e32 v67, 0
	v_mov_b32_e32 v1, 0
	s_waitcnt lgkmcnt(0)
	s_add_u32 s0, s0, s2
	s_addc_u32 s1, s1, s3
	v_lshl_add_u64 v[12:13], s[0:1], 0, v[66:67]
	s_ashr_i32 s3, s9, 31
	s_mov_b32 s2, s9
	v_lshl_add_u64 v[14:15], s[2:3], 4, v[12:13]
	s_add_i32 s2, s9, s9
	v_add_u32_e32 v10, s2, v0
	v_ashrrev_i32_e32 v11, 31, v10
	v_lshl_add_u64 v[16:17], v[10:11], 4, s[0:1]
	v_add_u32_e32 v10, s9, v10
	v_ashrrev_i32_e32 v11, 31, v10
	v_lshl_add_u64 v[18:19], v[10:11], 4, s[0:1]
	;; [unrolled: 3-line block ×6, first 2 shown]
	v_add_u32_e32 v10, s9, v10
	v_ashrrev_i32_e32 v11, 31, v10
	v_add_u32_e32 v30, s9, v10
	v_lshl_add_u64 v[28:29], v[10:11], 4, s[0:1]
	v_add_u32_e32 v10, s9, v30
	v_ashrrev_i32_e32 v11, 31, v10
	v_add_u32_e32 v34, s9, v10
	v_lshl_add_u64 v[32:33], v[10:11], 4, s[0:1]
	;; [unrolled: 4-line block ×3, first 2 shown]
	v_ashrrev_i32_e32 v39, 31, v38
	v_add_u32_e32 v10, s9, v38
	v_ashrrev_i32_e32 v31, 31, v30
	v_ashrrev_i32_e32 v35, 31, v34
	v_lshl_add_u64 v[42:43], v[38:39], 4, s[0:1]
	v_ashrrev_i32_e32 v11, 31, v10
	v_add_u32_e32 v38, s9, v10
	v_lshl_add_u64 v[30:31], v[30:31], 4, s[0:1]
	v_lshl_add_u64 v[34:35], v[34:35], 4, s[0:1]
	;; [unrolled: 1-line block ×3, first 2 shown]
	v_ashrrev_i32_e32 v39, 31, v38
	v_add_u32_e32 v10, s9, v38
	v_accvgpr_write_b32 a0, v42
	global_load_dwordx4 v[2:5], v66, s[0:1]
	global_load_dwordx4 v[6:9], v[14:15], off
	global_load_dwordx4 v[54:57], v[16:17], off
	;; [unrolled: 1-line block ×12, first 2 shown]
	v_accvgpr_write_b32 a1, v43
	global_load_dwordx4 v[100:103], v[42:43], off
	global_load_dwordx4 v[104:107], v[40:41], off
	v_lshl_add_u64 v[42:43], v[38:39], 4, s[0:1]
	v_ashrrev_i32_e32 v11, 31, v10
	v_add_u32_e32 v38, s9, v10
	v_lshl_add_u64 v[44:45], v[10:11], 4, s[0:1]
	v_ashrrev_i32_e32 v39, 31, v38
	v_add_u32_e32 v10, s9, v38
	;; [unrolled: 3-line block ×4, first 2 shown]
	v_lshl_add_u64 v[50:51], v[38:39], 4, s[0:1]
	v_ashrrev_i32_e32 v11, 31, v10
	global_load_dwordx4 v[108:111], v[42:43], off
	global_load_dwordx4 v[112:115], v[44:45], off
	;; [unrolled: 1-line block ×4, first 2 shown]
	v_lshl_add_u64 v[52:53], v[10:11], 4, s[0:1]
	global_load_dwordx4 v[124:127], v[50:51], off
	global_load_dwordx4 v[128:131], v[52:53], off
	s_cmpk_lg_i32 s5, 0x84
	s_cselect_b64 s[6:7], -1, 0
	s_cmpk_eq_i32 s5, 0x84
	s_waitcnt vmcnt(20)
	scratch_store_dwordx4 off, v[2:5], off
	s_waitcnt vmcnt(20)
	scratch_store_dwordx4 off, v[6:9], off offset:16
	s_waitcnt vmcnt(20)
	scratch_store_dwordx4 off, v[54:57], off offset:32
	;; [unrolled: 2-line block ×20, first 2 shown]
	v_add_u32_e32 v2, s9, v10
	v_add_u32_e32 v10, s9, v2
	v_ashrrev_i32_e32 v11, 31, v10
	v_lshl_add_u64 v[56:57], v[10:11], 4, s[0:1]
	v_add_u32_e32 v10, s9, v10
	v_ashrrev_i32_e32 v11, 31, v10
	v_lshl_add_u64 v[58:59], v[10:11], 4, s[0:1]
	;; [unrolled: 3-line block ×31, first 2 shown]
	v_add_u32_e32 v10, s9, v10
	v_ashrrev_i32_e32 v11, 31, v10
	v_ashrrev_i32_e32 v3, 31, v2
	v_lshl_add_u64 v[120:121], v[10:11], 4, s[0:1]
	v_add_u32_e32 v10, s9, v10
	v_lshl_add_u64 v[54:55], v[2:3], 4, s[0:1]
	v_ashrrev_i32_e32 v11, 31, v10
	global_load_dwordx4 v[2:5], v[54:55], off
	global_load_dwordx4 v[6:9], v[56:57], off
	;; [unrolled: 1-line block ×32, first 2 shown]
	v_lshl_add_u64 v[122:123], v[10:11], 4, s[0:1]
	global_load_dwordx4 v[244:247], v[120:121], off
	global_load_dwordx4 v[248:251], v[122:123], off
	s_waitcnt vmcnt(33)
	scratch_store_dwordx4 off, v[2:5], off offset:336
	s_waitcnt vmcnt(33)
	scratch_store_dwordx4 off, v[6:9], off offset:352
	;; [unrolled: 2-line block ×34, first 2 shown]
	s_cbranch_scc1 .LBB118_7
; %bb.2:
	scratch_load_dwordx4 v[8:11], v66, off
                                        ; implicit-def: $vgpr6_vgpr7
	s_waitcnt vmcnt(0)
	v_xor_b32_e32 v3, 0x80000000, v9
	v_cmp_gt_f64_e32 vcc, 0, v[8:9]
	v_xor_b32_e32 v4, 0x80000000, v11
	v_mov_b32_e32 v2, v8
	v_cndmask_b32_e32 v3, v9, v3, vcc
	v_cmp_gt_f64_e32 vcc, 0, v[10:11]
	s_nop 1
	v_cndmask_b32_e32 v5, v11, v4, vcc
	v_mov_b32_e32 v4, v10
	v_cmp_ngt_f64_e32 vcc, v[2:3], v[4:5]
                                        ; implicit-def: $vgpr2_vgpr3
	s_and_saveexec_b64 s[0:1], vcc
	s_xor_b64 s[0:1], exec, s[0:1]
	s_cbranch_execz .LBB118_4
; %bb.3:
	v_div_scale_f64 v[2:3], s[2:3], v[10:11], v[10:11], v[8:9]
	v_rcp_f64_e32 v[4:5], v[2:3]
	v_div_scale_f64 v[6:7], vcc, v[8:9], v[10:11], v[8:9]
	v_fma_f64 v[38:39], -v[2:3], v[4:5], 1.0
	v_fmac_f64_e32 v[4:5], v[4:5], v[38:39]
	v_fma_f64 v[38:39], -v[2:3], v[4:5], 1.0
	v_fmac_f64_e32 v[4:5], v[4:5], v[38:39]
	v_mul_f64 v[38:39], v[6:7], v[4:5]
	v_fma_f64 v[2:3], -v[2:3], v[38:39], v[6:7]
	v_div_fmas_f64 v[2:3], v[2:3], v[4:5], v[38:39]
	v_div_fixup_f64 v[2:3], v[2:3], v[10:11], v[8:9]
	v_fmac_f64_e32 v[10:11], v[8:9], v[2:3]
	v_div_scale_f64 v[4:5], s[2:3], v[10:11], v[10:11], 1.0
	v_rcp_f64_e32 v[6:7], v[4:5]
	s_nop 0
	v_fma_f64 v[8:9], -v[4:5], v[6:7], 1.0
	v_fmac_f64_e32 v[6:7], v[6:7], v[8:9]
	v_fma_f64 v[8:9], -v[4:5], v[6:7], 1.0
	v_fmac_f64_e32 v[6:7], v[6:7], v[8:9]
	v_div_scale_f64 v[8:9], vcc, 1.0, v[10:11], 1.0
	v_mul_f64 v[38:39], v[8:9], v[6:7]
	v_fma_f64 v[4:5], -v[4:5], v[38:39], v[8:9]
                                        ; implicit-def: $vgpr8_vgpr9
	s_nop 1
	v_div_fmas_f64 v[4:5], v[4:5], v[6:7], v[38:39]
	v_div_fixup_f64 v[4:5], v[4:5], v[10:11], 1.0
	v_mul_f64 v[2:3], v[2:3], v[4:5]
	v_xor_b32_e32 v5, 0x80000000, v5
	v_xor_b32_e32 v7, 0x80000000, v3
	v_mov_b32_e32 v6, v2
.LBB118_4:
	s_or_saveexec_b64 s[0:1], s[0:1]
	v_add_u32_e32 v67, 0, v66
	s_xor_b64 exec, exec, s[0:1]
	s_cbranch_execz .LBB118_6
; %bb.5:
	v_div_scale_f64 v[2:3], s[2:3], v[8:9], v[8:9], v[10:11]
	v_rcp_f64_e32 v[4:5], v[2:3]
	v_div_scale_f64 v[6:7], vcc, v[10:11], v[8:9], v[10:11]
	v_fma_f64 v[38:39], -v[2:3], v[4:5], 1.0
	v_fmac_f64_e32 v[4:5], v[4:5], v[38:39]
	v_fma_f64 v[38:39], -v[2:3], v[4:5], 1.0
	v_fmac_f64_e32 v[4:5], v[4:5], v[38:39]
	v_mul_f64 v[38:39], v[6:7], v[4:5]
	v_fma_f64 v[2:3], -v[2:3], v[38:39], v[6:7]
	v_div_fmas_f64 v[2:3], v[2:3], v[4:5], v[38:39]
	v_div_fixup_f64 v[4:5], v[2:3], v[8:9], v[10:11]
	v_fmac_f64_e32 v[8:9], v[10:11], v[4:5]
	v_div_scale_f64 v[2:3], s[2:3], v[8:9], v[8:9], 1.0
	v_rcp_f64_e32 v[6:7], v[2:3]
	s_nop 0
	v_fma_f64 v[10:11], -v[2:3], v[6:7], 1.0
	v_fmac_f64_e32 v[6:7], v[6:7], v[10:11]
	v_fma_f64 v[10:11], -v[2:3], v[6:7], 1.0
	v_fmac_f64_e32 v[6:7], v[6:7], v[10:11]
	v_div_scale_f64 v[10:11], vcc, 1.0, v[8:9], 1.0
	v_mul_f64 v[38:39], v[10:11], v[6:7]
	v_fma_f64 v[2:3], -v[2:3], v[38:39], v[10:11]
	s_nop 1
	v_div_fmas_f64 v[2:3], v[2:3], v[6:7], v[38:39]
	v_div_fixup_f64 v[2:3], v[2:3], v[8:9], 1.0
	v_xor_b32_e32 v7, 0x80000000, v3
	v_mov_b32_e32 v6, v2
	v_mul_f64 v[4:5], v[4:5], -v[2:3]
.LBB118_6:
	s_or_b64 exec, exec, s[0:1]
	scratch_store_dwordx4 v67, v[2:5], off
	s_nop 1
	v_xor_b32_e32 v5, 0x80000000, v5
	s_branch .LBB118_8
.LBB118_7:
	v_mov_b64_e32 v[4:5], 0
	v_mov_b64_e32 v[6:7], -1.0
.LBB118_8:
	v_mov_b32_e32 v8, v4
	v_mov_b32_e32 v9, v5
	v_add_u32_e32 v173, 16, v1
	v_add_u32_e32 v172, 32, v1
	;; [unrolled: 1-line block ×54, first 2 shown]
	ds_write_b128 v66, v[6:9]
	s_cmpk_eq_i32 s4, 0x79
	v_add_u32_e32 v9, 0x370, v66
	v_add_u32_e32 v8, 0, v66
	s_cbranch_scc1 .LBB118_436
; %bb.9:
	scratch_load_dwordx4 v[2:5], v10, off
	v_cmp_eq_u32_e64 s[0:1], 54, v0
	s_waitcnt vmcnt(0)
	ds_write_b128 v9, v[2:5]
	s_waitcnt lgkmcnt(0)
	; wave barrier
	s_waitcnt lgkmcnt(0)
	s_and_saveexec_b64 s[2:3], s[0:1]
	s_cbranch_execz .LBB118_13
; %bb.10:
	ds_read_b128 v[2:5], v9
	s_andn2_b64 vcc, exec, s[6:7]
	s_cbranch_vccnz .LBB118_12
; %bb.11:
	scratch_load_dwordx4 v[174:177], v8, off
	s_waitcnt vmcnt(0) lgkmcnt(0)
	v_mul_f64 v[38:39], v[2:3], v[176:177]
	v_mul_f64 v[6:7], v[4:5], v[176:177]
	v_fmac_f64_e32 v[38:39], v[4:5], v[174:175]
	v_fma_f64 v[2:3], v[2:3], v[174:175], -v[6:7]
	v_mov_b64_e32 v[4:5], v[38:39]
.LBB118_12:
	v_mov_b32_e32 v6, 0
	ds_read_b128 v[174:177], v6 offset:848
	s_waitcnt lgkmcnt(0)
	v_mul_f64 v[6:7], v[4:5], v[176:177]
	v_mul_f64 v[178:179], v[2:3], v[176:177]
	v_fma_f64 v[176:177], v[2:3], v[174:175], -v[6:7]
	v_fmac_f64_e32 v[178:179], v[4:5], v[174:175]
	scratch_store_dwordx4 off, v[176:179], off offset:848
.LBB118_13:
	s_or_b64 exec, exec, s[2:3]
	scratch_load_dwordx4 v[2:5], v11, off
	v_cmp_lt_u32_e64 s[2:3], 52, v0
	s_waitcnt vmcnt(0)
	ds_write_b128 v9, v[2:5]
	s_waitcnt lgkmcnt(0)
	; wave barrier
	s_waitcnt lgkmcnt(0)
	s_and_saveexec_b64 s[4:5], s[2:3]
	s_cbranch_execz .LBB118_19
; %bb.14:
	ds_read_b128 v[2:5], v9
	s_andn2_b64 vcc, exec, s[6:7]
	s_cbranch_vccnz .LBB118_16
; %bb.15:
	scratch_load_dwordx4 v[174:177], v8, off
	s_waitcnt vmcnt(0) lgkmcnt(0)
	v_mul_f64 v[38:39], v[2:3], v[176:177]
	v_mul_f64 v[6:7], v[4:5], v[176:177]
	v_fmac_f64_e32 v[38:39], v[4:5], v[174:175]
	v_fma_f64 v[2:3], v[2:3], v[174:175], -v[6:7]
	v_mov_b64_e32 v[4:5], v[38:39]
.LBB118_16:
	s_and_saveexec_b64 s[8:9], s[0:1]
	s_cbranch_execz .LBB118_18
; %bb.17:
	scratch_load_dwordx4 v[174:177], off, off offset:848
	v_mov_b32_e32 v6, 0
	ds_read_b128 v[178:181], v6 offset:1728
	s_waitcnt vmcnt(0) lgkmcnt(0)
	v_mul_f64 v[6:7], v[178:179], v[176:177]
	v_mul_f64 v[38:39], v[180:181], v[176:177]
	v_fmac_f64_e32 v[6:7], v[180:181], v[174:175]
	v_fma_f64 v[38:39], v[178:179], v[174:175], -v[38:39]
	v_add_f64 v[4:5], v[4:5], v[6:7]
	v_add_f64 v[2:3], v[2:3], v[38:39]
.LBB118_18:
	s_or_b64 exec, exec, s[8:9]
	v_mov_b32_e32 v6, 0
	ds_read_b128 v[174:177], v6 offset:832
	s_waitcnt lgkmcnt(0)
	v_mul_f64 v[6:7], v[4:5], v[176:177]
	v_mul_f64 v[178:179], v[2:3], v[176:177]
	v_fma_f64 v[176:177], v[2:3], v[174:175], -v[6:7]
	v_fmac_f64_e32 v[178:179], v[4:5], v[174:175]
	scratch_store_dwordx4 off, v[176:179], off offset:832
.LBB118_19:
	s_or_b64 exec, exec, s[4:5]
	scratch_load_dwordx4 v[2:5], v67, off
	v_cmp_lt_u32_e64 s[0:1], 51, v0
	s_waitcnt vmcnt(0)
	ds_write_b128 v9, v[2:5]
	s_waitcnt lgkmcnt(0)
	; wave barrier
	s_waitcnt lgkmcnt(0)
	s_and_saveexec_b64 s[4:5], s[0:1]
	s_cbranch_execz .LBB118_27
; %bb.20:
	ds_read_b128 v[2:5], v9
	s_andn2_b64 vcc, exec, s[6:7]
	s_cbranch_vccnz .LBB118_22
; %bb.21:
	scratch_load_dwordx4 v[174:177], v8, off
	s_waitcnt vmcnt(0) lgkmcnt(0)
	v_mul_f64 v[38:39], v[2:3], v[176:177]
	v_mul_f64 v[6:7], v[4:5], v[176:177]
	v_fmac_f64_e32 v[38:39], v[4:5], v[174:175]
	v_fma_f64 v[2:3], v[2:3], v[174:175], -v[6:7]
	v_mov_b64_e32 v[4:5], v[38:39]
.LBB118_22:
	s_and_saveexec_b64 s[8:9], s[2:3]
	s_cbranch_execz .LBB118_26
; %bb.23:
	v_mov_b32_e32 v7, 0
	v_subrev_u32_e32 v6, 52, v0
	v_add_u32_e32 v7, 0x348, v7
	s_movk_i32 s10, 0x6b0
	s_mov_b64 s[2:3], 0
.LBB118_24:                             ; =>This Inner Loop Header: Depth=1
	v_add_u32_e32 v38, -8, v7
	scratch_load_dwordx4 v[174:177], v38, off
	v_mov_b32_e32 v38, s10
	ds_read_b128 v[178:181], v38
	v_add_u32_e32 v6, -1, v6
	s_add_i32 s10, s10, 16
	v_cmp_eq_u32_e32 vcc, 0, v6
	v_add_u32_e32 v7, 16, v7
	s_or_b64 s[2:3], vcc, s[2:3]
	s_waitcnt vmcnt(0) lgkmcnt(0)
	v_mul_f64 v[38:39], v[180:181], v[176:177]
	v_mul_f64 v[176:177], v[178:179], v[176:177]
	v_fma_f64 v[38:39], v[178:179], v[174:175], -v[38:39]
	v_fmac_f64_e32 v[176:177], v[180:181], v[174:175]
	v_add_f64 v[2:3], v[2:3], v[38:39]
	v_add_f64 v[4:5], v[4:5], v[176:177]
	s_andn2_b64 exec, exec, s[2:3]
	s_cbranch_execnz .LBB118_24
; %bb.25:
	s_or_b64 exec, exec, s[2:3]
.LBB118_26:
	s_or_b64 exec, exec, s[8:9]
	v_mov_b32_e32 v6, 0
	ds_read_b128 v[174:177], v6 offset:816
	s_waitcnt lgkmcnt(0)
	v_mul_f64 v[6:7], v[4:5], v[176:177]
	v_mul_f64 v[178:179], v[2:3], v[176:177]
	v_fma_f64 v[176:177], v[2:3], v[174:175], -v[6:7]
	v_fmac_f64_e32 v[178:179], v[4:5], v[174:175]
	scratch_store_dwordx4 off, v[176:179], off offset:816
.LBB118_27:
	s_or_b64 exec, exec, s[4:5]
	scratch_load_dwordx4 v[2:5], v124, off
	v_cmp_lt_u32_e64 s[2:3], 50, v0
	s_waitcnt vmcnt(0)
	ds_write_b128 v9, v[2:5]
	s_waitcnt lgkmcnt(0)
	; wave barrier
	s_waitcnt lgkmcnt(0)
	s_and_saveexec_b64 s[4:5], s[2:3]
	s_cbranch_execz .LBB118_35
; %bb.28:
	ds_read_b128 v[2:5], v9
	s_andn2_b64 vcc, exec, s[6:7]
	s_cbranch_vccnz .LBB118_30
; %bb.29:
	scratch_load_dwordx4 v[174:177], v8, off
	s_waitcnt vmcnt(0) lgkmcnt(0)
	v_mul_f64 v[38:39], v[2:3], v[176:177]
	v_mul_f64 v[6:7], v[4:5], v[176:177]
	v_fmac_f64_e32 v[38:39], v[4:5], v[174:175]
	v_fma_f64 v[2:3], v[2:3], v[174:175], -v[6:7]
	v_mov_b64_e32 v[4:5], v[38:39]
.LBB118_30:
	s_and_saveexec_b64 s[8:9], s[0:1]
	s_cbranch_execz .LBB118_34
; %bb.31:
	v_mov_b32_e32 v7, 0
	v_subrev_u32_e32 v6, 51, v0
	v_add_u32_e32 v7, 0x338, v7
	s_movk_i32 s10, 0x6a0
	s_mov_b64 s[0:1], 0
.LBB118_32:                             ; =>This Inner Loop Header: Depth=1
	v_add_u32_e32 v38, -8, v7
	scratch_load_dwordx4 v[174:177], v38, off
	v_mov_b32_e32 v38, s10
	ds_read_b128 v[178:181], v38
	v_add_u32_e32 v6, -1, v6
	s_add_i32 s10, s10, 16
	v_cmp_eq_u32_e32 vcc, 0, v6
	v_add_u32_e32 v7, 16, v7
	s_or_b64 s[0:1], vcc, s[0:1]
	s_waitcnt vmcnt(0) lgkmcnt(0)
	v_mul_f64 v[38:39], v[180:181], v[176:177]
	v_mul_f64 v[176:177], v[178:179], v[176:177]
	v_fma_f64 v[38:39], v[178:179], v[174:175], -v[38:39]
	v_fmac_f64_e32 v[176:177], v[180:181], v[174:175]
	v_add_f64 v[2:3], v[2:3], v[38:39]
	v_add_f64 v[4:5], v[4:5], v[176:177]
	s_andn2_b64 exec, exec, s[0:1]
	s_cbranch_execnz .LBB118_32
; %bb.33:
	s_or_b64 exec, exec, s[0:1]
.LBB118_34:
	s_or_b64 exec, exec, s[8:9]
	v_mov_b32_e32 v6, 0
	ds_read_b128 v[174:177], v6 offset:800
	s_waitcnt lgkmcnt(0)
	v_mul_f64 v[6:7], v[4:5], v[176:177]
	v_mul_f64 v[178:179], v[2:3], v[176:177]
	v_fma_f64 v[176:177], v[2:3], v[174:175], -v[6:7]
	v_fmac_f64_e32 v[178:179], v[4:5], v[174:175]
	scratch_store_dwordx4 off, v[176:179], off offset:800
.LBB118_35:
	;; [unrolled: 63-line block ×10, first 2 shown]
	s_or_b64 exec, exec, s[4:5]
	scratch_load_dwordx4 v[2:5], v133, off
	v_cmp_lt_u32_e64 s[0:1], 41, v0
	s_waitcnt vmcnt(0)
	ds_write_b128 v9, v[2:5]
	s_waitcnt lgkmcnt(0)
	; wave barrier
	s_waitcnt lgkmcnt(0)
	s_and_saveexec_b64 s[4:5], s[0:1]
	s_cbranch_execz .LBB118_107
; %bb.100:
	ds_read_b128 v[2:5], v9
	s_andn2_b64 vcc, exec, s[6:7]
	s_cbranch_vccnz .LBB118_102
; %bb.101:
	scratch_load_dwordx4 v[174:177], v8, off
	s_waitcnt vmcnt(0) lgkmcnt(0)
	v_mul_f64 v[38:39], v[2:3], v[176:177]
	v_mul_f64 v[6:7], v[4:5], v[176:177]
	v_fmac_f64_e32 v[38:39], v[4:5], v[174:175]
	v_fma_f64 v[2:3], v[2:3], v[174:175], -v[6:7]
	v_mov_b64_e32 v[4:5], v[38:39]
.LBB118_102:
	s_and_saveexec_b64 s[8:9], s[2:3]
	s_cbranch_execz .LBB118_106
; %bb.103:
	v_mov_b32_e32 v7, 0
	v_subrev_u32_e32 v6, 42, v0
	v_add_u32_e32 v7, 0x2a8, v7
	s_movk_i32 s10, 0x610
	s_mov_b64 s[2:3], 0
.LBB118_104:                            ; =>This Inner Loop Header: Depth=1
	v_add_u32_e32 v38, -8, v7
	scratch_load_dwordx4 v[174:177], v38, off
	v_mov_b32_e32 v38, s10
	ds_read_b128 v[178:181], v38
	v_add_u32_e32 v6, -1, v6
	s_add_i32 s10, s10, 16
	v_cmp_eq_u32_e32 vcc, 0, v6
	v_add_u32_e32 v7, 16, v7
	s_or_b64 s[2:3], vcc, s[2:3]
	s_waitcnt vmcnt(0) lgkmcnt(0)
	v_mul_f64 v[38:39], v[180:181], v[176:177]
	v_mul_f64 v[176:177], v[178:179], v[176:177]
	v_fma_f64 v[38:39], v[178:179], v[174:175], -v[38:39]
	v_fmac_f64_e32 v[176:177], v[180:181], v[174:175]
	v_add_f64 v[2:3], v[2:3], v[38:39]
	v_add_f64 v[4:5], v[4:5], v[176:177]
	s_andn2_b64 exec, exec, s[2:3]
	s_cbranch_execnz .LBB118_104
; %bb.105:
	s_or_b64 exec, exec, s[2:3]
.LBB118_106:
	s_or_b64 exec, exec, s[8:9]
	v_mov_b32_e32 v6, 0
	ds_read_b128 v[174:177], v6 offset:656
	s_waitcnt lgkmcnt(0)
	v_mul_f64 v[6:7], v[4:5], v[176:177]
	v_mul_f64 v[178:179], v[2:3], v[176:177]
	v_fma_f64 v[176:177], v[2:3], v[174:175], -v[6:7]
	v_fmac_f64_e32 v[178:179], v[4:5], v[174:175]
	scratch_store_dwordx4 off, v[176:179], off offset:656
.LBB118_107:
	s_or_b64 exec, exec, s[4:5]
	scratch_load_dwordx4 v[2:5], v134, off
	v_cmp_lt_u32_e64 s[2:3], 40, v0
	s_waitcnt vmcnt(0)
	ds_write_b128 v9, v[2:5]
	s_waitcnt lgkmcnt(0)
	; wave barrier
	s_waitcnt lgkmcnt(0)
	s_and_saveexec_b64 s[4:5], s[2:3]
	s_cbranch_execz .LBB118_115
; %bb.108:
	ds_read_b128 v[2:5], v9
	s_andn2_b64 vcc, exec, s[6:7]
	s_cbranch_vccnz .LBB118_110
; %bb.109:
	scratch_load_dwordx4 v[174:177], v8, off
	s_waitcnt vmcnt(0) lgkmcnt(0)
	v_mul_f64 v[38:39], v[2:3], v[176:177]
	v_mul_f64 v[6:7], v[4:5], v[176:177]
	v_fmac_f64_e32 v[38:39], v[4:5], v[174:175]
	v_fma_f64 v[2:3], v[2:3], v[174:175], -v[6:7]
	v_mov_b64_e32 v[4:5], v[38:39]
.LBB118_110:
	s_and_saveexec_b64 s[8:9], s[0:1]
	s_cbranch_execz .LBB118_114
; %bb.111:
	v_mov_b32_e32 v7, 0
	v_subrev_u32_e32 v6, 41, v0
	v_add_u32_e32 v7, 0x298, v7
	s_movk_i32 s10, 0x600
	s_mov_b64 s[0:1], 0
.LBB118_112:                            ; =>This Inner Loop Header: Depth=1
	v_add_u32_e32 v38, -8, v7
	scratch_load_dwordx4 v[174:177], v38, off
	v_mov_b32_e32 v38, s10
	ds_read_b128 v[178:181], v38
	v_add_u32_e32 v6, -1, v6
	s_add_i32 s10, s10, 16
	v_cmp_eq_u32_e32 vcc, 0, v6
	v_add_u32_e32 v7, 16, v7
	s_or_b64 s[0:1], vcc, s[0:1]
	s_waitcnt vmcnt(0) lgkmcnt(0)
	v_mul_f64 v[38:39], v[180:181], v[176:177]
	v_mul_f64 v[176:177], v[178:179], v[176:177]
	v_fma_f64 v[38:39], v[178:179], v[174:175], -v[38:39]
	v_fmac_f64_e32 v[176:177], v[180:181], v[174:175]
	v_add_f64 v[2:3], v[2:3], v[38:39]
	v_add_f64 v[4:5], v[4:5], v[176:177]
	s_andn2_b64 exec, exec, s[0:1]
	s_cbranch_execnz .LBB118_112
; %bb.113:
	s_or_b64 exec, exec, s[0:1]
.LBB118_114:
	s_or_b64 exec, exec, s[8:9]
	v_mov_b32_e32 v6, 0
	ds_read_b128 v[174:177], v6 offset:640
	s_waitcnt lgkmcnt(0)
	v_mul_f64 v[6:7], v[4:5], v[176:177]
	v_mul_f64 v[178:179], v[2:3], v[176:177]
	v_fma_f64 v[176:177], v[2:3], v[174:175], -v[6:7]
	v_fmac_f64_e32 v[178:179], v[4:5], v[174:175]
	scratch_store_dwordx4 off, v[176:179], off offset:640
.LBB118_115:
	;; [unrolled: 63-line block ×26, first 2 shown]
	s_or_b64 exec, exec, s[4:5]
	scratch_load_dwordx4 v[2:5], v159, off
	v_cmp_lt_u32_e64 s[0:1], 15, v0
	s_waitcnt vmcnt(0)
	ds_write_b128 v9, v[2:5]
	s_waitcnt lgkmcnt(0)
	; wave barrier
	s_waitcnt lgkmcnt(0)
	s_and_saveexec_b64 s[4:5], s[0:1]
	s_cbranch_execz .LBB118_315
; %bb.308:
	ds_read_b128 v[2:5], v9
	s_andn2_b64 vcc, exec, s[6:7]
	s_cbranch_vccnz .LBB118_310
; %bb.309:
	scratch_load_dwordx4 v[174:177], v8, off
	s_waitcnt vmcnt(0) lgkmcnt(0)
	v_mul_f64 v[38:39], v[2:3], v[176:177]
	v_mul_f64 v[6:7], v[4:5], v[176:177]
	v_fmac_f64_e32 v[38:39], v[4:5], v[174:175]
	v_fma_f64 v[2:3], v[2:3], v[174:175], -v[6:7]
	v_mov_b64_e32 v[4:5], v[38:39]
.LBB118_310:
	s_and_saveexec_b64 s[8:9], s[2:3]
	s_cbranch_execz .LBB118_314
; %bb.311:
	v_mov_b32_e32 v7, 0
	v_add_u32_e32 v6, -16, v0
	v_add_u32_e32 v7, 0x108, v7
	s_movk_i32 s10, 0x470
	s_mov_b64 s[2:3], 0
.LBB118_312:                            ; =>This Inner Loop Header: Depth=1
	v_add_u32_e32 v38, -8, v7
	scratch_load_dwordx4 v[174:177], v38, off
	v_mov_b32_e32 v38, s10
	ds_read_b128 v[178:181], v38
	v_add_u32_e32 v6, -1, v6
	s_add_i32 s10, s10, 16
	v_cmp_eq_u32_e32 vcc, 0, v6
	v_add_u32_e32 v7, 16, v7
	s_or_b64 s[2:3], vcc, s[2:3]
	s_waitcnt vmcnt(0) lgkmcnt(0)
	v_mul_f64 v[38:39], v[180:181], v[176:177]
	v_mul_f64 v[176:177], v[178:179], v[176:177]
	v_fma_f64 v[38:39], v[178:179], v[174:175], -v[38:39]
	v_fmac_f64_e32 v[176:177], v[180:181], v[174:175]
	v_add_f64 v[2:3], v[2:3], v[38:39]
	v_add_f64 v[4:5], v[4:5], v[176:177]
	s_andn2_b64 exec, exec, s[2:3]
	s_cbranch_execnz .LBB118_312
; %bb.313:
	s_or_b64 exec, exec, s[2:3]
.LBB118_314:
	s_or_b64 exec, exec, s[8:9]
	v_mov_b32_e32 v6, 0
	ds_read_b128 v[174:177], v6 offset:240
	s_waitcnt lgkmcnt(0)
	v_mul_f64 v[6:7], v[4:5], v[176:177]
	v_mul_f64 v[178:179], v[2:3], v[176:177]
	v_fma_f64 v[176:177], v[2:3], v[174:175], -v[6:7]
	v_fmac_f64_e32 v[178:179], v[4:5], v[174:175]
	scratch_store_dwordx4 off, v[176:179], off offset:240
.LBB118_315:
	s_or_b64 exec, exec, s[4:5]
	scratch_load_dwordx4 v[2:5], v160, off
	v_cmp_lt_u32_e64 s[2:3], 14, v0
	s_waitcnt vmcnt(0)
	ds_write_b128 v9, v[2:5]
	s_waitcnt lgkmcnt(0)
	; wave barrier
	s_waitcnt lgkmcnt(0)
	s_and_saveexec_b64 s[4:5], s[2:3]
	s_cbranch_execz .LBB118_323
; %bb.316:
	ds_read_b128 v[2:5], v9
	s_andn2_b64 vcc, exec, s[6:7]
	s_cbranch_vccnz .LBB118_318
; %bb.317:
	scratch_load_dwordx4 v[174:177], v8, off
	s_waitcnt vmcnt(0) lgkmcnt(0)
	v_mul_f64 v[38:39], v[2:3], v[176:177]
	v_mul_f64 v[6:7], v[4:5], v[176:177]
	v_fmac_f64_e32 v[38:39], v[4:5], v[174:175]
	v_fma_f64 v[2:3], v[2:3], v[174:175], -v[6:7]
	v_mov_b64_e32 v[4:5], v[38:39]
.LBB118_318:
	s_and_saveexec_b64 s[8:9], s[0:1]
	s_cbranch_execz .LBB118_322
; %bb.319:
	v_mov_b32_e32 v7, 0
	v_add_u32_e32 v6, -15, v0
	v_add_u32_e32 v7, 0xf8, v7
	s_movk_i32 s10, 0x460
	s_mov_b64 s[0:1], 0
.LBB118_320:                            ; =>This Inner Loop Header: Depth=1
	v_add_u32_e32 v38, -8, v7
	scratch_load_dwordx4 v[174:177], v38, off
	v_mov_b32_e32 v38, s10
	ds_read_b128 v[178:181], v38
	v_add_u32_e32 v6, -1, v6
	s_add_i32 s10, s10, 16
	v_cmp_eq_u32_e32 vcc, 0, v6
	v_add_u32_e32 v7, 16, v7
	s_or_b64 s[0:1], vcc, s[0:1]
	s_waitcnt vmcnt(0) lgkmcnt(0)
	v_mul_f64 v[38:39], v[180:181], v[176:177]
	v_mul_f64 v[176:177], v[178:179], v[176:177]
	v_fma_f64 v[38:39], v[178:179], v[174:175], -v[38:39]
	v_fmac_f64_e32 v[176:177], v[180:181], v[174:175]
	v_add_f64 v[2:3], v[2:3], v[38:39]
	v_add_f64 v[4:5], v[4:5], v[176:177]
	s_andn2_b64 exec, exec, s[0:1]
	s_cbranch_execnz .LBB118_320
; %bb.321:
	s_or_b64 exec, exec, s[0:1]
.LBB118_322:
	s_or_b64 exec, exec, s[8:9]
	v_mov_b32_e32 v6, 0
	ds_read_b128 v[174:177], v6 offset:224
	s_waitcnt lgkmcnt(0)
	v_mul_f64 v[6:7], v[4:5], v[176:177]
	v_mul_f64 v[178:179], v[2:3], v[176:177]
	v_fma_f64 v[176:177], v[2:3], v[174:175], -v[6:7]
	v_fmac_f64_e32 v[178:179], v[4:5], v[174:175]
	scratch_store_dwordx4 off, v[176:179], off offset:224
.LBB118_323:
	;; [unrolled: 63-line block ×15, first 2 shown]
	s_or_b64 exec, exec, s[4:5]
	scratch_load_dwordx4 v[2:5], off, off
	v_cmp_ne_u32_e32 vcc, 0, v0
	s_mov_b64 s[2:3], 0
	s_mov_b64 s[4:5], 0
                                        ; implicit-def: $vgpr6_vgpr7
                                        ; implicit-def: $vgpr174
	s_waitcnt vmcnt(0)
	ds_write_b128 v9, v[2:5]
	s_waitcnt lgkmcnt(0)
	; wave barrier
	s_waitcnt lgkmcnt(0)
	s_and_saveexec_b64 s[8:9], vcc
	s_cbranch_execz .LBB118_435
; %bb.428:
	ds_read_b128 v[2:5], v9
	s_andn2_b64 vcc, exec, s[6:7]
	s_cbranch_vccnz .LBB118_430
; %bb.429:
	scratch_load_dwordx4 v[174:177], v8, off
	s_waitcnt vmcnt(0) lgkmcnt(0)
	v_mul_f64 v[38:39], v[2:3], v[176:177]
	v_mul_f64 v[6:7], v[4:5], v[176:177]
	v_fmac_f64_e32 v[38:39], v[4:5], v[174:175]
	v_fma_f64 v[2:3], v[2:3], v[174:175], -v[6:7]
	v_mov_b64_e32 v[4:5], v[38:39]
.LBB118_430:
	s_and_saveexec_b64 s[4:5], s[0:1]
	s_cbranch_execz .LBB118_434
; %bb.431:
	v_mov_b32_e32 v7, 0
	v_add_u32_e32 v6, -1, v0
	v_add_u32_e32 v7, 24, v7
	s_movk_i32 s10, 0x380
	s_mov_b64 s[0:1], 0
.LBB118_432:                            ; =>This Inner Loop Header: Depth=1
	v_add_u32_e32 v38, -8, v7
	scratch_load_dwordx4 v[174:177], v38, off
	v_mov_b32_e32 v38, s10
	ds_read_b128 v[178:181], v38
	v_add_u32_e32 v6, -1, v6
	s_add_i32 s10, s10, 16
	v_cmp_eq_u32_e32 vcc, 0, v6
	v_add_u32_e32 v7, 16, v7
	s_or_b64 s[0:1], vcc, s[0:1]
	s_waitcnt vmcnt(0) lgkmcnt(0)
	v_mul_f64 v[38:39], v[180:181], v[176:177]
	v_mul_f64 v[176:177], v[178:179], v[176:177]
	v_fma_f64 v[38:39], v[178:179], v[174:175], -v[38:39]
	v_fmac_f64_e32 v[176:177], v[180:181], v[174:175]
	v_add_f64 v[2:3], v[2:3], v[38:39]
	v_add_f64 v[4:5], v[4:5], v[176:177]
	s_andn2_b64 exec, exec, s[0:1]
	s_cbranch_execnz .LBB118_432
; %bb.433:
	s_or_b64 exec, exec, s[0:1]
.LBB118_434:
	s_or_b64 exec, exec, s[4:5]
	v_mov_b32_e32 v6, 0
	ds_read_b128 v[176:179], v6
	v_mov_b32_e32 v6, 0
	v_or_b32_e32 v174, 8, v6
	s_mov_b64 s[4:5], exec
	s_waitcnt lgkmcnt(0)
	v_mul_f64 v[38:39], v[4:5], v[178:179]
	v_mul_f64 v[6:7], v[2:3], v[178:179]
	v_fma_f64 v[2:3], v[2:3], v[176:177], -v[38:39]
	v_fmac_f64_e32 v[6:7], v[4:5], v[176:177]
	scratch_store_dwordx2 off, v[2:3], off
.LBB118_435:
	s_or_b64 exec, exec, s[8:9]
	s_and_b64 vcc, exec, s[2:3]
	s_cbranch_vccnz .LBB118_437
	s_branch .LBB118_864
.LBB118_436:
	s_mov_b64 s[4:5], 0
                                        ; implicit-def: $vgpr6_vgpr7
                                        ; implicit-def: $vgpr174
	s_cbranch_execz .LBB118_864
.LBB118_437:
	scratch_load_dwordx4 v[2:5], v173, off
	v_cndmask_b32_e64 v6, 0, 1, s[6:7]
	v_cmp_eq_u32_e64 s[2:3], 0, v0
	v_cmp_ne_u32_e64 s[0:1], 1, v6
	s_waitcnt vmcnt(0)
	ds_write_b128 v9, v[2:5]
	s_waitcnt lgkmcnt(0)
	; wave barrier
	s_waitcnt lgkmcnt(0)
	s_and_saveexec_b64 s[6:7], s[2:3]
	s_cbranch_execz .LBB118_441
; %bb.438:
	ds_read_b128 v[2:5], v9
	s_and_b64 vcc, exec, s[0:1]
	s_cbranch_vccnz .LBB118_440
; %bb.439:
	scratch_load_dwordx4 v[174:177], v8, off
	s_waitcnt vmcnt(0) lgkmcnt(0)
	v_mul_f64 v[38:39], v[2:3], v[176:177]
	v_mul_f64 v[6:7], v[4:5], v[176:177]
	v_fmac_f64_e32 v[38:39], v[4:5], v[174:175]
	v_fma_f64 v[2:3], v[2:3], v[174:175], -v[6:7]
	v_mov_b64_e32 v[4:5], v[38:39]
.LBB118_440:
	v_mov_b32_e32 v6, 0
	ds_read_b128 v[174:177], v6 offset:16
	s_waitcnt lgkmcnt(0)
	v_mul_f64 v[6:7], v[4:5], v[176:177]
	v_mul_f64 v[178:179], v[2:3], v[176:177]
	v_fma_f64 v[176:177], v[2:3], v[174:175], -v[6:7]
	v_fmac_f64_e32 v[178:179], v[4:5], v[174:175]
	scratch_store_dwordx4 off, v[176:179], off offset:16
.LBB118_441:
	s_or_b64 exec, exec, s[6:7]
	scratch_load_dwordx4 v[2:5], v172, off
	v_cmp_gt_u32_e32 vcc, 2, v0
	s_waitcnt vmcnt(0)
	ds_write_b128 v9, v[2:5]
	s_waitcnt lgkmcnt(0)
	; wave barrier
	s_waitcnt lgkmcnt(0)
	s_and_saveexec_b64 s[6:7], vcc
	s_cbranch_execz .LBB118_447
; %bb.442:
	ds_read_b128 v[2:5], v9
	s_and_b64 vcc, exec, s[0:1]
	s_cbranch_vccnz .LBB118_444
; %bb.443:
	scratch_load_dwordx4 v[174:177], v8, off
	s_waitcnt vmcnt(0) lgkmcnt(0)
	v_mul_f64 v[38:39], v[2:3], v[176:177]
	v_mul_f64 v[6:7], v[4:5], v[176:177]
	v_fmac_f64_e32 v[38:39], v[4:5], v[174:175]
	v_fma_f64 v[2:3], v[2:3], v[174:175], -v[6:7]
	v_mov_b64_e32 v[4:5], v[38:39]
.LBB118_444:
	s_and_saveexec_b64 s[8:9], s[2:3]
	s_cbranch_execz .LBB118_446
; %bb.445:
	scratch_load_dwordx4 v[174:177], v8, off offset:16
	ds_read_b128 v[178:181], v9 offset:16
	s_waitcnt vmcnt(0) lgkmcnt(0)
	v_mul_f64 v[6:7], v[180:181], v[176:177]
	v_mul_f64 v[38:39], v[178:179], v[176:177]
	v_fma_f64 v[6:7], v[178:179], v[174:175], -v[6:7]
	v_fmac_f64_e32 v[38:39], v[180:181], v[174:175]
	v_add_f64 v[2:3], v[2:3], v[6:7]
	v_add_f64 v[4:5], v[4:5], v[38:39]
.LBB118_446:
	s_or_b64 exec, exec, s[8:9]
	v_mov_b32_e32 v6, 0
	ds_read_b128 v[174:177], v6 offset:32
	s_waitcnt lgkmcnt(0)
	v_mul_f64 v[6:7], v[4:5], v[176:177]
	v_mul_f64 v[178:179], v[2:3], v[176:177]
	v_fma_f64 v[176:177], v[2:3], v[174:175], -v[6:7]
	v_fmac_f64_e32 v[178:179], v[4:5], v[174:175]
	scratch_store_dwordx4 off, v[176:179], off offset:32
.LBB118_447:
	s_or_b64 exec, exec, s[6:7]
	scratch_load_dwordx4 v[2:5], v171, off
	v_cmp_gt_u32_e32 vcc, 3, v0
	s_waitcnt vmcnt(0)
	ds_write_b128 v9, v[2:5]
	s_waitcnt lgkmcnt(0)
	; wave barrier
	s_waitcnt lgkmcnt(0)
	s_and_saveexec_b64 s[6:7], vcc
	s_cbranch_execz .LBB118_455
; %bb.448:
	ds_read_b128 v[2:5], v9
	s_and_b64 vcc, exec, s[0:1]
	s_cbranch_vccnz .LBB118_450
; %bb.449:
	scratch_load_dwordx4 v[174:177], v8, off
	s_waitcnt vmcnt(0) lgkmcnt(0)
	v_mul_f64 v[38:39], v[2:3], v[176:177]
	v_mul_f64 v[6:7], v[4:5], v[176:177]
	v_fmac_f64_e32 v[38:39], v[4:5], v[174:175]
	v_fma_f64 v[2:3], v[2:3], v[174:175], -v[6:7]
	v_mov_b64_e32 v[4:5], v[38:39]
.LBB118_450:
	v_cmp_ne_u32_e32 vcc, 2, v0
	s_and_saveexec_b64 s[8:9], vcc
	s_cbranch_execz .LBB118_454
; %bb.451:
	scratch_load_dwordx4 v[174:177], v8, off offset:16
	ds_read_b128 v[178:181], v9 offset:16
	s_waitcnt vmcnt(0) lgkmcnt(0)
	v_mul_f64 v[6:7], v[180:181], v[176:177]
	v_mul_f64 v[38:39], v[178:179], v[176:177]
	v_fma_f64 v[6:7], v[178:179], v[174:175], -v[6:7]
	v_fmac_f64_e32 v[38:39], v[180:181], v[174:175]
	v_add_f64 v[2:3], v[2:3], v[6:7]
	v_add_f64 v[4:5], v[4:5], v[38:39]
	s_and_saveexec_b64 s[10:11], s[2:3]
	s_cbranch_execz .LBB118_453
; %bb.452:
	scratch_load_dwordx4 v[174:177], off, off offset:32
	v_mov_b32_e32 v6, 0
	ds_read_b128 v[178:181], v6 offset:912
	s_waitcnt vmcnt(0) lgkmcnt(0)
	v_mul_f64 v[6:7], v[178:179], v[176:177]
	v_mul_f64 v[38:39], v[180:181], v[176:177]
	v_fmac_f64_e32 v[6:7], v[180:181], v[174:175]
	v_fma_f64 v[38:39], v[178:179], v[174:175], -v[38:39]
	v_add_f64 v[4:5], v[4:5], v[6:7]
	v_add_f64 v[2:3], v[2:3], v[38:39]
.LBB118_453:
	s_or_b64 exec, exec, s[10:11]
.LBB118_454:
	s_or_b64 exec, exec, s[8:9]
	v_mov_b32_e32 v6, 0
	ds_read_b128 v[174:177], v6 offset:48
	s_waitcnt lgkmcnt(0)
	v_mul_f64 v[6:7], v[4:5], v[176:177]
	v_mul_f64 v[178:179], v[2:3], v[176:177]
	v_fma_f64 v[176:177], v[2:3], v[174:175], -v[6:7]
	v_fmac_f64_e32 v[178:179], v[4:5], v[174:175]
	scratch_store_dwordx4 off, v[176:179], off offset:48
.LBB118_455:
	s_or_b64 exec, exec, s[6:7]
	scratch_load_dwordx4 v[2:5], v170, off
	v_cmp_gt_u32_e32 vcc, 4, v0
	s_waitcnt vmcnt(0)
	ds_write_b128 v9, v[2:5]
	s_waitcnt lgkmcnt(0)
	; wave barrier
	s_waitcnt lgkmcnt(0)
	s_and_saveexec_b64 s[2:3], vcc
	s_cbranch_execz .LBB118_463
; %bb.456:
	ds_read_b128 v[2:5], v9
	s_and_b64 vcc, exec, s[0:1]
	s_cbranch_vccnz .LBB118_458
; %bb.457:
	scratch_load_dwordx4 v[174:177], v8, off
	s_waitcnt vmcnt(0) lgkmcnt(0)
	v_mul_f64 v[38:39], v[2:3], v[176:177]
	v_mul_f64 v[6:7], v[4:5], v[176:177]
	v_fmac_f64_e32 v[38:39], v[4:5], v[174:175]
	v_fma_f64 v[2:3], v[2:3], v[174:175], -v[6:7]
	v_mov_b64_e32 v[4:5], v[38:39]
.LBB118_458:
	v_cmp_ne_u32_e32 vcc, 3, v0
	s_and_saveexec_b64 s[6:7], vcc
	s_cbranch_execz .LBB118_462
; %bb.459:
	v_mov_b32_e32 v7, 0
	v_add_u32_e32 v6, 0x380, v66
	v_add3_u32 v7, v66, v7, 24
	s_mov_b64 s[8:9], 0
	v_mov_b32_e32 v174, v0
.LBB118_460:                            ; =>This Inner Loop Header: Depth=1
	v_add_u32_e32 v38, -8, v7
	scratch_load_dwordx4 v[176:179], v38, off
	ds_read_b128 v[180:183], v6
	v_add_u32_e32 v174, 1, v174
	v_cmp_lt_u32_e32 vcc, 2, v174
	v_add_u32_e32 v6, 16, v6
	v_add_u32_e32 v7, 16, v7
	s_or_b64 s[8:9], vcc, s[8:9]
	s_waitcnt vmcnt(0) lgkmcnt(0)
	v_mul_f64 v[38:39], v[182:183], v[178:179]
	v_mul_f64 v[178:179], v[180:181], v[178:179]
	v_fma_f64 v[38:39], v[180:181], v[176:177], -v[38:39]
	v_fmac_f64_e32 v[178:179], v[182:183], v[176:177]
	v_add_f64 v[2:3], v[2:3], v[38:39]
	v_add_f64 v[4:5], v[4:5], v[178:179]
	s_andn2_b64 exec, exec, s[8:9]
	s_cbranch_execnz .LBB118_460
; %bb.461:
	s_or_b64 exec, exec, s[8:9]
.LBB118_462:
	s_or_b64 exec, exec, s[6:7]
	v_mov_b32_e32 v6, 0
	ds_read_b128 v[174:177], v6 offset:64
	s_waitcnt lgkmcnt(0)
	v_mul_f64 v[6:7], v[4:5], v[176:177]
	v_mul_f64 v[178:179], v[2:3], v[176:177]
	v_fma_f64 v[176:177], v[2:3], v[174:175], -v[6:7]
	v_fmac_f64_e32 v[178:179], v[4:5], v[174:175]
	scratch_store_dwordx4 off, v[176:179], off offset:64
.LBB118_463:
	s_or_b64 exec, exec, s[2:3]
	scratch_load_dwordx4 v[2:5], v169, off
	v_cmp_gt_u32_e32 vcc, 5, v0
	s_waitcnt vmcnt(0)
	ds_write_b128 v9, v[2:5]
	s_waitcnt lgkmcnt(0)
	; wave barrier
	s_waitcnt lgkmcnt(0)
	s_and_saveexec_b64 s[2:3], vcc
	s_cbranch_execz .LBB118_471
; %bb.464:
	ds_read_b128 v[2:5], v9
	s_and_b64 vcc, exec, s[0:1]
	s_cbranch_vccnz .LBB118_466
; %bb.465:
	scratch_load_dwordx4 v[174:177], v8, off
	s_waitcnt vmcnt(0) lgkmcnt(0)
	v_mul_f64 v[38:39], v[2:3], v[176:177]
	v_mul_f64 v[6:7], v[4:5], v[176:177]
	v_fmac_f64_e32 v[38:39], v[4:5], v[174:175]
	v_fma_f64 v[2:3], v[2:3], v[174:175], -v[6:7]
	v_mov_b64_e32 v[4:5], v[38:39]
.LBB118_466:
	v_cmp_ne_u32_e32 vcc, 4, v0
	s_and_saveexec_b64 s[6:7], vcc
	s_cbranch_execz .LBB118_470
; %bb.467:
	v_mov_b32_e32 v7, 0
	v_add_u32_e32 v6, 0x380, v66
	v_add3_u32 v7, v66, v7, 24
	s_mov_b64 s[8:9], 0
	v_mov_b32_e32 v174, v0
.LBB118_468:                            ; =>This Inner Loop Header: Depth=1
	v_add_u32_e32 v38, -8, v7
	scratch_load_dwordx4 v[176:179], v38, off
	ds_read_b128 v[180:183], v6
	v_add_u32_e32 v174, 1, v174
	v_cmp_lt_u32_e32 vcc, 3, v174
	v_add_u32_e32 v6, 16, v6
	v_add_u32_e32 v7, 16, v7
	s_or_b64 s[8:9], vcc, s[8:9]
	s_waitcnt vmcnt(0) lgkmcnt(0)
	v_mul_f64 v[38:39], v[182:183], v[178:179]
	v_mul_f64 v[178:179], v[180:181], v[178:179]
	v_fma_f64 v[38:39], v[180:181], v[176:177], -v[38:39]
	v_fmac_f64_e32 v[178:179], v[182:183], v[176:177]
	v_add_f64 v[2:3], v[2:3], v[38:39]
	v_add_f64 v[4:5], v[4:5], v[178:179]
	s_andn2_b64 exec, exec, s[8:9]
	s_cbranch_execnz .LBB118_468
; %bb.469:
	s_or_b64 exec, exec, s[8:9]
.LBB118_470:
	s_or_b64 exec, exec, s[6:7]
	v_mov_b32_e32 v6, 0
	ds_read_b128 v[174:177], v6 offset:80
	s_waitcnt lgkmcnt(0)
	v_mul_f64 v[6:7], v[4:5], v[176:177]
	v_mul_f64 v[178:179], v[2:3], v[176:177]
	v_fma_f64 v[176:177], v[2:3], v[174:175], -v[6:7]
	v_fmac_f64_e32 v[178:179], v[4:5], v[174:175]
	scratch_store_dwordx4 off, v[176:179], off offset:80
.LBB118_471:
	;; [unrolled: 63-line block ×49, first 2 shown]
	s_or_b64 exec, exec, s[2:3]
	scratch_load_dwordx4 v[2:5], v10, off
	v_cmp_gt_u32_e64 s[2:3], 53, v0
	s_waitcnt vmcnt(0)
	ds_write_b128 v9, v[2:5]
	s_waitcnt lgkmcnt(0)
	; wave barrier
	s_waitcnt lgkmcnt(0)
	s_and_saveexec_b64 s[6:7], s[2:3]
	s_cbranch_execz .LBB118_855
; %bb.848:
	ds_read_b128 v[2:5], v9
	s_and_b64 vcc, exec, s[0:1]
	s_cbranch_vccnz .LBB118_850
; %bb.849:
	scratch_load_dwordx4 v[174:177], v8, off
	s_waitcnt vmcnt(0) lgkmcnt(0)
	v_mul_f64 v[38:39], v[2:3], v[176:177]
	v_mul_f64 v[6:7], v[4:5], v[176:177]
	v_fmac_f64_e32 v[38:39], v[4:5], v[174:175]
	v_fma_f64 v[2:3], v[2:3], v[174:175], -v[6:7]
	v_mov_b64_e32 v[4:5], v[38:39]
.LBB118_850:
	v_cmp_ne_u32_e32 vcc, 52, v0
	s_and_saveexec_b64 s[8:9], vcc
	s_cbranch_execz .LBB118_854
; %bb.851:
	v_mov_b32_e32 v7, 0
	v_add_u32_e32 v6, 0x380, v66
	v_add3_u32 v7, v66, v7, 24
	s_mov_b64 s[10:11], 0
	v_mov_b32_e32 v174, v0
.LBB118_852:                            ; =>This Inner Loop Header: Depth=1
	v_add_u32_e32 v38, -8, v7
	scratch_load_dwordx4 v[176:179], v38, off
	ds_read_b128 v[180:183], v6
	v_add_u32_e32 v174, 1, v174
	v_cmp_lt_u32_e32 vcc, 51, v174
	v_add_u32_e32 v6, 16, v6
	v_add_u32_e32 v7, 16, v7
	s_or_b64 s[10:11], vcc, s[10:11]
	s_waitcnt vmcnt(0) lgkmcnt(0)
	v_mul_f64 v[38:39], v[182:183], v[178:179]
	v_mul_f64 v[178:179], v[180:181], v[178:179]
	v_fma_f64 v[38:39], v[180:181], v[176:177], -v[38:39]
	v_fmac_f64_e32 v[178:179], v[182:183], v[176:177]
	v_add_f64 v[2:3], v[2:3], v[38:39]
	v_add_f64 v[4:5], v[4:5], v[178:179]
	s_andn2_b64 exec, exec, s[10:11]
	s_cbranch_execnz .LBB118_852
; %bb.853:
	s_or_b64 exec, exec, s[10:11]
.LBB118_854:
	s_or_b64 exec, exec, s[8:9]
	v_mov_b32_e32 v6, 0
	ds_read_b128 v[174:177], v6 offset:848
	s_waitcnt lgkmcnt(0)
	v_mul_f64 v[6:7], v[4:5], v[176:177]
	v_mul_f64 v[178:179], v[2:3], v[176:177]
	v_fma_f64 v[176:177], v[2:3], v[174:175], -v[6:7]
	v_fmac_f64_e32 v[178:179], v[4:5], v[174:175]
	scratch_store_dwordx4 off, v[176:179], off offset:848
.LBB118_855:
	s_or_b64 exec, exec, s[6:7]
	scratch_load_dwordx4 v[2:5], v1, off
	v_cmp_ne_u32_e32 vcc, 54, v0
                                        ; implicit-def: $vgpr6_vgpr7
                                        ; implicit-def: $vgpr174
	s_waitcnt vmcnt(0)
	ds_write_b128 v9, v[2:5]
	s_waitcnt lgkmcnt(0)
	; wave barrier
	s_waitcnt lgkmcnt(0)
	s_and_saveexec_b64 s[6:7], vcc
	s_cbranch_execz .LBB118_863
; %bb.856:
	ds_read_b128 v[2:5], v9
	s_and_b64 vcc, exec, s[0:1]
	s_cbranch_vccnz .LBB118_858
; %bb.857:
	scratch_load_dwordx4 v[6:9], v8, off
	s_waitcnt vmcnt(0) lgkmcnt(0)
	v_mul_f64 v[38:39], v[4:5], v[8:9]
	v_mul_f64 v[8:9], v[2:3], v[8:9]
	v_fmac_f64_e32 v[8:9], v[4:5], v[6:7]
	v_fma_f64 v[2:3], v[2:3], v[6:7], -v[38:39]
	v_mov_b64_e32 v[4:5], v[8:9]
.LBB118_858:
	s_and_saveexec_b64 s[0:1], s[2:3]
	s_cbranch_execz .LBB118_862
; %bb.859:
	v_mov_b32_e32 v7, 0
	v_add_u32_e32 v6, 0x380, v66
	v_add3_u32 v7, v66, v7, 24
	s_mov_b64 s[2:3], 0
.LBB118_860:                            ; =>This Inner Loop Header: Depth=1
	v_add_u32_e32 v8, -8, v7
	scratch_load_dwordx4 v[174:177], v8, off
	ds_read_b128 v[178:181], v6
	v_add_u32_e32 v0, 1, v0
	v_cmp_lt_u32_e32 vcc, 52, v0
	v_add_u32_e32 v6, 16, v6
	v_add_u32_e32 v7, 16, v7
	s_or_b64 s[2:3], vcc, s[2:3]
	s_waitcnt vmcnt(0) lgkmcnt(0)
	v_mul_f64 v[8:9], v[180:181], v[176:177]
	v_mul_f64 v[38:39], v[178:179], v[176:177]
	v_fma_f64 v[8:9], v[178:179], v[174:175], -v[8:9]
	v_fmac_f64_e32 v[38:39], v[180:181], v[174:175]
	v_add_f64 v[2:3], v[2:3], v[8:9]
	v_add_f64 v[4:5], v[4:5], v[38:39]
	s_andn2_b64 exec, exec, s[2:3]
	s_cbranch_execnz .LBB118_860
; %bb.861:
	s_or_b64 exec, exec, s[2:3]
.LBB118_862:
	s_or_b64 exec, exec, s[0:1]
	v_mov_b32_e32 v0, 0
	ds_read_b128 v[176:179], v0 offset:864
	v_mov_b32_e32 v0, 0
	v_add_u32_e32 v174, 0x368, v0
	s_or_b64 s[4:5], s[4:5], exec
	s_waitcnt lgkmcnt(0)
	v_mul_f64 v[8:9], v[4:5], v[178:179]
	v_mul_f64 v[6:7], v[2:3], v[178:179]
	v_fma_f64 v[2:3], v[2:3], v[176:177], -v[8:9]
	v_fmac_f64_e32 v[6:7], v[4:5], v[176:177]
	scratch_store_dwordx2 off, v[2:3], off offset:864
.LBB118_863:
	s_or_b64 exec, exec, s[6:7]
.LBB118_864:
	s_and_saveexec_b64 s[0:1], s[4:5]
	s_cbranch_execz .LBB118_866
; %bb.865:
	scratch_store_dwordx2 v174, v[6:7], off
.LBB118_866:
	s_or_b64 exec, exec, s[0:1]
	scratch_load_dwordx4 v[2:5], off, off
	scratch_load_dwordx4 v[6:9], v173, off
	s_nop 0
	scratch_load_dwordx4 v[172:175], v172, off
	s_nop 0
	scratch_load_dwordx4 v[176:179], v171, off
	scratch_load_dwordx4 v[180:183], v170, off
	scratch_load_dwordx4 v[184:187], v169, off
	s_nop 0
	scratch_load_dwordx4 v[168:171], v168, off
	s_nop 0
	scratch_load_dwordx4 v[188:191], v167, off
	scratch_load_dwordx4 v[192:195], v166, off
	;; [unrolled: 6-line block ×7, first 2 shown]
	s_waitcnt vmcnt(28)
	global_store_dwordx4 v[12:13], v[2:5], off
	scratch_load_dwordx4 v[2:5], v145, off
	s_nop 0
	scratch_load_dwordx4 v[144:147], v144, off
	s_waitcnt vmcnt(30)
	global_store_dwordx4 v[14:15], v[6:9], off
	scratch_load_dwordx4 v[6:9], v143, off
	s_nop 0
	scratch_load_dwordx4 v[12:15], v142, off
	;; [unrolled: 5-line block ×13, first 2 shown]
	v_accvgpr_read_b32 v0, a0
	v_accvgpr_read_b32 v1, a1
	s_waitcnt vmcnt(54)
	global_store_dwordx4 v[0:1], v[208:211], off
	s_waitcnt vmcnt(54)
	global_store_dwordx4 v[40:41], v[160:163], off
	;; [unrolled: 2-line block ×42, first 2 shown]
.LBB118_867:
	s_endpgm
	.section	.rodata,"a",@progbits
	.p2align	6, 0x0
	.amdhsa_kernel _ZN9rocsolver6v33100L18trti2_kernel_smallILi55E19rocblas_complex_numIdEPKPS3_EEv13rocblas_fill_17rocblas_diagonal_T1_iil
		.amdhsa_group_segment_fixed_size 1760
		.amdhsa_private_segment_fixed_size 896
		.amdhsa_kernarg_size 32
		.amdhsa_user_sgpr_count 2
		.amdhsa_user_sgpr_dispatch_ptr 0
		.amdhsa_user_sgpr_queue_ptr 0
		.amdhsa_user_sgpr_kernarg_segment_ptr 1
		.amdhsa_user_sgpr_dispatch_id 0
		.amdhsa_user_sgpr_kernarg_preload_length 0
		.amdhsa_user_sgpr_kernarg_preload_offset 0
		.amdhsa_user_sgpr_private_segment_size 0
		.amdhsa_uses_dynamic_stack 0
		.amdhsa_enable_private_segment 1
		.amdhsa_system_sgpr_workgroup_id_x 1
		.amdhsa_system_sgpr_workgroup_id_y 0
		.amdhsa_system_sgpr_workgroup_id_z 0
		.amdhsa_system_sgpr_workgroup_info 0
		.amdhsa_system_vgpr_workitem_id 0
		.amdhsa_next_free_vgpr 258
		.amdhsa_next_free_sgpr 12
		.amdhsa_accum_offset 256
		.amdhsa_reserve_vcc 1
		.amdhsa_float_round_mode_32 0
		.amdhsa_float_round_mode_16_64 0
		.amdhsa_float_denorm_mode_32 3
		.amdhsa_float_denorm_mode_16_64 3
		.amdhsa_dx10_clamp 1
		.amdhsa_ieee_mode 1
		.amdhsa_fp16_overflow 0
		.amdhsa_tg_split 0
		.amdhsa_exception_fp_ieee_invalid_op 0
		.amdhsa_exception_fp_denorm_src 0
		.amdhsa_exception_fp_ieee_div_zero 0
		.amdhsa_exception_fp_ieee_overflow 0
		.amdhsa_exception_fp_ieee_underflow 0
		.amdhsa_exception_fp_ieee_inexact 0
		.amdhsa_exception_int_div_zero 0
	.end_amdhsa_kernel
	.section	.text._ZN9rocsolver6v33100L18trti2_kernel_smallILi55E19rocblas_complex_numIdEPKPS3_EEv13rocblas_fill_17rocblas_diagonal_T1_iil,"axG",@progbits,_ZN9rocsolver6v33100L18trti2_kernel_smallILi55E19rocblas_complex_numIdEPKPS3_EEv13rocblas_fill_17rocblas_diagonal_T1_iil,comdat
.Lfunc_end118:
	.size	_ZN9rocsolver6v33100L18trti2_kernel_smallILi55E19rocblas_complex_numIdEPKPS3_EEv13rocblas_fill_17rocblas_diagonal_T1_iil, .Lfunc_end118-_ZN9rocsolver6v33100L18trti2_kernel_smallILi55E19rocblas_complex_numIdEPKPS3_EEv13rocblas_fill_17rocblas_diagonal_T1_iil
                                        ; -- End function
	.section	.AMDGPU.csdata,"",@progbits
; Kernel info:
; codeLenInByte = 36360
; NumSgprs: 18
; NumVgprs: 256
; NumAgprs: 2
; TotalNumVgprs: 258
; ScratchSize: 896
; MemoryBound: 0
; FloatMode: 240
; IeeeMode: 1
; LDSByteSize: 1760 bytes/workgroup (compile time only)
; SGPRBlocks: 2
; VGPRBlocks: 32
; NumSGPRsForWavesPerEU: 18
; NumVGPRsForWavesPerEU: 258
; AccumOffset: 256
; Occupancy: 1
; WaveLimiterHint : 1
; COMPUTE_PGM_RSRC2:SCRATCH_EN: 1
; COMPUTE_PGM_RSRC2:USER_SGPR: 2
; COMPUTE_PGM_RSRC2:TRAP_HANDLER: 0
; COMPUTE_PGM_RSRC2:TGID_X_EN: 1
; COMPUTE_PGM_RSRC2:TGID_Y_EN: 0
; COMPUTE_PGM_RSRC2:TGID_Z_EN: 0
; COMPUTE_PGM_RSRC2:TIDIG_COMP_CNT: 0
; COMPUTE_PGM_RSRC3_GFX90A:ACCUM_OFFSET: 63
; COMPUTE_PGM_RSRC3_GFX90A:TG_SPLIT: 0
	.section	.text._ZN9rocsolver6v33100L18trti2_kernel_smallILi56E19rocblas_complex_numIdEPKPS3_EEv13rocblas_fill_17rocblas_diagonal_T1_iil,"axG",@progbits,_ZN9rocsolver6v33100L18trti2_kernel_smallILi56E19rocblas_complex_numIdEPKPS3_EEv13rocblas_fill_17rocblas_diagonal_T1_iil,comdat
	.globl	_ZN9rocsolver6v33100L18trti2_kernel_smallILi56E19rocblas_complex_numIdEPKPS3_EEv13rocblas_fill_17rocblas_diagonal_T1_iil ; -- Begin function _ZN9rocsolver6v33100L18trti2_kernel_smallILi56E19rocblas_complex_numIdEPKPS3_EEv13rocblas_fill_17rocblas_diagonal_T1_iil
	.p2align	8
	.type	_ZN9rocsolver6v33100L18trti2_kernel_smallILi56E19rocblas_complex_numIdEPKPS3_EEv13rocblas_fill_17rocblas_diagonal_T1_iil,@function
_ZN9rocsolver6v33100L18trti2_kernel_smallILi56E19rocblas_complex_numIdEPKPS3_EEv13rocblas_fill_17rocblas_diagonal_T1_iil: ; @_ZN9rocsolver6v33100L18trti2_kernel_smallILi56E19rocblas_complex_numIdEPKPS3_EEv13rocblas_fill_17rocblas_diagonal_T1_iil
; %bb.0:
	v_cmp_gt_u32_e32 vcc, 56, v0
	s_and_saveexec_b64 s[4:5], vcc
	s_cbranch_execz .LBB119_883
; %bb.1:
	s_load_dwordx2 s[8:9], s[0:1], 0x10
	s_load_dwordx4 s[4:7], s[0:1], 0x0
	s_ashr_i32 s3, s2, 31
	s_lshl_b64 s[2:3], s[2:3], 3
	v_lshlrev_b32_e32 v116, 4, v0
	s_waitcnt lgkmcnt(0)
	s_ashr_i32 s1, s8, 31
	s_add_u32 s2, s6, s2
	s_addc_u32 s3, s7, s3
	s_load_dwordx2 s[2:3], s[2:3], 0x0
	s_mov_b32 s0, s8
	s_lshl_b64 s[0:1], s[0:1], 4
	v_mov_b32_e32 v117, 0
	v_mov_b32_e32 v1, 0
	s_waitcnt lgkmcnt(0)
	s_add_u32 s0, s2, s0
	s_addc_u32 s1, s3, s1
	s_add_i32 s2, s9, s9
	v_add_u32_e32 v6, s2, v0
	v_add_u32_e32 v10, s9, v6
	;; [unrolled: 1-line block ×13, first 2 shown]
	v_ashrrev_i32_e32 v11, 31, v10
	v_ashrrev_i32_e32 v43, 31, v42
	v_add_u32_e32 v54, s9, v50
	s_mov_b32 s2, s9
	s_ashr_i32 s3, s9, 31
	v_lshl_add_u64 v[52:53], s[0:1], 0, v[116:117]
	v_lshl_add_u64 v[44:45], v[10:11], 4, s[0:1]
	v_ashrrev_i32_e32 v13, 31, v12
	v_ashrrev_i32_e32 v15, 31, v14
	;; [unrolled: 1-line block ×4, first 2 shown]
	v_lshl_add_u64 v[10:11], v[42:43], 4, s[0:1]
	v_ashrrev_i32_e32 v49, 31, v48
	v_add_u32_e32 v56, s9, v54
	v_ashrrev_i32_e32 v7, 31, v6
	v_lshl_add_u64 v[46:47], s[2:3], 4, v[52:53]
	v_lshl_add_u64 v[36:37], v[12:13], 4, s[0:1]
	;; [unrolled: 1-line block ×3, first 2 shown]
	v_ashrrev_i32_e32 v17, 31, v16
	v_lshl_add_u64 v[32:33], v[18:19], 4, s[0:1]
	v_ashrrev_i32_e32 v21, 31, v20
	v_lshl_add_u64 v[28:29], v[22:23], 4, s[0:1]
	v_ashrrev_i32_e32 v27, 31, v26
	v_accvgpr_write_b32 a2, v10
	v_lshl_add_u64 v[12:13], v[48:49], 4, s[0:1]
	v_ashrrev_i32_e32 v51, 31, v50
	global_load_dwordx4 v[2:5], v116, s[0:1]
	v_add_u32_e32 v114, s9, v56
	v_lshl_add_u64 v[34:35], v[6:7], 4, s[0:1]
	global_load_dwordx4 v[6:9], v[46:47], off
	global_load_dwordx4 v[58:61], v[34:35], off
	;; [unrolled: 1-line block ×4, first 2 shown]
	v_lshl_add_u64 v[30:31], v[16:17], 4, s[0:1]
	global_load_dwordx4 v[70:73], v[38:39], off
	global_load_dwordx4 v[74:77], v[30:31], off
	v_lshl_add_u64 v[24:25], v[20:21], 4, s[0:1]
	global_load_dwordx4 v[78:81], v[32:33], off
	global_load_dwordx4 v[82:85], v[24:25], off
	;; [unrolled: 3-line block ×3, first 2 shown]
	v_accvgpr_write_b32 a3, v11
	global_load_dwordx4 v[98:101], v[10:11], off
	global_load_dwordx4 v[102:105], v[12:13], off
	v_lshl_add_u64 v[10:11], v[50:51], 4, s[0:1]
	v_accvgpr_write_b32 a4, v12
	v_ashrrev_i32_e32 v57, 31, v56
	v_add_u32_e32 v122, s9, v114
	v_accvgpr_write_b32 a5, v13
	v_accvgpr_write_b32 a0, v10
	v_ashrrev_i32_e32 v55, 31, v54
	v_lshl_add_u64 v[12:13], v[56:57], 4, s[0:1]
	v_add_u32_e32 v130, s9, v122
	v_ashrrev_i32_e32 v41, 31, v40
	v_accvgpr_write_b32 a1, v11
	global_load_dwordx4 v[106:109], v[10:11], off
	global_load_dwordx4 v[118:121], v[12:13], off
	v_lshl_add_u64 v[10:11], v[54:55], 4, s[0:1]
	v_add_u32_e32 v138, s9, v130
	v_lshl_add_u64 v[20:21], v[40:41], 4, s[0:1]
	v_accvgpr_write_b32 a6, v10
	global_load_dwordx4 v[94:97], v[20:21], off
	global_load_dwordx4 v[110:113], v[10:11], off
	v_accvgpr_write_b32 a7, v11
	v_add_u32_e32 v10, s9, v138
	v_ashrrev_i32_e32 v115, 31, v114
	v_ashrrev_i32_e32 v131, 31, v130
	;; [unrolled: 1-line block ×3, first 2 shown]
	v_lshl_add_u64 v[40:41], v[114:115], 4, s[0:1]
	v_ashrrev_i32_e32 v123, 31, v122
	v_lshl_add_u64 v[48:49], v[130:131], 4, s[0:1]
	v_ashrrev_i32_e32 v139, 31, v138
	v_lshl_add_u64 v[54:55], v[10:11], 4, s[0:1]
	v_lshl_add_u64 v[42:43], v[122:123], 4, s[0:1]
	global_load_dwordx4 v[122:125], v[40:41], off
	global_load_dwordx4 v[126:129], v[42:43], off
	v_lshl_add_u64 v[50:51], v[138:139], 4, s[0:1]
	global_load_dwordx4 v[130:133], v[48:49], off
	global_load_dwordx4 v[134:137], v[50:51], off
	;; [unrolled: 1-line block ×3, first 2 shown]
	v_accvgpr_write_b32 a8, v12
	v_add_u32_e32 v10, s9, v10
	v_accvgpr_write_b32 a9, v13
	v_add_u32_e32 v12, s9, v10
	v_add_u32_e32 v14, s9, v12
	;; [unrolled: 1-line block ×33, first 2 shown]
	v_ashrrev_i32_e32 v57, 31, v56
	v_lshl_add_u64 v[56:57], v[56:57], 4, s[0:1]
	global_load_dwordx4 v[142:145], v[56:57], off
	v_ashrrev_i32_e32 v11, 31, v10
	v_ashrrev_i32_e32 v13, 31, v12
	v_ashrrev_i32_e32 v17, 31, v16
	v_ashrrev_i32_e32 v27, 31, v26
	v_ashrrev_i32_e32 v151, 31, v150
	v_ashrrev_i32_e32 v159, 31, v158
	v_ashrrev_i32_e32 v167, 31, v166
	v_ashrrev_i32_e32 v175, 31, v174
	v_ashrrev_i32_e32 v183, 31, v182
	v_ashrrev_i32_e32 v191, 31, v190
	v_ashrrev_i32_e32 v199, 31, v198
	v_ashrrev_i32_e32 v207, 31, v206
	v_ashrrev_i32_e32 v215, 31, v214
	v_ashrrev_i32_e32 v223, 31, v222
	v_ashrrev_i32_e32 v231, 31, v230
	v_ashrrev_i32_e32 v239, 31, v238
	v_ashrrev_i32_e32 v247, 31, v246
	s_waitcnt vmcnt(22)
	scratch_store_dwordx4 off, v[2:5], off
	s_waitcnt vmcnt(22)
	scratch_store_dwordx4 off, v[6:9], off offset:16
	s_waitcnt vmcnt(22)
	scratch_store_dwordx4 off, v[58:61], off offset:32
	;; [unrolled: 2-line block ×11, first 2 shown]
	scratch_store_dwordx4 off, v[98:101], off offset:192
	scratch_store_dwordx4 off, v[102:105], off offset:208
	;; [unrolled: 1-line block ×3, first 2 shown]
	s_waitcnt vmcnt(21)
	scratch_store_dwordx4 off, v[110:113], off offset:240
	scratch_store_dwordx4 off, v[118:121], off offset:256
	s_waitcnt vmcnt(22)
	scratch_store_dwordx4 off, v[122:125], off offset:272
	s_waitcnt vmcnt(22)
	;; [unrolled: 2-line block ×4, first 2 shown]
	scratch_store_dwordx4 off, v[134:137], off offset:320
	v_lshl_add_u64 v[58:59], v[10:11], 4, s[0:1]
	s_waitcnt vmcnt(22)
	scratch_store_dwordx4 off, v[138:141], off offset:336
	v_lshl_add_u64 v[60:61], v[12:13], 4, s[0:1]
	v_ashrrev_i32_e32 v15, 31, v14
	v_lshl_add_u64 v[64:65], v[16:17], 4, s[0:1]
	v_ashrrev_i32_e32 v23, 31, v22
	;; [unrolled: 2-line block ×16, first 2 shown]
	global_load_dwordx4 v[2:5], v[58:59], off
	v_lshl_add_u64 v[62:63], v[14:15], 4, s[0:1]
	global_load_dwordx4 v[6:9], v[60:61], off
	global_load_dwordx4 v[126:129], v[62:63], off
	v_lshl_add_u64 v[66:67], v[22:23], 4, s[0:1]
	global_load_dwordx4 v[130:133], v[64:65], off
	;; [unrolled: 3-line block ×16, first 2 shown]
	global_load_dwordx4 v[250:253], v[124:125], off
	s_cmpk_lg_i32 s5, 0x84
	s_cselect_b64 s[6:7], -1, 0
	s_cmpk_eq_i32 s5, 0x84
	s_waitcnt vmcnt(32)
	scratch_store_dwordx4 off, v[2:5], off offset:352
	s_waitcnt vmcnt(32)
	scratch_store_dwordx4 off, v[6:9], off offset:368
	;; [unrolled: 2-line block ×33, first 2 shown]
	scratch_store_dwordx4 off, v[142:145], off offset:880
	s_cbranch_scc1 .LBB119_7
; %bb.2:
	scratch_load_dwordx4 v[8:11], v116, off
                                        ; implicit-def: $vgpr6_vgpr7
	s_waitcnt vmcnt(0)
	v_xor_b32_e32 v3, 0x80000000, v9
	v_cmp_gt_f64_e32 vcc, 0, v[8:9]
	v_xor_b32_e32 v4, 0x80000000, v11
	v_mov_b32_e32 v2, v8
	v_cndmask_b32_e32 v3, v9, v3, vcc
	v_cmp_gt_f64_e32 vcc, 0, v[10:11]
	s_nop 1
	v_cndmask_b32_e32 v5, v11, v4, vcc
	v_mov_b32_e32 v4, v10
	v_cmp_ngt_f64_e32 vcc, v[2:3], v[4:5]
                                        ; implicit-def: $vgpr2_vgpr3
	s_and_saveexec_b64 s[0:1], vcc
	s_xor_b64 s[0:1], exec, s[0:1]
	s_cbranch_execz .LBB119_4
; %bb.3:
	v_div_scale_f64 v[2:3], s[2:3], v[10:11], v[10:11], v[8:9]
	v_rcp_f64_e32 v[4:5], v[2:3]
	v_div_scale_f64 v[6:7], vcc, v[8:9], v[10:11], v[8:9]
	v_fma_f64 v[12:13], -v[2:3], v[4:5], 1.0
	v_fmac_f64_e32 v[4:5], v[4:5], v[12:13]
	v_fma_f64 v[12:13], -v[2:3], v[4:5], 1.0
	v_fmac_f64_e32 v[4:5], v[4:5], v[12:13]
	v_mul_f64 v[12:13], v[6:7], v[4:5]
	v_fma_f64 v[2:3], -v[2:3], v[12:13], v[6:7]
	v_div_fmas_f64 v[2:3], v[2:3], v[4:5], v[12:13]
	v_div_fixup_f64 v[2:3], v[2:3], v[10:11], v[8:9]
	v_fmac_f64_e32 v[10:11], v[8:9], v[2:3]
	v_div_scale_f64 v[4:5], s[2:3], v[10:11], v[10:11], 1.0
	v_rcp_f64_e32 v[6:7], v[4:5]
	s_nop 0
	v_fma_f64 v[8:9], -v[4:5], v[6:7], 1.0
	v_fmac_f64_e32 v[6:7], v[6:7], v[8:9]
	v_fma_f64 v[8:9], -v[4:5], v[6:7], 1.0
	v_fmac_f64_e32 v[6:7], v[6:7], v[8:9]
	v_div_scale_f64 v[8:9], vcc, 1.0, v[10:11], 1.0
	v_mul_f64 v[12:13], v[8:9], v[6:7]
	v_fma_f64 v[4:5], -v[4:5], v[12:13], v[8:9]
                                        ; implicit-def: $vgpr8_vgpr9
	s_nop 1
	v_div_fmas_f64 v[4:5], v[4:5], v[6:7], v[12:13]
	v_div_fixup_f64 v[4:5], v[4:5], v[10:11], 1.0
	v_mul_f64 v[2:3], v[2:3], v[4:5]
	v_xor_b32_e32 v5, 0x80000000, v5
	v_xor_b32_e32 v7, 0x80000000, v3
	v_mov_b32_e32 v6, v2
.LBB119_4:
	s_or_saveexec_b64 s[0:1], s[0:1]
	v_add_u32_e32 v117, 0, v116
	s_xor_b64 exec, exec, s[0:1]
	s_cbranch_execz .LBB119_6
; %bb.5:
	v_div_scale_f64 v[2:3], s[2:3], v[8:9], v[8:9], v[10:11]
	v_rcp_f64_e32 v[4:5], v[2:3]
	v_div_scale_f64 v[6:7], vcc, v[10:11], v[8:9], v[10:11]
	v_fma_f64 v[12:13], -v[2:3], v[4:5], 1.0
	v_fmac_f64_e32 v[4:5], v[4:5], v[12:13]
	v_fma_f64 v[12:13], -v[2:3], v[4:5], 1.0
	v_fmac_f64_e32 v[4:5], v[4:5], v[12:13]
	v_mul_f64 v[12:13], v[6:7], v[4:5]
	v_fma_f64 v[2:3], -v[2:3], v[12:13], v[6:7]
	v_div_fmas_f64 v[2:3], v[2:3], v[4:5], v[12:13]
	v_div_fixup_f64 v[4:5], v[2:3], v[8:9], v[10:11]
	v_fmac_f64_e32 v[8:9], v[10:11], v[4:5]
	v_div_scale_f64 v[2:3], s[2:3], v[8:9], v[8:9], 1.0
	v_rcp_f64_e32 v[6:7], v[2:3]
	s_nop 0
	v_fma_f64 v[10:11], -v[2:3], v[6:7], 1.0
	v_fmac_f64_e32 v[6:7], v[6:7], v[10:11]
	v_fma_f64 v[10:11], -v[2:3], v[6:7], 1.0
	v_fmac_f64_e32 v[6:7], v[6:7], v[10:11]
	v_div_scale_f64 v[10:11], vcc, 1.0, v[8:9], 1.0
	v_mul_f64 v[12:13], v[10:11], v[6:7]
	v_fma_f64 v[2:3], -v[2:3], v[12:13], v[10:11]
	s_nop 1
	v_div_fmas_f64 v[2:3], v[2:3], v[6:7], v[12:13]
	v_div_fixup_f64 v[2:3], v[2:3], v[8:9], 1.0
	v_xor_b32_e32 v7, 0x80000000, v3
	v_mov_b32_e32 v6, v2
	v_mul_f64 v[4:5], v[4:5], -v[2:3]
.LBB119_6:
	s_or_b64 exec, exec, s[0:1]
	scratch_store_dwordx4 v117, v[2:5], off
	s_nop 1
	v_xor_b32_e32 v5, 0x80000000, v5
	s_branch .LBB119_8
.LBB119_7:
	v_mov_b64_e32 v[4:5], 0
	v_mov_b64_e32 v[6:7], -1.0
.LBB119_8:
	v_mov_b32_e32 v8, v4
	v_mov_b32_e32 v9, v5
	v_add_u32_e32 v176, 16, v1
	v_add_u32_e32 v175, 32, v1
	;; [unrolled: 1-line block ×55, first 2 shown]
	ds_write_b128 v116, v[6:9]
	s_cmpk_eq_i32 s4, 0x79
	v_add_u32_e32 v9, 0x380, v116
	v_add_u32_e32 v8, 0, v116
	s_cbranch_scc1 .LBB119_444
; %bb.9:
	scratch_load_dwordx4 v[2:5], v14, off
	v_cmp_eq_u32_e64 s[0:1], 55, v0
	s_waitcnt vmcnt(0)
	ds_write_b128 v9, v[2:5]
	s_waitcnt lgkmcnt(0)
	; wave barrier
	s_waitcnt lgkmcnt(0)
	s_and_saveexec_b64 s[2:3], s[0:1]
	s_cbranch_execz .LBB119_13
; %bb.10:
	ds_read_b128 v[2:5], v9
	s_andn2_b64 vcc, exec, s[6:7]
	s_cbranch_vccnz .LBB119_12
; %bb.11:
	scratch_load_dwordx4 v[178:181], v8, off
	s_waitcnt vmcnt(0) lgkmcnt(0)
	v_mul_f64 v[10:11], v[2:3], v[180:181]
	v_mul_f64 v[6:7], v[4:5], v[180:181]
	v_fmac_f64_e32 v[10:11], v[4:5], v[178:179]
	v_fma_f64 v[2:3], v[2:3], v[178:179], -v[6:7]
	v_mov_b64_e32 v[4:5], v[10:11]
.LBB119_12:
	v_mov_b32_e32 v6, 0
	ds_read_b128 v[178:181], v6 offset:864
	s_waitcnt lgkmcnt(0)
	v_mul_f64 v[6:7], v[4:5], v[180:181]
	v_mul_f64 v[182:183], v[2:3], v[180:181]
	v_fma_f64 v[180:181], v[2:3], v[178:179], -v[6:7]
	v_fmac_f64_e32 v[182:183], v[4:5], v[178:179]
	scratch_store_dwordx4 off, v[180:183], off offset:864
.LBB119_13:
	s_or_b64 exec, exec, s[2:3]
	scratch_load_dwordx4 v[2:5], v26, off
	v_cmp_lt_u32_e64 s[2:3], 53, v0
	s_waitcnt vmcnt(0)
	ds_write_b128 v9, v[2:5]
	s_waitcnt lgkmcnt(0)
	; wave barrier
	s_waitcnt lgkmcnt(0)
	s_and_saveexec_b64 s[4:5], s[2:3]
	s_cbranch_execz .LBB119_19
; %bb.14:
	ds_read_b128 v[2:5], v9
	s_andn2_b64 vcc, exec, s[6:7]
	s_cbranch_vccnz .LBB119_16
; %bb.15:
	scratch_load_dwordx4 v[178:181], v8, off
	s_waitcnt vmcnt(0) lgkmcnt(0)
	v_mul_f64 v[10:11], v[2:3], v[180:181]
	v_mul_f64 v[6:7], v[4:5], v[180:181]
	v_fmac_f64_e32 v[10:11], v[4:5], v[178:179]
	v_fma_f64 v[2:3], v[2:3], v[178:179], -v[6:7]
	v_mov_b64_e32 v[4:5], v[10:11]
.LBB119_16:
	s_and_saveexec_b64 s[8:9], s[0:1]
	s_cbranch_execz .LBB119_18
; %bb.17:
	scratch_load_dwordx4 v[178:181], off, off offset:864
	v_mov_b32_e32 v6, 0
	ds_read_b128 v[182:185], v6 offset:1760
	s_waitcnt vmcnt(0) lgkmcnt(0)
	v_mul_f64 v[6:7], v[182:183], v[180:181]
	v_mul_f64 v[10:11], v[184:185], v[180:181]
	v_fmac_f64_e32 v[6:7], v[184:185], v[178:179]
	v_fma_f64 v[10:11], v[182:183], v[178:179], -v[10:11]
	v_add_f64 v[4:5], v[4:5], v[6:7]
	v_add_f64 v[2:3], v[2:3], v[10:11]
.LBB119_18:
	s_or_b64 exec, exec, s[8:9]
	v_mov_b32_e32 v6, 0
	ds_read_b128 v[178:181], v6 offset:848
	s_waitcnt lgkmcnt(0)
	v_mul_f64 v[6:7], v[4:5], v[180:181]
	v_mul_f64 v[182:183], v[2:3], v[180:181]
	v_fma_f64 v[180:181], v[2:3], v[178:179], -v[6:7]
	v_fmac_f64_e32 v[182:183], v[4:5], v[178:179]
	scratch_store_dwordx4 off, v[180:183], off offset:848
.LBB119_19:
	s_or_b64 exec, exec, s[4:5]
	scratch_load_dwordx4 v[2:5], v27, off
	v_cmp_lt_u32_e64 s[0:1], 52, v0
	s_waitcnt vmcnt(0)
	ds_write_b128 v9, v[2:5]
	s_waitcnt lgkmcnt(0)
	; wave barrier
	s_waitcnt lgkmcnt(0)
	s_and_saveexec_b64 s[4:5], s[0:1]
	s_cbranch_execz .LBB119_27
; %bb.20:
	ds_read_b128 v[2:5], v9
	s_andn2_b64 vcc, exec, s[6:7]
	s_cbranch_vccnz .LBB119_22
; %bb.21:
	scratch_load_dwordx4 v[178:181], v8, off
	s_waitcnt vmcnt(0) lgkmcnt(0)
	v_mul_f64 v[10:11], v[2:3], v[180:181]
	v_mul_f64 v[6:7], v[4:5], v[180:181]
	v_fmac_f64_e32 v[10:11], v[4:5], v[178:179]
	v_fma_f64 v[2:3], v[2:3], v[178:179], -v[6:7]
	v_mov_b64_e32 v[4:5], v[10:11]
.LBB119_22:
	s_and_saveexec_b64 s[8:9], s[2:3]
	s_cbranch_execz .LBB119_26
; %bb.23:
	v_mov_b32_e32 v7, 0
	v_subrev_u32_e32 v6, 53, v0
	v_add_u32_e32 v7, 0x358, v7
	s_movk_i32 s10, 0x6d0
	s_mov_b64 s[2:3], 0
.LBB119_24:                             ; =>This Inner Loop Header: Depth=1
	v_add_u32_e32 v10, -8, v7
	scratch_load_dwordx4 v[178:181], v10, off
	v_mov_b32_e32 v10, s10
	ds_read_b128 v[182:185], v10
	v_add_u32_e32 v6, -1, v6
	s_add_i32 s10, s10, 16
	v_cmp_eq_u32_e32 vcc, 0, v6
	v_add_u32_e32 v7, 16, v7
	s_or_b64 s[2:3], vcc, s[2:3]
	s_waitcnt vmcnt(0) lgkmcnt(0)
	v_mul_f64 v[10:11], v[184:185], v[180:181]
	v_mul_f64 v[12:13], v[182:183], v[180:181]
	v_fma_f64 v[10:11], v[182:183], v[178:179], -v[10:11]
	v_fmac_f64_e32 v[12:13], v[184:185], v[178:179]
	v_add_f64 v[2:3], v[2:3], v[10:11]
	v_add_f64 v[4:5], v[4:5], v[12:13]
	s_andn2_b64 exec, exec, s[2:3]
	s_cbranch_execnz .LBB119_24
; %bb.25:
	s_or_b64 exec, exec, s[2:3]
.LBB119_26:
	s_or_b64 exec, exec, s[8:9]
	v_mov_b32_e32 v6, 0
	ds_read_b128 v[178:181], v6 offset:832
	s_waitcnt lgkmcnt(0)
	v_mul_f64 v[6:7], v[4:5], v[180:181]
	v_mul_f64 v[182:183], v[2:3], v[180:181]
	v_fma_f64 v[180:181], v[2:3], v[178:179], -v[6:7]
	v_fmac_f64_e32 v[182:183], v[4:5], v[178:179]
	scratch_store_dwordx4 off, v[180:183], off offset:832
.LBB119_27:
	s_or_b64 exec, exec, s[4:5]
	scratch_load_dwordx4 v[2:5], v22, off
	v_cmp_lt_u32_e64 s[2:3], 51, v0
	s_waitcnt vmcnt(0)
	ds_write_b128 v9, v[2:5]
	s_waitcnt lgkmcnt(0)
	; wave barrier
	s_waitcnt lgkmcnt(0)
	s_and_saveexec_b64 s[4:5], s[2:3]
	s_cbranch_execz .LBB119_35
; %bb.28:
	ds_read_b128 v[2:5], v9
	s_andn2_b64 vcc, exec, s[6:7]
	s_cbranch_vccnz .LBB119_30
; %bb.29:
	scratch_load_dwordx4 v[178:181], v8, off
	s_waitcnt vmcnt(0) lgkmcnt(0)
	v_mul_f64 v[10:11], v[2:3], v[180:181]
	v_mul_f64 v[6:7], v[4:5], v[180:181]
	v_fmac_f64_e32 v[10:11], v[4:5], v[178:179]
	v_fma_f64 v[2:3], v[2:3], v[178:179], -v[6:7]
	v_mov_b64_e32 v[4:5], v[10:11]
.LBB119_30:
	s_and_saveexec_b64 s[8:9], s[0:1]
	s_cbranch_execz .LBB119_34
; %bb.31:
	v_mov_b32_e32 v7, 0
	v_subrev_u32_e32 v6, 52, v0
	v_add_u32_e32 v7, 0x348, v7
	s_movk_i32 s10, 0x6c0
	s_mov_b64 s[0:1], 0
.LBB119_32:                             ; =>This Inner Loop Header: Depth=1
	v_add_u32_e32 v10, -8, v7
	scratch_load_dwordx4 v[178:181], v10, off
	v_mov_b32_e32 v10, s10
	ds_read_b128 v[182:185], v10
	v_add_u32_e32 v6, -1, v6
	s_add_i32 s10, s10, 16
	v_cmp_eq_u32_e32 vcc, 0, v6
	v_add_u32_e32 v7, 16, v7
	s_or_b64 s[0:1], vcc, s[0:1]
	s_waitcnt vmcnt(0) lgkmcnt(0)
	v_mul_f64 v[10:11], v[184:185], v[180:181]
	v_mul_f64 v[12:13], v[182:183], v[180:181]
	v_fma_f64 v[10:11], v[182:183], v[178:179], -v[10:11]
	v_fmac_f64_e32 v[12:13], v[184:185], v[178:179]
	v_add_f64 v[2:3], v[2:3], v[10:11]
	v_add_f64 v[4:5], v[4:5], v[12:13]
	s_andn2_b64 exec, exec, s[0:1]
	s_cbranch_execnz .LBB119_32
; %bb.33:
	s_or_b64 exec, exec, s[0:1]
.LBB119_34:
	s_or_b64 exec, exec, s[8:9]
	v_mov_b32_e32 v6, 0
	ds_read_b128 v[178:181], v6 offset:816
	s_waitcnt lgkmcnt(0)
	v_mul_f64 v[6:7], v[4:5], v[180:181]
	v_mul_f64 v[182:183], v[2:3], v[180:181]
	v_fma_f64 v[180:181], v[2:3], v[178:179], -v[6:7]
	v_fmac_f64_e32 v[182:183], v[4:5], v[178:179]
	scratch_store_dwordx4 off, v[180:183], off offset:816
.LBB119_35:
	;; [unrolled: 63-line block ×10, first 2 shown]
	s_or_b64 exec, exec, s[4:5]
	scratch_load_dwordx4 v[2:5], v135, off
	v_cmp_lt_u32_e64 s[0:1], 42, v0
	s_waitcnt vmcnt(0)
	ds_write_b128 v9, v[2:5]
	s_waitcnt lgkmcnt(0)
	; wave barrier
	s_waitcnt lgkmcnt(0)
	s_and_saveexec_b64 s[4:5], s[0:1]
	s_cbranch_execz .LBB119_107
; %bb.100:
	ds_read_b128 v[2:5], v9
	s_andn2_b64 vcc, exec, s[6:7]
	s_cbranch_vccnz .LBB119_102
; %bb.101:
	scratch_load_dwordx4 v[178:181], v8, off
	s_waitcnt vmcnt(0) lgkmcnt(0)
	v_mul_f64 v[10:11], v[2:3], v[180:181]
	v_mul_f64 v[6:7], v[4:5], v[180:181]
	v_fmac_f64_e32 v[10:11], v[4:5], v[178:179]
	v_fma_f64 v[2:3], v[2:3], v[178:179], -v[6:7]
	v_mov_b64_e32 v[4:5], v[10:11]
.LBB119_102:
	s_and_saveexec_b64 s[8:9], s[2:3]
	s_cbranch_execz .LBB119_106
; %bb.103:
	v_mov_b32_e32 v7, 0
	v_subrev_u32_e32 v6, 43, v0
	v_add_u32_e32 v7, 0x2b8, v7
	s_movk_i32 s10, 0x630
	s_mov_b64 s[2:3], 0
.LBB119_104:                            ; =>This Inner Loop Header: Depth=1
	v_add_u32_e32 v10, -8, v7
	scratch_load_dwordx4 v[178:181], v10, off
	v_mov_b32_e32 v10, s10
	ds_read_b128 v[182:185], v10
	v_add_u32_e32 v6, -1, v6
	s_add_i32 s10, s10, 16
	v_cmp_eq_u32_e32 vcc, 0, v6
	v_add_u32_e32 v7, 16, v7
	s_or_b64 s[2:3], vcc, s[2:3]
	s_waitcnt vmcnt(0) lgkmcnt(0)
	v_mul_f64 v[10:11], v[184:185], v[180:181]
	v_mul_f64 v[12:13], v[182:183], v[180:181]
	v_fma_f64 v[10:11], v[182:183], v[178:179], -v[10:11]
	v_fmac_f64_e32 v[12:13], v[184:185], v[178:179]
	v_add_f64 v[2:3], v[2:3], v[10:11]
	v_add_f64 v[4:5], v[4:5], v[12:13]
	s_andn2_b64 exec, exec, s[2:3]
	s_cbranch_execnz .LBB119_104
; %bb.105:
	s_or_b64 exec, exec, s[2:3]
.LBB119_106:
	s_or_b64 exec, exec, s[8:9]
	v_mov_b32_e32 v6, 0
	ds_read_b128 v[178:181], v6 offset:672
	s_waitcnt lgkmcnt(0)
	v_mul_f64 v[6:7], v[4:5], v[180:181]
	v_mul_f64 v[182:183], v[2:3], v[180:181]
	v_fma_f64 v[180:181], v[2:3], v[178:179], -v[6:7]
	v_fmac_f64_e32 v[182:183], v[4:5], v[178:179]
	scratch_store_dwordx4 off, v[180:183], off offset:672
.LBB119_107:
	s_or_b64 exec, exec, s[4:5]
	scratch_load_dwordx4 v[2:5], v136, off
	v_cmp_lt_u32_e64 s[2:3], 41, v0
	s_waitcnt vmcnt(0)
	ds_write_b128 v9, v[2:5]
	s_waitcnt lgkmcnt(0)
	; wave barrier
	s_waitcnt lgkmcnt(0)
	s_and_saveexec_b64 s[4:5], s[2:3]
	s_cbranch_execz .LBB119_115
; %bb.108:
	ds_read_b128 v[2:5], v9
	s_andn2_b64 vcc, exec, s[6:7]
	s_cbranch_vccnz .LBB119_110
; %bb.109:
	scratch_load_dwordx4 v[178:181], v8, off
	s_waitcnt vmcnt(0) lgkmcnt(0)
	v_mul_f64 v[10:11], v[2:3], v[180:181]
	v_mul_f64 v[6:7], v[4:5], v[180:181]
	v_fmac_f64_e32 v[10:11], v[4:5], v[178:179]
	v_fma_f64 v[2:3], v[2:3], v[178:179], -v[6:7]
	v_mov_b64_e32 v[4:5], v[10:11]
.LBB119_110:
	s_and_saveexec_b64 s[8:9], s[0:1]
	s_cbranch_execz .LBB119_114
; %bb.111:
	v_mov_b32_e32 v7, 0
	v_subrev_u32_e32 v6, 42, v0
	v_add_u32_e32 v7, 0x2a8, v7
	s_movk_i32 s10, 0x620
	s_mov_b64 s[0:1], 0
.LBB119_112:                            ; =>This Inner Loop Header: Depth=1
	v_add_u32_e32 v10, -8, v7
	scratch_load_dwordx4 v[178:181], v10, off
	v_mov_b32_e32 v10, s10
	ds_read_b128 v[182:185], v10
	v_add_u32_e32 v6, -1, v6
	s_add_i32 s10, s10, 16
	v_cmp_eq_u32_e32 vcc, 0, v6
	v_add_u32_e32 v7, 16, v7
	s_or_b64 s[0:1], vcc, s[0:1]
	s_waitcnt vmcnt(0) lgkmcnt(0)
	v_mul_f64 v[10:11], v[184:185], v[180:181]
	v_mul_f64 v[12:13], v[182:183], v[180:181]
	v_fma_f64 v[10:11], v[182:183], v[178:179], -v[10:11]
	v_fmac_f64_e32 v[12:13], v[184:185], v[178:179]
	v_add_f64 v[2:3], v[2:3], v[10:11]
	v_add_f64 v[4:5], v[4:5], v[12:13]
	s_andn2_b64 exec, exec, s[0:1]
	s_cbranch_execnz .LBB119_112
; %bb.113:
	s_or_b64 exec, exec, s[0:1]
.LBB119_114:
	s_or_b64 exec, exec, s[8:9]
	v_mov_b32_e32 v6, 0
	ds_read_b128 v[178:181], v6 offset:656
	s_waitcnt lgkmcnt(0)
	v_mul_f64 v[6:7], v[4:5], v[180:181]
	v_mul_f64 v[182:183], v[2:3], v[180:181]
	v_fma_f64 v[180:181], v[2:3], v[178:179], -v[6:7]
	v_fmac_f64_e32 v[182:183], v[4:5], v[178:179]
	scratch_store_dwordx4 off, v[180:183], off offset:656
.LBB119_115:
	;; [unrolled: 63-line block ×27, first 2 shown]
	s_or_b64 exec, exec, s[4:5]
	scratch_load_dwordx4 v[2:5], v162, off
	v_cmp_lt_u32_e64 s[2:3], 15, v0
	s_waitcnt vmcnt(0)
	ds_write_b128 v9, v[2:5]
	s_waitcnt lgkmcnt(0)
	; wave barrier
	s_waitcnt lgkmcnt(0)
	s_and_saveexec_b64 s[4:5], s[2:3]
	s_cbranch_execz .LBB119_323
; %bb.316:
	ds_read_b128 v[2:5], v9
	s_andn2_b64 vcc, exec, s[6:7]
	s_cbranch_vccnz .LBB119_318
; %bb.317:
	scratch_load_dwordx4 v[178:181], v8, off
	s_waitcnt vmcnt(0) lgkmcnt(0)
	v_mul_f64 v[10:11], v[2:3], v[180:181]
	v_mul_f64 v[6:7], v[4:5], v[180:181]
	v_fmac_f64_e32 v[10:11], v[4:5], v[178:179]
	v_fma_f64 v[2:3], v[2:3], v[178:179], -v[6:7]
	v_mov_b64_e32 v[4:5], v[10:11]
.LBB119_318:
	s_and_saveexec_b64 s[8:9], s[0:1]
	s_cbranch_execz .LBB119_322
; %bb.319:
	v_mov_b32_e32 v7, 0
	v_add_u32_e32 v6, -16, v0
	v_add_u32_e32 v7, 0x108, v7
	s_movk_i32 s10, 0x480
	s_mov_b64 s[0:1], 0
.LBB119_320:                            ; =>This Inner Loop Header: Depth=1
	v_add_u32_e32 v10, -8, v7
	scratch_load_dwordx4 v[178:181], v10, off
	v_mov_b32_e32 v10, s10
	ds_read_b128 v[182:185], v10
	v_add_u32_e32 v6, -1, v6
	s_add_i32 s10, s10, 16
	v_cmp_eq_u32_e32 vcc, 0, v6
	v_add_u32_e32 v7, 16, v7
	s_or_b64 s[0:1], vcc, s[0:1]
	s_waitcnt vmcnt(0) lgkmcnt(0)
	v_mul_f64 v[10:11], v[184:185], v[180:181]
	v_mul_f64 v[12:13], v[182:183], v[180:181]
	v_fma_f64 v[10:11], v[182:183], v[178:179], -v[10:11]
	v_fmac_f64_e32 v[12:13], v[184:185], v[178:179]
	v_add_f64 v[2:3], v[2:3], v[10:11]
	v_add_f64 v[4:5], v[4:5], v[12:13]
	s_andn2_b64 exec, exec, s[0:1]
	s_cbranch_execnz .LBB119_320
; %bb.321:
	s_or_b64 exec, exec, s[0:1]
.LBB119_322:
	s_or_b64 exec, exec, s[8:9]
	v_mov_b32_e32 v6, 0
	ds_read_b128 v[178:181], v6 offset:240
	s_waitcnt lgkmcnt(0)
	v_mul_f64 v[6:7], v[4:5], v[180:181]
	v_mul_f64 v[182:183], v[2:3], v[180:181]
	v_fma_f64 v[180:181], v[2:3], v[178:179], -v[6:7]
	v_fmac_f64_e32 v[182:183], v[4:5], v[178:179]
	scratch_store_dwordx4 off, v[180:183], off offset:240
.LBB119_323:
	s_or_b64 exec, exec, s[4:5]
	scratch_load_dwordx4 v[2:5], v163, off
	v_cmp_lt_u32_e64 s[0:1], 14, v0
	s_waitcnt vmcnt(0)
	ds_write_b128 v9, v[2:5]
	s_waitcnt lgkmcnt(0)
	; wave barrier
	s_waitcnt lgkmcnt(0)
	s_and_saveexec_b64 s[4:5], s[0:1]
	s_cbranch_execz .LBB119_331
; %bb.324:
	ds_read_b128 v[2:5], v9
	s_andn2_b64 vcc, exec, s[6:7]
	s_cbranch_vccnz .LBB119_326
; %bb.325:
	scratch_load_dwordx4 v[178:181], v8, off
	s_waitcnt vmcnt(0) lgkmcnt(0)
	v_mul_f64 v[10:11], v[2:3], v[180:181]
	v_mul_f64 v[6:7], v[4:5], v[180:181]
	v_fmac_f64_e32 v[10:11], v[4:5], v[178:179]
	v_fma_f64 v[2:3], v[2:3], v[178:179], -v[6:7]
	v_mov_b64_e32 v[4:5], v[10:11]
.LBB119_326:
	s_and_saveexec_b64 s[8:9], s[2:3]
	s_cbranch_execz .LBB119_330
; %bb.327:
	v_mov_b32_e32 v7, 0
	v_add_u32_e32 v6, -15, v0
	v_add_u32_e32 v7, 0xf8, v7
	s_movk_i32 s10, 0x470
	s_mov_b64 s[2:3], 0
.LBB119_328:                            ; =>This Inner Loop Header: Depth=1
	v_add_u32_e32 v10, -8, v7
	scratch_load_dwordx4 v[178:181], v10, off
	v_mov_b32_e32 v10, s10
	ds_read_b128 v[182:185], v10
	v_add_u32_e32 v6, -1, v6
	s_add_i32 s10, s10, 16
	v_cmp_eq_u32_e32 vcc, 0, v6
	v_add_u32_e32 v7, 16, v7
	s_or_b64 s[2:3], vcc, s[2:3]
	s_waitcnt vmcnt(0) lgkmcnt(0)
	v_mul_f64 v[10:11], v[184:185], v[180:181]
	v_mul_f64 v[12:13], v[182:183], v[180:181]
	v_fma_f64 v[10:11], v[182:183], v[178:179], -v[10:11]
	v_fmac_f64_e32 v[12:13], v[184:185], v[178:179]
	v_add_f64 v[2:3], v[2:3], v[10:11]
	v_add_f64 v[4:5], v[4:5], v[12:13]
	s_andn2_b64 exec, exec, s[2:3]
	s_cbranch_execnz .LBB119_328
; %bb.329:
	s_or_b64 exec, exec, s[2:3]
.LBB119_330:
	s_or_b64 exec, exec, s[8:9]
	v_mov_b32_e32 v6, 0
	ds_read_b128 v[178:181], v6 offset:224
	s_waitcnt lgkmcnt(0)
	v_mul_f64 v[6:7], v[4:5], v[180:181]
	v_mul_f64 v[182:183], v[2:3], v[180:181]
	v_fma_f64 v[180:181], v[2:3], v[178:179], -v[6:7]
	v_fmac_f64_e32 v[182:183], v[4:5], v[178:179]
	scratch_store_dwordx4 off, v[180:183], off offset:224
.LBB119_331:
	;; [unrolled: 63-line block ×15, first 2 shown]
	s_or_b64 exec, exec, s[2:3]
	scratch_load_dwordx4 v[2:5], off, off
	v_cmp_ne_u32_e32 vcc, 0, v0
	s_mov_b64 s[2:3], 0
	s_mov_b64 s[4:5], 0
                                        ; implicit-def: $vgpr6_vgpr7
                                        ; implicit-def: $vgpr177
	s_waitcnt vmcnt(0)
	ds_write_b128 v9, v[2:5]
	s_waitcnt lgkmcnt(0)
	; wave barrier
	s_waitcnt lgkmcnt(0)
	s_and_saveexec_b64 s[8:9], vcc
	s_cbranch_execz .LBB119_443
; %bb.436:
	ds_read_b128 v[2:5], v9
	s_andn2_b64 vcc, exec, s[6:7]
	s_cbranch_vccnz .LBB119_438
; %bb.437:
	scratch_load_dwordx4 v[178:181], v8, off
	s_waitcnt vmcnt(0) lgkmcnt(0)
	v_mul_f64 v[10:11], v[2:3], v[180:181]
	v_mul_f64 v[6:7], v[4:5], v[180:181]
	v_fmac_f64_e32 v[10:11], v[4:5], v[178:179]
	v_fma_f64 v[2:3], v[2:3], v[178:179], -v[6:7]
	v_mov_b64_e32 v[4:5], v[10:11]
.LBB119_438:
	s_and_saveexec_b64 s[4:5], s[0:1]
	s_cbranch_execz .LBB119_442
; %bb.439:
	v_mov_b32_e32 v7, 0
	v_add_u32_e32 v6, -1, v0
	v_add_u32_e32 v7, 24, v7
	s_movk_i32 s10, 0x390
	s_mov_b64 s[0:1], 0
.LBB119_440:                            ; =>This Inner Loop Header: Depth=1
	v_add_u32_e32 v10, -8, v7
	scratch_load_dwordx4 v[178:181], v10, off
	v_mov_b32_e32 v10, s10
	ds_read_b128 v[182:185], v10
	v_add_u32_e32 v6, -1, v6
	s_add_i32 s10, s10, 16
	v_cmp_eq_u32_e32 vcc, 0, v6
	v_add_u32_e32 v7, 16, v7
	s_or_b64 s[0:1], vcc, s[0:1]
	s_waitcnt vmcnt(0) lgkmcnt(0)
	v_mul_f64 v[10:11], v[184:185], v[180:181]
	v_mul_f64 v[12:13], v[182:183], v[180:181]
	v_fma_f64 v[10:11], v[182:183], v[178:179], -v[10:11]
	v_fmac_f64_e32 v[12:13], v[184:185], v[178:179]
	v_add_f64 v[2:3], v[2:3], v[10:11]
	v_add_f64 v[4:5], v[4:5], v[12:13]
	s_andn2_b64 exec, exec, s[0:1]
	s_cbranch_execnz .LBB119_440
; %bb.441:
	s_or_b64 exec, exec, s[0:1]
.LBB119_442:
	s_or_b64 exec, exec, s[4:5]
	v_mov_b32_e32 v6, 0
	ds_read_b128 v[178:181], v6
	v_mov_b32_e32 v6, 0
	v_or_b32_e32 v177, 8, v6
	s_mov_b64 s[4:5], exec
	s_waitcnt lgkmcnt(0)
	v_mul_f64 v[10:11], v[4:5], v[180:181]
	v_mul_f64 v[6:7], v[2:3], v[180:181]
	v_fma_f64 v[2:3], v[2:3], v[178:179], -v[10:11]
	v_fmac_f64_e32 v[6:7], v[4:5], v[178:179]
	scratch_store_dwordx2 off, v[2:3], off
.LBB119_443:
	s_or_b64 exec, exec, s[8:9]
	s_and_b64 vcc, exec, s[2:3]
	s_cbranch_vccnz .LBB119_445
	s_branch .LBB119_880
.LBB119_444:
	s_mov_b64 s[4:5], 0
                                        ; implicit-def: $vgpr6_vgpr7
                                        ; implicit-def: $vgpr177
	s_cbranch_execz .LBB119_880
.LBB119_445:
	scratch_load_dwordx4 v[2:5], v176, off
	v_cndmask_b32_e64 v6, 0, 1, s[6:7]
	v_cmp_eq_u32_e64 s[2:3], 0, v0
	v_cmp_ne_u32_e64 s[0:1], 1, v6
	s_waitcnt vmcnt(0)
	ds_write_b128 v9, v[2:5]
	s_waitcnt lgkmcnt(0)
	; wave barrier
	s_waitcnt lgkmcnt(0)
	s_and_saveexec_b64 s[6:7], s[2:3]
	s_cbranch_execz .LBB119_449
; %bb.446:
	ds_read_b128 v[2:5], v9
	s_and_b64 vcc, exec, s[0:1]
	s_cbranch_vccnz .LBB119_448
; %bb.447:
	scratch_load_dwordx4 v[178:181], v8, off
	s_waitcnt vmcnt(0) lgkmcnt(0)
	v_mul_f64 v[10:11], v[2:3], v[180:181]
	v_mul_f64 v[6:7], v[4:5], v[180:181]
	v_fmac_f64_e32 v[10:11], v[4:5], v[178:179]
	v_fma_f64 v[2:3], v[2:3], v[178:179], -v[6:7]
	v_mov_b64_e32 v[4:5], v[10:11]
.LBB119_448:
	v_mov_b32_e32 v6, 0
	ds_read_b128 v[178:181], v6 offset:16
	s_waitcnt lgkmcnt(0)
	v_mul_f64 v[6:7], v[4:5], v[180:181]
	v_mul_f64 v[182:183], v[2:3], v[180:181]
	v_fma_f64 v[180:181], v[2:3], v[178:179], -v[6:7]
	v_fmac_f64_e32 v[182:183], v[4:5], v[178:179]
	scratch_store_dwordx4 off, v[180:183], off offset:16
.LBB119_449:
	s_or_b64 exec, exec, s[6:7]
	scratch_load_dwordx4 v[2:5], v175, off
	v_cmp_gt_u32_e32 vcc, 2, v0
	s_waitcnt vmcnt(0)
	ds_write_b128 v9, v[2:5]
	s_waitcnt lgkmcnt(0)
	; wave barrier
	s_waitcnt lgkmcnt(0)
	s_and_saveexec_b64 s[6:7], vcc
	s_cbranch_execz .LBB119_455
; %bb.450:
	ds_read_b128 v[2:5], v9
	s_and_b64 vcc, exec, s[0:1]
	s_cbranch_vccnz .LBB119_452
; %bb.451:
	scratch_load_dwordx4 v[178:181], v8, off
	s_waitcnt vmcnt(0) lgkmcnt(0)
	v_mul_f64 v[10:11], v[2:3], v[180:181]
	v_mul_f64 v[6:7], v[4:5], v[180:181]
	v_fmac_f64_e32 v[10:11], v[4:5], v[178:179]
	v_fma_f64 v[2:3], v[2:3], v[178:179], -v[6:7]
	v_mov_b64_e32 v[4:5], v[10:11]
.LBB119_452:
	s_and_saveexec_b64 s[8:9], s[2:3]
	s_cbranch_execz .LBB119_454
; %bb.453:
	scratch_load_dwordx4 v[178:181], v8, off offset:16
	ds_read_b128 v[182:185], v9 offset:16
	s_waitcnt vmcnt(0) lgkmcnt(0)
	v_mul_f64 v[6:7], v[184:185], v[180:181]
	v_mul_f64 v[10:11], v[182:183], v[180:181]
	v_fma_f64 v[6:7], v[182:183], v[178:179], -v[6:7]
	v_fmac_f64_e32 v[10:11], v[184:185], v[178:179]
	v_add_f64 v[2:3], v[2:3], v[6:7]
	v_add_f64 v[4:5], v[4:5], v[10:11]
.LBB119_454:
	s_or_b64 exec, exec, s[8:9]
	v_mov_b32_e32 v6, 0
	ds_read_b128 v[178:181], v6 offset:32
	s_waitcnt lgkmcnt(0)
	v_mul_f64 v[6:7], v[4:5], v[180:181]
	v_mul_f64 v[182:183], v[2:3], v[180:181]
	v_fma_f64 v[180:181], v[2:3], v[178:179], -v[6:7]
	v_fmac_f64_e32 v[182:183], v[4:5], v[178:179]
	scratch_store_dwordx4 off, v[180:183], off offset:32
.LBB119_455:
	s_or_b64 exec, exec, s[6:7]
	scratch_load_dwordx4 v[2:5], v174, off
	v_cmp_gt_u32_e32 vcc, 3, v0
	s_waitcnt vmcnt(0)
	ds_write_b128 v9, v[2:5]
	s_waitcnt lgkmcnt(0)
	; wave barrier
	s_waitcnt lgkmcnt(0)
	s_and_saveexec_b64 s[6:7], vcc
	s_cbranch_execz .LBB119_463
; %bb.456:
	ds_read_b128 v[2:5], v9
	s_and_b64 vcc, exec, s[0:1]
	s_cbranch_vccnz .LBB119_458
; %bb.457:
	scratch_load_dwordx4 v[178:181], v8, off
	s_waitcnt vmcnt(0) lgkmcnt(0)
	v_mul_f64 v[10:11], v[2:3], v[180:181]
	v_mul_f64 v[6:7], v[4:5], v[180:181]
	v_fmac_f64_e32 v[10:11], v[4:5], v[178:179]
	v_fma_f64 v[2:3], v[2:3], v[178:179], -v[6:7]
	v_mov_b64_e32 v[4:5], v[10:11]
.LBB119_458:
	v_cmp_ne_u32_e32 vcc, 2, v0
	s_and_saveexec_b64 s[8:9], vcc
	s_cbranch_execz .LBB119_462
; %bb.459:
	scratch_load_dwordx4 v[178:181], v8, off offset:16
	ds_read_b128 v[182:185], v9 offset:16
	s_waitcnt vmcnt(0) lgkmcnt(0)
	v_mul_f64 v[6:7], v[184:185], v[180:181]
	v_mul_f64 v[10:11], v[182:183], v[180:181]
	v_fma_f64 v[6:7], v[182:183], v[178:179], -v[6:7]
	v_fmac_f64_e32 v[10:11], v[184:185], v[178:179]
	v_add_f64 v[2:3], v[2:3], v[6:7]
	v_add_f64 v[4:5], v[4:5], v[10:11]
	s_and_saveexec_b64 s[10:11], s[2:3]
	s_cbranch_execz .LBB119_461
; %bb.460:
	scratch_load_dwordx4 v[178:181], off, off offset:32
	v_mov_b32_e32 v6, 0
	ds_read_b128 v[182:185], v6 offset:928
	s_waitcnt vmcnt(0) lgkmcnt(0)
	v_mul_f64 v[6:7], v[182:183], v[180:181]
	v_mul_f64 v[10:11], v[184:185], v[180:181]
	v_fmac_f64_e32 v[6:7], v[184:185], v[178:179]
	v_fma_f64 v[10:11], v[182:183], v[178:179], -v[10:11]
	v_add_f64 v[4:5], v[4:5], v[6:7]
	v_add_f64 v[2:3], v[2:3], v[10:11]
.LBB119_461:
	s_or_b64 exec, exec, s[10:11]
.LBB119_462:
	s_or_b64 exec, exec, s[8:9]
	v_mov_b32_e32 v6, 0
	ds_read_b128 v[178:181], v6 offset:48
	s_waitcnt lgkmcnt(0)
	v_mul_f64 v[6:7], v[4:5], v[180:181]
	v_mul_f64 v[182:183], v[2:3], v[180:181]
	v_fma_f64 v[180:181], v[2:3], v[178:179], -v[6:7]
	v_fmac_f64_e32 v[182:183], v[4:5], v[178:179]
	scratch_store_dwordx4 off, v[180:183], off offset:48
.LBB119_463:
	s_or_b64 exec, exec, s[6:7]
	scratch_load_dwordx4 v[2:5], v173, off
	v_cmp_gt_u32_e32 vcc, 4, v0
	s_waitcnt vmcnt(0)
	ds_write_b128 v9, v[2:5]
	s_waitcnt lgkmcnt(0)
	; wave barrier
	s_waitcnt lgkmcnt(0)
	s_and_saveexec_b64 s[2:3], vcc
	s_cbranch_execz .LBB119_471
; %bb.464:
	ds_read_b128 v[2:5], v9
	s_and_b64 vcc, exec, s[0:1]
	s_cbranch_vccnz .LBB119_466
; %bb.465:
	scratch_load_dwordx4 v[178:181], v8, off
	s_waitcnt vmcnt(0) lgkmcnt(0)
	v_mul_f64 v[10:11], v[2:3], v[180:181]
	v_mul_f64 v[6:7], v[4:5], v[180:181]
	v_fmac_f64_e32 v[10:11], v[4:5], v[178:179]
	v_fma_f64 v[2:3], v[2:3], v[178:179], -v[6:7]
	v_mov_b64_e32 v[4:5], v[10:11]
.LBB119_466:
	v_cmp_ne_u32_e32 vcc, 3, v0
	s_and_saveexec_b64 s[6:7], vcc
	s_cbranch_execz .LBB119_470
; %bb.467:
	v_mov_b32_e32 v7, 0
	v_add_u32_e32 v6, 0x390, v116
	v_add3_u32 v7, v116, v7, 24
	s_mov_b64 s[8:9], 0
	v_mov_b32_e32 v177, v0
.LBB119_468:                            ; =>This Inner Loop Header: Depth=1
	v_add_u32_e32 v10, -8, v7
	scratch_load_dwordx4 v[178:181], v10, off
	ds_read_b128 v[182:185], v6
	v_add_u32_e32 v177, 1, v177
	v_cmp_lt_u32_e32 vcc, 2, v177
	v_add_u32_e32 v6, 16, v6
	v_add_u32_e32 v7, 16, v7
	s_or_b64 s[8:9], vcc, s[8:9]
	s_waitcnt vmcnt(0) lgkmcnt(0)
	v_mul_f64 v[10:11], v[184:185], v[180:181]
	v_mul_f64 v[12:13], v[182:183], v[180:181]
	v_fma_f64 v[10:11], v[182:183], v[178:179], -v[10:11]
	v_fmac_f64_e32 v[12:13], v[184:185], v[178:179]
	v_add_f64 v[2:3], v[2:3], v[10:11]
	v_add_f64 v[4:5], v[4:5], v[12:13]
	s_andn2_b64 exec, exec, s[8:9]
	s_cbranch_execnz .LBB119_468
; %bb.469:
	s_or_b64 exec, exec, s[8:9]
.LBB119_470:
	s_or_b64 exec, exec, s[6:7]
	v_mov_b32_e32 v6, 0
	ds_read_b128 v[178:181], v6 offset:64
	s_waitcnt lgkmcnt(0)
	v_mul_f64 v[6:7], v[4:5], v[180:181]
	v_mul_f64 v[182:183], v[2:3], v[180:181]
	v_fma_f64 v[180:181], v[2:3], v[178:179], -v[6:7]
	v_fmac_f64_e32 v[182:183], v[4:5], v[178:179]
	scratch_store_dwordx4 off, v[180:183], off offset:64
.LBB119_471:
	s_or_b64 exec, exec, s[2:3]
	scratch_load_dwordx4 v[2:5], v172, off
	v_cmp_gt_u32_e32 vcc, 5, v0
	s_waitcnt vmcnt(0)
	ds_write_b128 v9, v[2:5]
	s_waitcnt lgkmcnt(0)
	; wave barrier
	s_waitcnt lgkmcnt(0)
	s_and_saveexec_b64 s[2:3], vcc
	s_cbranch_execz .LBB119_479
; %bb.472:
	ds_read_b128 v[2:5], v9
	s_and_b64 vcc, exec, s[0:1]
	s_cbranch_vccnz .LBB119_474
; %bb.473:
	scratch_load_dwordx4 v[178:181], v8, off
	s_waitcnt vmcnt(0) lgkmcnt(0)
	v_mul_f64 v[10:11], v[2:3], v[180:181]
	v_mul_f64 v[6:7], v[4:5], v[180:181]
	v_fmac_f64_e32 v[10:11], v[4:5], v[178:179]
	v_fma_f64 v[2:3], v[2:3], v[178:179], -v[6:7]
	v_mov_b64_e32 v[4:5], v[10:11]
.LBB119_474:
	v_cmp_ne_u32_e32 vcc, 4, v0
	s_and_saveexec_b64 s[6:7], vcc
	s_cbranch_execz .LBB119_478
; %bb.475:
	v_mov_b32_e32 v7, 0
	v_add_u32_e32 v6, 0x390, v116
	v_add3_u32 v7, v116, v7, 24
	s_mov_b64 s[8:9], 0
	v_mov_b32_e32 v177, v0
.LBB119_476:                            ; =>This Inner Loop Header: Depth=1
	v_add_u32_e32 v10, -8, v7
	scratch_load_dwordx4 v[178:181], v10, off
	ds_read_b128 v[182:185], v6
	v_add_u32_e32 v177, 1, v177
	v_cmp_lt_u32_e32 vcc, 3, v177
	v_add_u32_e32 v6, 16, v6
	v_add_u32_e32 v7, 16, v7
	s_or_b64 s[8:9], vcc, s[8:9]
	s_waitcnt vmcnt(0) lgkmcnt(0)
	v_mul_f64 v[10:11], v[184:185], v[180:181]
	v_mul_f64 v[12:13], v[182:183], v[180:181]
	v_fma_f64 v[10:11], v[182:183], v[178:179], -v[10:11]
	v_fmac_f64_e32 v[12:13], v[184:185], v[178:179]
	v_add_f64 v[2:3], v[2:3], v[10:11]
	v_add_f64 v[4:5], v[4:5], v[12:13]
	s_andn2_b64 exec, exec, s[8:9]
	s_cbranch_execnz .LBB119_476
; %bb.477:
	s_or_b64 exec, exec, s[8:9]
.LBB119_478:
	s_or_b64 exec, exec, s[6:7]
	v_mov_b32_e32 v6, 0
	ds_read_b128 v[178:181], v6 offset:80
	s_waitcnt lgkmcnt(0)
	v_mul_f64 v[6:7], v[4:5], v[180:181]
	v_mul_f64 v[182:183], v[2:3], v[180:181]
	v_fma_f64 v[180:181], v[2:3], v[178:179], -v[6:7]
	v_fmac_f64_e32 v[182:183], v[4:5], v[178:179]
	scratch_store_dwordx4 off, v[180:183], off offset:80
.LBB119_479:
	;; [unrolled: 63-line block ×50, first 2 shown]
	s_or_b64 exec, exec, s[2:3]
	scratch_load_dwordx4 v[2:5], v14, off
	v_cmp_gt_u32_e64 s[2:3], 54, v0
	s_waitcnt vmcnt(0)
	ds_write_b128 v9, v[2:5]
	s_waitcnt lgkmcnt(0)
	; wave barrier
	s_waitcnt lgkmcnt(0)
	s_and_saveexec_b64 s[6:7], s[2:3]
	s_cbranch_execz .LBB119_871
; %bb.864:
	ds_read_b128 v[2:5], v9
	s_and_b64 vcc, exec, s[0:1]
	s_cbranch_vccnz .LBB119_866
; %bb.865:
	scratch_load_dwordx4 v[178:181], v8, off
	s_waitcnt vmcnt(0) lgkmcnt(0)
	v_mul_f64 v[10:11], v[2:3], v[180:181]
	v_mul_f64 v[6:7], v[4:5], v[180:181]
	v_fmac_f64_e32 v[10:11], v[4:5], v[178:179]
	v_fma_f64 v[2:3], v[2:3], v[178:179], -v[6:7]
	v_mov_b64_e32 v[4:5], v[10:11]
.LBB119_866:
	v_cmp_ne_u32_e32 vcc, 53, v0
	s_and_saveexec_b64 s[8:9], vcc
	s_cbranch_execz .LBB119_870
; %bb.867:
	v_mov_b32_e32 v7, 0
	v_add_u32_e32 v6, 0x390, v116
	v_add3_u32 v7, v116, v7, 24
	s_mov_b64 s[10:11], 0
	v_mov_b32_e32 v177, v0
.LBB119_868:                            ; =>This Inner Loop Header: Depth=1
	v_add_u32_e32 v10, -8, v7
	scratch_load_dwordx4 v[178:181], v10, off
	ds_read_b128 v[182:185], v6
	v_add_u32_e32 v177, 1, v177
	v_cmp_lt_u32_e32 vcc, 52, v177
	v_add_u32_e32 v6, 16, v6
	v_add_u32_e32 v7, 16, v7
	s_or_b64 s[10:11], vcc, s[10:11]
	s_waitcnt vmcnt(0) lgkmcnt(0)
	v_mul_f64 v[10:11], v[184:185], v[180:181]
	v_mul_f64 v[12:13], v[182:183], v[180:181]
	v_fma_f64 v[10:11], v[182:183], v[178:179], -v[10:11]
	v_fmac_f64_e32 v[12:13], v[184:185], v[178:179]
	v_add_f64 v[2:3], v[2:3], v[10:11]
	v_add_f64 v[4:5], v[4:5], v[12:13]
	s_andn2_b64 exec, exec, s[10:11]
	s_cbranch_execnz .LBB119_868
; %bb.869:
	s_or_b64 exec, exec, s[10:11]
.LBB119_870:
	s_or_b64 exec, exec, s[8:9]
	v_mov_b32_e32 v6, 0
	ds_read_b128 v[178:181], v6 offset:864
	s_waitcnt lgkmcnt(0)
	v_mul_f64 v[6:7], v[4:5], v[180:181]
	v_mul_f64 v[182:183], v[2:3], v[180:181]
	v_fma_f64 v[180:181], v[2:3], v[178:179], -v[6:7]
	v_fmac_f64_e32 v[182:183], v[4:5], v[178:179]
	scratch_store_dwordx4 off, v[180:183], off offset:864
.LBB119_871:
	s_or_b64 exec, exec, s[6:7]
	scratch_load_dwordx4 v[2:5], v1, off
	v_cmp_ne_u32_e32 vcc, 55, v0
                                        ; implicit-def: $vgpr6_vgpr7
                                        ; implicit-def: $vgpr177
	s_waitcnt vmcnt(0)
	ds_write_b128 v9, v[2:5]
	s_waitcnt lgkmcnt(0)
	; wave barrier
	s_waitcnt lgkmcnt(0)
	s_and_saveexec_b64 s[6:7], vcc
	s_cbranch_execz .LBB119_879
; %bb.872:
	ds_read_b128 v[2:5], v9
	s_and_b64 vcc, exec, s[0:1]
	s_cbranch_vccnz .LBB119_874
; %bb.873:
	scratch_load_dwordx4 v[6:9], v8, off
	s_waitcnt vmcnt(0) lgkmcnt(0)
	v_mul_f64 v[10:11], v[4:5], v[8:9]
	v_mul_f64 v[8:9], v[2:3], v[8:9]
	v_fmac_f64_e32 v[8:9], v[4:5], v[6:7]
	v_fma_f64 v[2:3], v[2:3], v[6:7], -v[10:11]
	v_mov_b64_e32 v[4:5], v[8:9]
.LBB119_874:
	s_and_saveexec_b64 s[0:1], s[2:3]
	s_cbranch_execz .LBB119_878
; %bb.875:
	v_mov_b32_e32 v7, 0
	v_add_u32_e32 v6, 0x390, v116
	v_add3_u32 v7, v116, v7, 24
	s_mov_b64 s[2:3], 0
.LBB119_876:                            ; =>This Inner Loop Header: Depth=1
	v_add_u32_e32 v8, -8, v7
	scratch_load_dwordx4 v[178:181], v8, off
	ds_read_b128 v[182:185], v6
	v_add_u32_e32 v0, 1, v0
	v_cmp_lt_u32_e32 vcc, 53, v0
	v_add_u32_e32 v6, 16, v6
	v_add_u32_e32 v7, 16, v7
	s_or_b64 s[2:3], vcc, s[2:3]
	s_waitcnt vmcnt(0) lgkmcnt(0)
	v_mul_f64 v[8:9], v[184:185], v[180:181]
	v_mul_f64 v[10:11], v[182:183], v[180:181]
	v_fma_f64 v[8:9], v[182:183], v[178:179], -v[8:9]
	v_fmac_f64_e32 v[10:11], v[184:185], v[178:179]
	v_add_f64 v[2:3], v[2:3], v[8:9]
	v_add_f64 v[4:5], v[4:5], v[10:11]
	s_andn2_b64 exec, exec, s[2:3]
	s_cbranch_execnz .LBB119_876
; %bb.877:
	s_or_b64 exec, exec, s[2:3]
.LBB119_878:
	s_or_b64 exec, exec, s[0:1]
	v_mov_b32_e32 v0, 0
	ds_read_b128 v[178:181], v0 offset:880
	v_mov_b32_e32 v0, 0
	v_add_u32_e32 v177, 0x378, v0
	s_or_b64 s[4:5], s[4:5], exec
	s_waitcnt lgkmcnt(0)
	v_mul_f64 v[8:9], v[4:5], v[180:181]
	v_mul_f64 v[6:7], v[2:3], v[180:181]
	v_fma_f64 v[2:3], v[2:3], v[178:179], -v[8:9]
	v_fmac_f64_e32 v[6:7], v[4:5], v[178:179]
	scratch_store_dwordx2 off, v[2:3], off offset:880
.LBB119_879:
	s_or_b64 exec, exec, s[6:7]
.LBB119_880:
	v_mov_b32_e32 v0, v14
	s_and_saveexec_b64 s[0:1], s[4:5]
	s_cbranch_execz .LBB119_882
; %bb.881:
	scratch_store_dwordx2 v177, v[6:7], off
.LBB119_882:
	s_or_b64 exec, exec, s[0:1]
	scratch_load_dwordx4 v[2:5], off, off
	scratch_load_dwordx4 v[6:9], v176, off
	s_nop 0
	scratch_load_dwordx4 v[176:179], v175, off
	scratch_load_dwordx4 v[180:183], v174, off
	scratch_load_dwordx4 v[184:187], v173, off
	s_nop 0
	scratch_load_dwordx4 v[172:175], v172, off
	s_nop 0
	scratch_load_dwordx4 v[188:191], v171, off
	scratch_load_dwordx4 v[192:195], v170, off
	scratch_load_dwordx4 v[196:199], v169, off
	s_nop 0
	;; [unrolled: 6-line block ×6, first 2 shown]
	scratch_load_dwordx4 v[152:155], v152, off
	s_nop 0
	scratch_load_dwordx4 v[248:251], v151, off
	scratch_load_dwordx4 v[252:255], v150, off
	s_waitcnt vmcnt(27)
	global_store_dwordx4 v[52:53], v[2:5], off
	scratch_load_dwordx4 v[2:5], v149, off
	s_nop 0
	scratch_load_dwordx4 v[148:151], v148, off
	s_waitcnt vmcnt(29)
	global_store_dwordx4 v[46:47], v[6:9], off
	scratch_load_dwordx4 v[6:9], v147, off
	s_nop 0
	;; [unrolled: 5-line block ×12, first 2 shown]
	scratch_load_dwordx4 v[204:207], v22, off
	v_accvgpr_read_b32 v23, a3
	v_accvgpr_read_b32 v22, a2
	s_waitcnt vmcnt(51)
	global_store_dwordx4 v[22:23], v[208:211], off
	scratch_load_dwordx4 v[208:211], v27, off
	s_nop 0
	scratch_load_dwordx4 v[22:25], v26, off
	v_accvgpr_read_b32 v27, a5
	v_accvgpr_read_b32 v26, a4
	s_waitcnt vmcnt(53)
	global_store_dwordx4 v[26:27], v[164:167], off
	scratch_load_dwordx4 v[164:167], v0, off
	s_nop 0
	scratch_load_dwordx4 v[26:29], v1, off
	v_accvgpr_read_b32 v0, a0
	v_accvgpr_read_b32 v1, a1
	s_waitcnt vmcnt(55)
	global_store_dwordx4 v[0:1], v[212:215], off
	v_accvgpr_read_b32 v0, a6
	v_accvgpr_read_b32 v1, a7
	s_waitcnt vmcnt(55)
	global_store_dwordx4 v[0:1], v[216:219], off
	;; [unrolled: 4-line block ×3, first 2 shown]
	s_waitcnt vmcnt(55)
	global_store_dwordx4 v[40:41], v[160:163], off
	s_waitcnt vmcnt(55)
	global_store_dwordx4 v[42:43], v[224:227], off
	;; [unrolled: 2-line block ×39, first 2 shown]
.LBB119_883:
	s_endpgm
	.section	.rodata,"a",@progbits
	.p2align	6, 0x0
	.amdhsa_kernel _ZN9rocsolver6v33100L18trti2_kernel_smallILi56E19rocblas_complex_numIdEPKPS3_EEv13rocblas_fill_17rocblas_diagonal_T1_iil
		.amdhsa_group_segment_fixed_size 1792
		.amdhsa_private_segment_fixed_size 912
		.amdhsa_kernarg_size 32
		.amdhsa_user_sgpr_count 2
		.amdhsa_user_sgpr_dispatch_ptr 0
		.amdhsa_user_sgpr_queue_ptr 0
		.amdhsa_user_sgpr_kernarg_segment_ptr 1
		.amdhsa_user_sgpr_dispatch_id 0
		.amdhsa_user_sgpr_kernarg_preload_length 0
		.amdhsa_user_sgpr_kernarg_preload_offset 0
		.amdhsa_user_sgpr_private_segment_size 0
		.amdhsa_uses_dynamic_stack 0
		.amdhsa_enable_private_segment 1
		.amdhsa_system_sgpr_workgroup_id_x 1
		.amdhsa_system_sgpr_workgroup_id_y 0
		.amdhsa_system_sgpr_workgroup_id_z 0
		.amdhsa_system_sgpr_workgroup_info 0
		.amdhsa_system_vgpr_workitem_id 0
		.amdhsa_next_free_vgpr 266
		.amdhsa_next_free_sgpr 12
		.amdhsa_accum_offset 256
		.amdhsa_reserve_vcc 1
		.amdhsa_float_round_mode_32 0
		.amdhsa_float_round_mode_16_64 0
		.amdhsa_float_denorm_mode_32 3
		.amdhsa_float_denorm_mode_16_64 3
		.amdhsa_dx10_clamp 1
		.amdhsa_ieee_mode 1
		.amdhsa_fp16_overflow 0
		.amdhsa_tg_split 0
		.amdhsa_exception_fp_ieee_invalid_op 0
		.amdhsa_exception_fp_denorm_src 0
		.amdhsa_exception_fp_ieee_div_zero 0
		.amdhsa_exception_fp_ieee_overflow 0
		.amdhsa_exception_fp_ieee_underflow 0
		.amdhsa_exception_fp_ieee_inexact 0
		.amdhsa_exception_int_div_zero 0
	.end_amdhsa_kernel
	.section	.text._ZN9rocsolver6v33100L18trti2_kernel_smallILi56E19rocblas_complex_numIdEPKPS3_EEv13rocblas_fill_17rocblas_diagonal_T1_iil,"axG",@progbits,_ZN9rocsolver6v33100L18trti2_kernel_smallILi56E19rocblas_complex_numIdEPKPS3_EEv13rocblas_fill_17rocblas_diagonal_T1_iil,comdat
.Lfunc_end119:
	.size	_ZN9rocsolver6v33100L18trti2_kernel_smallILi56E19rocblas_complex_numIdEPKPS3_EEv13rocblas_fill_17rocblas_diagonal_T1_iil, .Lfunc_end119-_ZN9rocsolver6v33100L18trti2_kernel_smallILi56E19rocblas_complex_numIdEPKPS3_EEv13rocblas_fill_17rocblas_diagonal_T1_iil
                                        ; -- End function
	.section	.AMDGPU.csdata,"",@progbits
; Kernel info:
; codeLenInByte = 37136
; NumSgprs: 18
; NumVgprs: 256
; NumAgprs: 10
; TotalNumVgprs: 266
; ScratchSize: 912
; MemoryBound: 0
; FloatMode: 240
; IeeeMode: 1
; LDSByteSize: 1792 bytes/workgroup (compile time only)
; SGPRBlocks: 2
; VGPRBlocks: 33
; NumSGPRsForWavesPerEU: 18
; NumVGPRsForWavesPerEU: 266
; AccumOffset: 256
; Occupancy: 1
; WaveLimiterHint : 1
; COMPUTE_PGM_RSRC2:SCRATCH_EN: 1
; COMPUTE_PGM_RSRC2:USER_SGPR: 2
; COMPUTE_PGM_RSRC2:TRAP_HANDLER: 0
; COMPUTE_PGM_RSRC2:TGID_X_EN: 1
; COMPUTE_PGM_RSRC2:TGID_Y_EN: 0
; COMPUTE_PGM_RSRC2:TGID_Z_EN: 0
; COMPUTE_PGM_RSRC2:TIDIG_COMP_CNT: 0
; COMPUTE_PGM_RSRC3_GFX90A:ACCUM_OFFSET: 63
; COMPUTE_PGM_RSRC3_GFX90A:TG_SPLIT: 0
	.section	.text._ZN9rocsolver6v33100L18trti2_kernel_smallILi57E19rocblas_complex_numIdEPKPS3_EEv13rocblas_fill_17rocblas_diagonal_T1_iil,"axG",@progbits,_ZN9rocsolver6v33100L18trti2_kernel_smallILi57E19rocblas_complex_numIdEPKPS3_EEv13rocblas_fill_17rocblas_diagonal_T1_iil,comdat
	.globl	_ZN9rocsolver6v33100L18trti2_kernel_smallILi57E19rocblas_complex_numIdEPKPS3_EEv13rocblas_fill_17rocblas_diagonal_T1_iil ; -- Begin function _ZN9rocsolver6v33100L18trti2_kernel_smallILi57E19rocblas_complex_numIdEPKPS3_EEv13rocblas_fill_17rocblas_diagonal_T1_iil
	.p2align	8
	.type	_ZN9rocsolver6v33100L18trti2_kernel_smallILi57E19rocblas_complex_numIdEPKPS3_EEv13rocblas_fill_17rocblas_diagonal_T1_iil,@function
_ZN9rocsolver6v33100L18trti2_kernel_smallILi57E19rocblas_complex_numIdEPKPS3_EEv13rocblas_fill_17rocblas_diagonal_T1_iil: ; @_ZN9rocsolver6v33100L18trti2_kernel_smallILi57E19rocblas_complex_numIdEPKPS3_EEv13rocblas_fill_17rocblas_diagonal_T1_iil
; %bb.0:
	v_cmp_gt_u32_e32 vcc, 57, v0
	s_and_saveexec_b64 s[4:5], vcc
	s_cbranch_execz .LBB120_899
; %bb.1:
	s_load_dwordx2 s[8:9], s[0:1], 0x10
	s_load_dwordx4 s[4:7], s[0:1], 0x0
	s_ashr_i32 s3, s2, 31
	s_lshl_b64 s[0:1], s[2:3], 3
	v_lshlrev_b32_e32 v64, 4, v0
	s_waitcnt lgkmcnt(0)
	s_ashr_i32 s3, s8, 31
	s_add_u32 s0, s6, s0
	s_addc_u32 s1, s7, s1
	s_load_dwordx2 s[0:1], s[0:1], 0x0
	s_mov_b32 s2, s8
	s_lshl_b64 s[2:3], s[2:3], 4
	v_mov_b32_e32 v65, 0
	v_mov_b32_e32 v1, 0
	s_waitcnt lgkmcnt(0)
	s_add_u32 s0, s0, s2
	s_addc_u32 s1, s1, s3
	v_lshl_add_u64 v[12:13], s[0:1], 0, v[64:65]
	s_ashr_i32 s3, s9, 31
	s_mov_b32 s2, s9
	v_lshl_add_u64 v[14:15], s[2:3], 4, v[12:13]
	s_add_i32 s2, s9, s9
	v_add_u32_e32 v10, s2, v0
	v_ashrrev_i32_e32 v11, 31, v10
	v_lshl_add_u64 v[16:17], v[10:11], 4, s[0:1]
	v_add_u32_e32 v10, s9, v10
	v_ashrrev_i32_e32 v11, 31, v10
	v_lshl_add_u64 v[18:19], v[10:11], 4, s[0:1]
	;; [unrolled: 3-line block ×6, first 2 shown]
	v_add_u32_e32 v10, s9, v10
	v_ashrrev_i32_e32 v11, 31, v10
	v_add_u32_e32 v30, s9, v10
	v_lshl_add_u64 v[28:29], v[10:11], 4, s[0:1]
	v_add_u32_e32 v10, s9, v30
	v_ashrrev_i32_e32 v11, 31, v10
	v_add_u32_e32 v34, s9, v10
	v_lshl_add_u64 v[32:33], v[10:11], 4, s[0:1]
	;; [unrolled: 4-line block ×3, first 2 shown]
	v_ashrrev_i32_e32 v41, 31, v40
	v_add_u32_e32 v10, s9, v40
	v_lshl_add_u64 v[38:39], v[40:41], 4, s[0:1]
	v_ashrrev_i32_e32 v11, 31, v10
	v_add_u32_e32 v40, s9, v10
	v_lshl_add_u64 v[42:43], v[10:11], 4, s[0:1]
	v_add_u32_e32 v10, s9, v40
	v_ashrrev_i32_e32 v41, 31, v40
	v_ashrrev_i32_e32 v11, 31, v10
	v_ashrrev_i32_e32 v31, 31, v30
	v_ashrrev_i32_e32 v35, 31, v34
	v_lshl_add_u64 v[254:255], v[40:41], 4, s[0:1]
	v_add_u32_e32 v40, s9, v10
	v_lshl_add_u64 v[10:11], v[10:11], 4, s[0:1]
	v_lshl_add_u64 v[30:31], v[30:31], 4, s[0:1]
	;; [unrolled: 1-line block ×3, first 2 shown]
	v_accvgpr_write_b32 a0, v10
	global_load_dwordx4 v[2:5], v64, s[0:1]
	global_load_dwordx4 v[6:9], v[14:15], off
	global_load_dwordx4 v[60:63], v[16:17], off
	;; [unrolled: 1-line block ×14, first 2 shown]
	v_ashrrev_i32_e32 v41, 31, v40
	global_load_dwordx4 v[114:117], v[254:255], off
	global_load_dwordx4 v[118:121], v[10:11], off
	v_accvgpr_write_b32 a1, v11
	v_add_u32_e32 v10, s9, v40
	v_lshl_add_u64 v[46:47], v[40:41], 4, s[0:1]
	v_ashrrev_i32_e32 v11, 31, v10
	v_add_u32_e32 v40, s9, v10
	v_lshl_add_u64 v[48:49], v[10:11], 4, s[0:1]
	v_add_u32_e32 v10, s9, v40
	v_ashrrev_i32_e32 v11, 31, v10
	v_lshl_add_u64 v[52:53], v[10:11], 4, s[0:1]
	v_add_u32_e32 v10, s9, v10
	v_ashrrev_i32_e32 v11, 31, v10
	v_ashrrev_i32_e32 v41, 31, v40
	v_lshl_add_u64 v[54:55], v[10:11], 4, s[0:1]
	v_add_u32_e32 v10, s9, v10
	v_lshl_add_u64 v[50:51], v[40:41], 4, s[0:1]
	v_ashrrev_i32_e32 v11, 31, v10
	global_load_dwordx4 v[122:125], v[46:47], off
	global_load_dwordx4 v[126:129], v[48:49], off
	global_load_dwordx4 v[130:133], v[50:51], off
	global_load_dwordx4 v[134:137], v[52:53], off
	v_lshl_add_u64 v[56:57], v[10:11], 4, s[0:1]
	global_load_dwordx4 v[138:141], v[54:55], off
	global_load_dwordx4 v[142:145], v[56:57], off
	v_add_u32_e32 v10, s9, v10
	v_ashrrev_i32_e32 v11, 31, v10
	v_lshl_add_u64 v[58:59], v[10:11], 4, s[0:1]
	global_load_dwordx4 v[146:149], v[58:59], off
	s_cmpk_lg_i32 s5, 0x84
	s_cselect_b64 s[6:7], -1, 0
	s_cmpk_eq_i32 s5, 0x84
	s_waitcnt vmcnt(23)
	scratch_store_dwordx4 off, v[2:5], off
	s_waitcnt vmcnt(23)
	scratch_store_dwordx4 off, v[6:9], off offset:16
	s_waitcnt vmcnt(23)
	scratch_store_dwordx4 off, v[60:63], off offset:32
	s_waitcnt vmcnt(23)
	scratch_store_dwordx4 off, v[66:69], off offset:48
	s_waitcnt vmcnt(23)
	scratch_store_dwordx4 off, v[70:73], off offset:64
	s_waitcnt vmcnt(23)
	scratch_store_dwordx4 off, v[74:77], off offset:80
	s_waitcnt vmcnt(23)
	scratch_store_dwordx4 off, v[78:81], off offset:96
	s_waitcnt vmcnt(23)
	scratch_store_dwordx4 off, v[82:85], off offset:112
	s_waitcnt vmcnt(23)
	scratch_store_dwordx4 off, v[86:89], off offset:128
	s_waitcnt vmcnt(23)
	scratch_store_dwordx4 off, v[90:93], off offset:144
	s_waitcnt vmcnt(23)
	scratch_store_dwordx4 off, v[94:97], off offset:160
	s_waitcnt vmcnt(23)
	scratch_store_dwordx4 off, v[98:101], off offset:176
	s_waitcnt vmcnt(23)
	scratch_store_dwordx4 off, v[102:105], off offset:192
	s_waitcnt vmcnt(23)
	scratch_store_dwordx4 off, v[106:109], off offset:208
	s_waitcnt vmcnt(23)
	scratch_store_dwordx4 off, v[110:113], off offset:224
	s_waitcnt vmcnt(23)
	scratch_store_dwordx4 off, v[114:117], off offset:240
	s_waitcnt vmcnt(23)
	scratch_store_dwordx4 off, v[118:121], off offset:256
	s_waitcnt vmcnt(23)
	scratch_store_dwordx4 off, v[122:125], off offset:272
	s_waitcnt vmcnt(23)
	scratch_store_dwordx4 off, v[126:129], off offset:288
	s_waitcnt vmcnt(23)
	scratch_store_dwordx4 off, v[130:133], off offset:304
	s_waitcnt vmcnt(23)
	scratch_store_dwordx4 off, v[134:137], off offset:320
	s_waitcnt vmcnt(23)
	scratch_store_dwordx4 off, v[138:141], off offset:336
	s_waitcnt vmcnt(23)
	scratch_store_dwordx4 off, v[142:145], off offset:352
	v_add_u32_e32 v6, s9, v10
	v_ashrrev_i32_e32 v7, 31, v6
	v_lshl_add_u64 v[60:61], v[6:7], 4, s[0:1]
	v_add_u32_e32 v6, s9, v6
	v_add_u32_e32 v10, s9, v6
	v_ashrrev_i32_e32 v11, 31, v10
	v_lshl_add_u64 v[66:67], v[10:11], 4, s[0:1]
	v_add_u32_e32 v10, s9, v10
	v_ashrrev_i32_e32 v11, 31, v10
	v_lshl_add_u64 v[68:69], v[10:11], 4, s[0:1]
	;; [unrolled: 3-line block ×29, first 2 shown]
	v_add_u32_e32 v10, s9, v10
	v_ashrrev_i32_e32 v11, 31, v10
	v_ashrrev_i32_e32 v7, 31, v6
	v_lshl_add_u64 v[124:125], v[10:11], 4, s[0:1]
	v_add_u32_e32 v10, s9, v10
	s_waitcnt vmcnt(23)
	scratch_store_dwordx4 off, v[146:149], off offset:368
	v_lshl_add_u64 v[62:63], v[6:7], 4, s[0:1]
	v_ashrrev_i32_e32 v11, 31, v10
	global_load_dwordx4 v[2:5], v[60:61], off
	global_load_dwordx4 v[6:9], v[62:63], off
	;; [unrolled: 1-line block ×31, first 2 shown]
	v_lshl_add_u64 v[126:127], v[10:11], 4, s[0:1]
	global_load_dwordx4 v[244:247], v[124:125], off
	global_load_dwordx4 v[248:251], v[126:127], off
	s_waitcnt vmcnt(32)
	scratch_store_dwordx4 off, v[2:5], off offset:384
	s_waitcnt vmcnt(32)
	scratch_store_dwordx4 off, v[6:9], off offset:400
	;; [unrolled: 2-line block ×33, first 2 shown]
	s_cbranch_scc1 .LBB120_7
; %bb.2:
	scratch_load_dwordx4 v[8:11], v64, off
                                        ; implicit-def: $vgpr6_vgpr7
	s_waitcnt vmcnt(0)
	v_xor_b32_e32 v3, 0x80000000, v9
	v_cmp_gt_f64_e32 vcc, 0, v[8:9]
	v_xor_b32_e32 v4, 0x80000000, v11
	v_mov_b32_e32 v2, v8
	v_cndmask_b32_e32 v3, v9, v3, vcc
	v_cmp_gt_f64_e32 vcc, 0, v[10:11]
	s_nop 1
	v_cndmask_b32_e32 v5, v11, v4, vcc
	v_mov_b32_e32 v4, v10
	v_cmp_ngt_f64_e32 vcc, v[2:3], v[4:5]
                                        ; implicit-def: $vgpr2_vgpr3
	s_and_saveexec_b64 s[0:1], vcc
	s_xor_b64 s[0:1], exec, s[0:1]
	s_cbranch_execz .LBB120_4
; %bb.3:
	v_div_scale_f64 v[2:3], s[2:3], v[10:11], v[10:11], v[8:9]
	v_rcp_f64_e32 v[4:5], v[2:3]
	v_div_scale_f64 v[6:7], vcc, v[8:9], v[10:11], v[8:9]
	v_fma_f64 v[40:41], -v[2:3], v[4:5], 1.0
	v_fmac_f64_e32 v[4:5], v[4:5], v[40:41]
	v_fma_f64 v[40:41], -v[2:3], v[4:5], 1.0
	v_fmac_f64_e32 v[4:5], v[4:5], v[40:41]
	v_mul_f64 v[40:41], v[6:7], v[4:5]
	v_fma_f64 v[2:3], -v[2:3], v[40:41], v[6:7]
	v_div_fmas_f64 v[2:3], v[2:3], v[4:5], v[40:41]
	v_div_fixup_f64 v[2:3], v[2:3], v[10:11], v[8:9]
	v_fmac_f64_e32 v[10:11], v[8:9], v[2:3]
	v_div_scale_f64 v[4:5], s[2:3], v[10:11], v[10:11], 1.0
	v_rcp_f64_e32 v[6:7], v[4:5]
	s_nop 0
	v_fma_f64 v[8:9], -v[4:5], v[6:7], 1.0
	v_fmac_f64_e32 v[6:7], v[6:7], v[8:9]
	v_fma_f64 v[8:9], -v[4:5], v[6:7], 1.0
	v_fmac_f64_e32 v[6:7], v[6:7], v[8:9]
	v_div_scale_f64 v[8:9], vcc, 1.0, v[10:11], 1.0
	v_mul_f64 v[40:41], v[8:9], v[6:7]
	v_fma_f64 v[4:5], -v[4:5], v[40:41], v[8:9]
                                        ; implicit-def: $vgpr8_vgpr9
	s_nop 1
	v_div_fmas_f64 v[4:5], v[4:5], v[6:7], v[40:41]
	v_div_fixup_f64 v[4:5], v[4:5], v[10:11], 1.0
	v_mul_f64 v[2:3], v[2:3], v[4:5]
	v_xor_b32_e32 v5, 0x80000000, v5
	v_xor_b32_e32 v7, 0x80000000, v3
	v_mov_b32_e32 v6, v2
.LBB120_4:
	s_or_saveexec_b64 s[0:1], s[0:1]
	v_add_u32_e32 v65, 0, v64
	s_xor_b64 exec, exec, s[0:1]
	s_cbranch_execz .LBB120_6
; %bb.5:
	v_div_scale_f64 v[2:3], s[2:3], v[8:9], v[8:9], v[10:11]
	v_rcp_f64_e32 v[4:5], v[2:3]
	v_div_scale_f64 v[6:7], vcc, v[10:11], v[8:9], v[10:11]
	v_fma_f64 v[40:41], -v[2:3], v[4:5], 1.0
	v_fmac_f64_e32 v[4:5], v[4:5], v[40:41]
	v_fma_f64 v[40:41], -v[2:3], v[4:5], 1.0
	v_fmac_f64_e32 v[4:5], v[4:5], v[40:41]
	v_mul_f64 v[40:41], v[6:7], v[4:5]
	v_fma_f64 v[2:3], -v[2:3], v[40:41], v[6:7]
	v_div_fmas_f64 v[2:3], v[2:3], v[4:5], v[40:41]
	v_div_fixup_f64 v[4:5], v[2:3], v[8:9], v[10:11]
	v_fmac_f64_e32 v[8:9], v[10:11], v[4:5]
	v_div_scale_f64 v[2:3], s[2:3], v[8:9], v[8:9], 1.0
	v_rcp_f64_e32 v[6:7], v[2:3]
	s_nop 0
	v_fma_f64 v[10:11], -v[2:3], v[6:7], 1.0
	v_fmac_f64_e32 v[6:7], v[6:7], v[10:11]
	v_fma_f64 v[10:11], -v[2:3], v[6:7], 1.0
	v_fmac_f64_e32 v[6:7], v[6:7], v[10:11]
	v_div_scale_f64 v[10:11], vcc, 1.0, v[8:9], 1.0
	v_mul_f64 v[40:41], v[10:11], v[6:7]
	v_fma_f64 v[2:3], -v[2:3], v[40:41], v[10:11]
	s_nop 1
	v_div_fmas_f64 v[2:3], v[2:3], v[6:7], v[40:41]
	v_div_fixup_f64 v[2:3], v[2:3], v[8:9], 1.0
	v_xor_b32_e32 v7, 0x80000000, v3
	v_mov_b32_e32 v6, v2
	v_mul_f64 v[4:5], v[4:5], -v[2:3]
.LBB120_6:
	s_or_b64 exec, exec, s[0:1]
	scratch_store_dwordx4 v65, v[2:5], off
	s_nop 1
	v_xor_b32_e32 v5, 0x80000000, v5
	s_branch .LBB120_8
.LBB120_7:
	v_mov_b64_e32 v[4:5], 0
	v_mov_b64_e32 v[6:7], -1.0
.LBB120_8:
	v_mov_b32_e32 v8, v4
	v_mov_b32_e32 v9, v5
	v_add_u32_e32 v179, 16, v1
	v_add_u32_e32 v178, 32, v1
	;; [unrolled: 1-line block ×56, first 2 shown]
	ds_write_b128 v64, v[6:9]
	s_cmpk_eq_i32 s4, 0x79
	v_add_u32_e32 v9, 0x390, v64
	v_add_u32_e32 v8, 0, v64
	s_cbranch_scc1 .LBB120_452
; %bb.9:
	scratch_load_dwordx4 v[2:5], v41, off
	v_cmp_eq_u32_e64 s[0:1], 56, v0
	s_waitcnt vmcnt(0)
	ds_write_b128 v9, v[2:5]
	s_waitcnt lgkmcnt(0)
	; wave barrier
	s_waitcnt lgkmcnt(0)
	s_and_saveexec_b64 s[2:3], s[0:1]
	s_cbranch_execz .LBB120_13
; %bb.10:
	ds_read_b128 v[2:5], v9
	s_andn2_b64 vcc, exec, s[6:7]
	s_cbranch_vccnz .LBB120_12
; %bb.11:
	scratch_load_dwordx4 v[180:183], v8, off
	s_waitcnt vmcnt(0) lgkmcnt(0)
	v_mul_f64 v[10:11], v[2:3], v[182:183]
	v_mul_f64 v[6:7], v[4:5], v[182:183]
	v_fmac_f64_e32 v[10:11], v[4:5], v[180:181]
	v_fma_f64 v[2:3], v[2:3], v[180:181], -v[6:7]
	v_mov_b64_e32 v[4:5], v[10:11]
.LBB120_12:
	v_mov_b32_e32 v6, 0
	ds_read_b128 v[180:183], v6 offset:880
	s_waitcnt lgkmcnt(0)
	v_mul_f64 v[6:7], v[4:5], v[182:183]
	v_mul_f64 v[184:185], v[2:3], v[182:183]
	v_fma_f64 v[182:183], v[2:3], v[180:181], -v[6:7]
	v_fmac_f64_e32 v[184:185], v[4:5], v[180:181]
	scratch_store_dwordx4 off, v[182:185], off offset:880
.LBB120_13:
	s_or_b64 exec, exec, s[2:3]
	scratch_load_dwordx4 v[2:5], v40, off
	v_cmp_lt_u32_e64 s[2:3], 54, v0
	s_waitcnt vmcnt(0)
	ds_write_b128 v9, v[2:5]
	s_waitcnt lgkmcnt(0)
	; wave barrier
	s_waitcnt lgkmcnt(0)
	s_and_saveexec_b64 s[4:5], s[2:3]
	s_cbranch_execz .LBB120_19
; %bb.14:
	ds_read_b128 v[2:5], v9
	s_andn2_b64 vcc, exec, s[6:7]
	s_cbranch_vccnz .LBB120_16
; %bb.15:
	scratch_load_dwordx4 v[180:183], v8, off
	s_waitcnt vmcnt(0) lgkmcnt(0)
	v_mul_f64 v[10:11], v[2:3], v[182:183]
	v_mul_f64 v[6:7], v[4:5], v[182:183]
	v_fmac_f64_e32 v[10:11], v[4:5], v[180:181]
	v_fma_f64 v[2:3], v[2:3], v[180:181], -v[6:7]
	v_mov_b64_e32 v[4:5], v[10:11]
.LBB120_16:
	s_and_saveexec_b64 s[8:9], s[0:1]
	s_cbranch_execz .LBB120_18
; %bb.17:
	scratch_load_dwordx4 v[180:183], off, off offset:880
	v_mov_b32_e32 v6, 0
	ds_read_b128 v[184:187], v6 offset:1792
	s_waitcnt vmcnt(0) lgkmcnt(0)
	v_mul_f64 v[6:7], v[184:185], v[182:183]
	v_mul_f64 v[10:11], v[186:187], v[182:183]
	v_fmac_f64_e32 v[6:7], v[186:187], v[180:181]
	v_fma_f64 v[10:11], v[184:185], v[180:181], -v[10:11]
	v_add_f64 v[4:5], v[4:5], v[6:7]
	v_add_f64 v[2:3], v[2:3], v[10:11]
.LBB120_18:
	s_or_b64 exec, exec, s[8:9]
	v_mov_b32_e32 v6, 0
	ds_read_b128 v[180:183], v6 offset:864
	s_waitcnt lgkmcnt(0)
	v_mul_f64 v[6:7], v[4:5], v[182:183]
	v_mul_f64 v[184:185], v[2:3], v[182:183]
	v_fma_f64 v[182:183], v[2:3], v[180:181], -v[6:7]
	v_fmac_f64_e32 v[184:185], v[4:5], v[180:181]
	scratch_store_dwordx4 off, v[182:185], off offset:864
.LBB120_19:
	s_or_b64 exec, exec, s[4:5]
	scratch_load_dwordx4 v[2:5], v65, off
	v_cmp_lt_u32_e64 s[0:1], 53, v0
	s_waitcnt vmcnt(0)
	ds_write_b128 v9, v[2:5]
	s_waitcnt lgkmcnt(0)
	; wave barrier
	s_waitcnt lgkmcnt(0)
	s_and_saveexec_b64 s[4:5], s[0:1]
	s_cbranch_execz .LBB120_27
; %bb.20:
	ds_read_b128 v[2:5], v9
	s_andn2_b64 vcc, exec, s[6:7]
	s_cbranch_vccnz .LBB120_22
; %bb.21:
	scratch_load_dwordx4 v[180:183], v8, off
	s_waitcnt vmcnt(0) lgkmcnt(0)
	v_mul_f64 v[10:11], v[2:3], v[182:183]
	v_mul_f64 v[6:7], v[4:5], v[182:183]
	v_fmac_f64_e32 v[10:11], v[4:5], v[180:181]
	v_fma_f64 v[2:3], v[2:3], v[180:181], -v[6:7]
	v_mov_b64_e32 v[4:5], v[10:11]
.LBB120_22:
	s_and_saveexec_b64 s[8:9], s[2:3]
	s_cbranch_execz .LBB120_26
; %bb.23:
	v_mov_b32_e32 v7, 0
	v_subrev_u32_e32 v6, 54, v0
	v_add_u32_e32 v7, 0x368, v7
	s_movk_i32 s10, 0x6f0
	s_mov_b64 s[2:3], 0
.LBB120_24:                             ; =>This Inner Loop Header: Depth=1
	v_add_u32_e32 v10, -8, v7
	scratch_load_dwordx4 v[180:183], v10, off
	v_mov_b32_e32 v10, s10
	ds_read_b128 v[184:187], v10
	v_add_u32_e32 v6, -1, v6
	s_add_i32 s10, s10, 16
	v_cmp_eq_u32_e32 vcc, 0, v6
	v_add_u32_e32 v7, 16, v7
	s_or_b64 s[2:3], vcc, s[2:3]
	s_waitcnt vmcnt(0) lgkmcnt(0)
	v_mul_f64 v[10:11], v[186:187], v[182:183]
	v_mul_f64 v[44:45], v[184:185], v[182:183]
	v_fma_f64 v[10:11], v[184:185], v[180:181], -v[10:11]
	v_fmac_f64_e32 v[44:45], v[186:187], v[180:181]
	v_add_f64 v[2:3], v[2:3], v[10:11]
	v_add_f64 v[4:5], v[4:5], v[44:45]
	s_andn2_b64 exec, exec, s[2:3]
	s_cbranch_execnz .LBB120_24
; %bb.25:
	s_or_b64 exec, exec, s[2:3]
.LBB120_26:
	s_or_b64 exec, exec, s[8:9]
	v_mov_b32_e32 v6, 0
	ds_read_b128 v[180:183], v6 offset:848
	s_waitcnt lgkmcnt(0)
	v_mul_f64 v[6:7], v[4:5], v[182:183]
	v_mul_f64 v[184:185], v[2:3], v[182:183]
	v_fma_f64 v[182:183], v[2:3], v[180:181], -v[6:7]
	v_fmac_f64_e32 v[184:185], v[4:5], v[180:181]
	scratch_store_dwordx4 off, v[182:185], off offset:848
.LBB120_27:
	s_or_b64 exec, exec, s[4:5]
	scratch_load_dwordx4 v[2:5], v128, off
	v_cmp_lt_u32_e64 s[2:3], 52, v0
	s_waitcnt vmcnt(0)
	ds_write_b128 v9, v[2:5]
	s_waitcnt lgkmcnt(0)
	; wave barrier
	s_waitcnt lgkmcnt(0)
	s_and_saveexec_b64 s[4:5], s[2:3]
	s_cbranch_execz .LBB120_35
; %bb.28:
	ds_read_b128 v[2:5], v9
	s_andn2_b64 vcc, exec, s[6:7]
	s_cbranch_vccnz .LBB120_30
; %bb.29:
	scratch_load_dwordx4 v[180:183], v8, off
	s_waitcnt vmcnt(0) lgkmcnt(0)
	v_mul_f64 v[10:11], v[2:3], v[182:183]
	v_mul_f64 v[6:7], v[4:5], v[182:183]
	v_fmac_f64_e32 v[10:11], v[4:5], v[180:181]
	v_fma_f64 v[2:3], v[2:3], v[180:181], -v[6:7]
	v_mov_b64_e32 v[4:5], v[10:11]
.LBB120_30:
	s_and_saveexec_b64 s[8:9], s[0:1]
	s_cbranch_execz .LBB120_34
; %bb.31:
	v_mov_b32_e32 v7, 0
	v_subrev_u32_e32 v6, 53, v0
	v_add_u32_e32 v7, 0x358, v7
	s_movk_i32 s10, 0x6e0
	s_mov_b64 s[0:1], 0
.LBB120_32:                             ; =>This Inner Loop Header: Depth=1
	v_add_u32_e32 v10, -8, v7
	scratch_load_dwordx4 v[180:183], v10, off
	v_mov_b32_e32 v10, s10
	ds_read_b128 v[184:187], v10
	v_add_u32_e32 v6, -1, v6
	s_add_i32 s10, s10, 16
	v_cmp_eq_u32_e32 vcc, 0, v6
	v_add_u32_e32 v7, 16, v7
	s_or_b64 s[0:1], vcc, s[0:1]
	s_waitcnt vmcnt(0) lgkmcnt(0)
	v_mul_f64 v[10:11], v[186:187], v[182:183]
	v_mul_f64 v[44:45], v[184:185], v[182:183]
	v_fma_f64 v[10:11], v[184:185], v[180:181], -v[10:11]
	v_fmac_f64_e32 v[44:45], v[186:187], v[180:181]
	v_add_f64 v[2:3], v[2:3], v[10:11]
	v_add_f64 v[4:5], v[4:5], v[44:45]
	s_andn2_b64 exec, exec, s[0:1]
	s_cbranch_execnz .LBB120_32
; %bb.33:
	s_or_b64 exec, exec, s[0:1]
.LBB120_34:
	s_or_b64 exec, exec, s[8:9]
	v_mov_b32_e32 v6, 0
	ds_read_b128 v[180:183], v6 offset:832
	s_waitcnt lgkmcnt(0)
	v_mul_f64 v[6:7], v[4:5], v[182:183]
	v_mul_f64 v[184:185], v[2:3], v[182:183]
	v_fma_f64 v[182:183], v[2:3], v[180:181], -v[6:7]
	v_fmac_f64_e32 v[184:185], v[4:5], v[180:181]
	scratch_store_dwordx4 off, v[182:185], off offset:832
.LBB120_35:
	;; [unrolled: 63-line block ×10, first 2 shown]
	s_or_b64 exec, exec, s[4:5]
	scratch_load_dwordx4 v[2:5], v137, off
	v_cmp_lt_u32_e64 s[0:1], 43, v0
	s_waitcnt vmcnt(0)
	ds_write_b128 v9, v[2:5]
	s_waitcnt lgkmcnt(0)
	; wave barrier
	s_waitcnt lgkmcnt(0)
	s_and_saveexec_b64 s[4:5], s[0:1]
	s_cbranch_execz .LBB120_107
; %bb.100:
	ds_read_b128 v[2:5], v9
	s_andn2_b64 vcc, exec, s[6:7]
	s_cbranch_vccnz .LBB120_102
; %bb.101:
	scratch_load_dwordx4 v[180:183], v8, off
	s_waitcnt vmcnt(0) lgkmcnt(0)
	v_mul_f64 v[10:11], v[2:3], v[182:183]
	v_mul_f64 v[6:7], v[4:5], v[182:183]
	v_fmac_f64_e32 v[10:11], v[4:5], v[180:181]
	v_fma_f64 v[2:3], v[2:3], v[180:181], -v[6:7]
	v_mov_b64_e32 v[4:5], v[10:11]
.LBB120_102:
	s_and_saveexec_b64 s[8:9], s[2:3]
	s_cbranch_execz .LBB120_106
; %bb.103:
	v_mov_b32_e32 v7, 0
	v_subrev_u32_e32 v6, 44, v0
	v_add_u32_e32 v7, 0x2c8, v7
	s_movk_i32 s10, 0x650
	s_mov_b64 s[2:3], 0
.LBB120_104:                            ; =>This Inner Loop Header: Depth=1
	v_add_u32_e32 v10, -8, v7
	scratch_load_dwordx4 v[180:183], v10, off
	v_mov_b32_e32 v10, s10
	ds_read_b128 v[184:187], v10
	v_add_u32_e32 v6, -1, v6
	s_add_i32 s10, s10, 16
	v_cmp_eq_u32_e32 vcc, 0, v6
	v_add_u32_e32 v7, 16, v7
	s_or_b64 s[2:3], vcc, s[2:3]
	s_waitcnt vmcnt(0) lgkmcnt(0)
	v_mul_f64 v[10:11], v[186:187], v[182:183]
	v_mul_f64 v[44:45], v[184:185], v[182:183]
	v_fma_f64 v[10:11], v[184:185], v[180:181], -v[10:11]
	v_fmac_f64_e32 v[44:45], v[186:187], v[180:181]
	v_add_f64 v[2:3], v[2:3], v[10:11]
	v_add_f64 v[4:5], v[4:5], v[44:45]
	s_andn2_b64 exec, exec, s[2:3]
	s_cbranch_execnz .LBB120_104
; %bb.105:
	s_or_b64 exec, exec, s[2:3]
.LBB120_106:
	s_or_b64 exec, exec, s[8:9]
	v_mov_b32_e32 v6, 0
	ds_read_b128 v[180:183], v6 offset:688
	s_waitcnt lgkmcnt(0)
	v_mul_f64 v[6:7], v[4:5], v[182:183]
	v_mul_f64 v[184:185], v[2:3], v[182:183]
	v_fma_f64 v[182:183], v[2:3], v[180:181], -v[6:7]
	v_fmac_f64_e32 v[184:185], v[4:5], v[180:181]
	scratch_store_dwordx4 off, v[182:185], off offset:688
.LBB120_107:
	s_or_b64 exec, exec, s[4:5]
	scratch_load_dwordx4 v[2:5], v138, off
	v_cmp_lt_u32_e64 s[2:3], 42, v0
	s_waitcnt vmcnt(0)
	ds_write_b128 v9, v[2:5]
	s_waitcnt lgkmcnt(0)
	; wave barrier
	s_waitcnt lgkmcnt(0)
	s_and_saveexec_b64 s[4:5], s[2:3]
	s_cbranch_execz .LBB120_115
; %bb.108:
	ds_read_b128 v[2:5], v9
	s_andn2_b64 vcc, exec, s[6:7]
	s_cbranch_vccnz .LBB120_110
; %bb.109:
	scratch_load_dwordx4 v[180:183], v8, off
	s_waitcnt vmcnt(0) lgkmcnt(0)
	v_mul_f64 v[10:11], v[2:3], v[182:183]
	v_mul_f64 v[6:7], v[4:5], v[182:183]
	v_fmac_f64_e32 v[10:11], v[4:5], v[180:181]
	v_fma_f64 v[2:3], v[2:3], v[180:181], -v[6:7]
	v_mov_b64_e32 v[4:5], v[10:11]
.LBB120_110:
	s_and_saveexec_b64 s[8:9], s[0:1]
	s_cbranch_execz .LBB120_114
; %bb.111:
	v_mov_b32_e32 v7, 0
	v_subrev_u32_e32 v6, 43, v0
	v_add_u32_e32 v7, 0x2b8, v7
	s_movk_i32 s10, 0x640
	s_mov_b64 s[0:1], 0
.LBB120_112:                            ; =>This Inner Loop Header: Depth=1
	v_add_u32_e32 v10, -8, v7
	scratch_load_dwordx4 v[180:183], v10, off
	v_mov_b32_e32 v10, s10
	ds_read_b128 v[184:187], v10
	v_add_u32_e32 v6, -1, v6
	s_add_i32 s10, s10, 16
	v_cmp_eq_u32_e32 vcc, 0, v6
	v_add_u32_e32 v7, 16, v7
	s_or_b64 s[0:1], vcc, s[0:1]
	s_waitcnt vmcnt(0) lgkmcnt(0)
	v_mul_f64 v[10:11], v[186:187], v[182:183]
	v_mul_f64 v[44:45], v[184:185], v[182:183]
	v_fma_f64 v[10:11], v[184:185], v[180:181], -v[10:11]
	v_fmac_f64_e32 v[44:45], v[186:187], v[180:181]
	v_add_f64 v[2:3], v[2:3], v[10:11]
	v_add_f64 v[4:5], v[4:5], v[44:45]
	s_andn2_b64 exec, exec, s[0:1]
	s_cbranch_execnz .LBB120_112
; %bb.113:
	s_or_b64 exec, exec, s[0:1]
.LBB120_114:
	s_or_b64 exec, exec, s[8:9]
	v_mov_b32_e32 v6, 0
	ds_read_b128 v[180:183], v6 offset:672
	s_waitcnt lgkmcnt(0)
	v_mul_f64 v[6:7], v[4:5], v[182:183]
	v_mul_f64 v[184:185], v[2:3], v[182:183]
	v_fma_f64 v[182:183], v[2:3], v[180:181], -v[6:7]
	v_fmac_f64_e32 v[184:185], v[4:5], v[180:181]
	scratch_store_dwordx4 off, v[182:185], off offset:672
.LBB120_115:
	;; [unrolled: 63-line block ×28, first 2 shown]
	s_or_b64 exec, exec, s[4:5]
	scratch_load_dwordx4 v[2:5], v165, off
	v_cmp_lt_u32_e64 s[0:1], 15, v0
	s_waitcnt vmcnt(0)
	ds_write_b128 v9, v[2:5]
	s_waitcnt lgkmcnt(0)
	; wave barrier
	s_waitcnt lgkmcnt(0)
	s_and_saveexec_b64 s[4:5], s[0:1]
	s_cbranch_execz .LBB120_331
; %bb.324:
	ds_read_b128 v[2:5], v9
	s_andn2_b64 vcc, exec, s[6:7]
	s_cbranch_vccnz .LBB120_326
; %bb.325:
	scratch_load_dwordx4 v[180:183], v8, off
	s_waitcnt vmcnt(0) lgkmcnt(0)
	v_mul_f64 v[10:11], v[2:3], v[182:183]
	v_mul_f64 v[6:7], v[4:5], v[182:183]
	v_fmac_f64_e32 v[10:11], v[4:5], v[180:181]
	v_fma_f64 v[2:3], v[2:3], v[180:181], -v[6:7]
	v_mov_b64_e32 v[4:5], v[10:11]
.LBB120_326:
	s_and_saveexec_b64 s[8:9], s[2:3]
	s_cbranch_execz .LBB120_330
; %bb.327:
	v_mov_b32_e32 v7, 0
	v_add_u32_e32 v6, -16, v0
	v_add_u32_e32 v7, 0x108, v7
	s_movk_i32 s10, 0x490
	s_mov_b64 s[2:3], 0
.LBB120_328:                            ; =>This Inner Loop Header: Depth=1
	v_add_u32_e32 v10, -8, v7
	scratch_load_dwordx4 v[180:183], v10, off
	v_mov_b32_e32 v10, s10
	ds_read_b128 v[184:187], v10
	v_add_u32_e32 v6, -1, v6
	s_add_i32 s10, s10, 16
	v_cmp_eq_u32_e32 vcc, 0, v6
	v_add_u32_e32 v7, 16, v7
	s_or_b64 s[2:3], vcc, s[2:3]
	s_waitcnt vmcnt(0) lgkmcnt(0)
	v_mul_f64 v[10:11], v[186:187], v[182:183]
	v_mul_f64 v[44:45], v[184:185], v[182:183]
	v_fma_f64 v[10:11], v[184:185], v[180:181], -v[10:11]
	v_fmac_f64_e32 v[44:45], v[186:187], v[180:181]
	v_add_f64 v[2:3], v[2:3], v[10:11]
	v_add_f64 v[4:5], v[4:5], v[44:45]
	s_andn2_b64 exec, exec, s[2:3]
	s_cbranch_execnz .LBB120_328
; %bb.329:
	s_or_b64 exec, exec, s[2:3]
.LBB120_330:
	s_or_b64 exec, exec, s[8:9]
	v_mov_b32_e32 v6, 0
	ds_read_b128 v[180:183], v6 offset:240
	s_waitcnt lgkmcnt(0)
	v_mul_f64 v[6:7], v[4:5], v[182:183]
	v_mul_f64 v[184:185], v[2:3], v[182:183]
	v_fma_f64 v[182:183], v[2:3], v[180:181], -v[6:7]
	v_fmac_f64_e32 v[184:185], v[4:5], v[180:181]
	scratch_store_dwordx4 off, v[182:185], off offset:240
.LBB120_331:
	s_or_b64 exec, exec, s[4:5]
	scratch_load_dwordx4 v[2:5], v166, off
	v_cmp_lt_u32_e64 s[2:3], 14, v0
	s_waitcnt vmcnt(0)
	ds_write_b128 v9, v[2:5]
	s_waitcnt lgkmcnt(0)
	; wave barrier
	s_waitcnt lgkmcnt(0)
	s_and_saveexec_b64 s[4:5], s[2:3]
	s_cbranch_execz .LBB120_339
; %bb.332:
	ds_read_b128 v[2:5], v9
	s_andn2_b64 vcc, exec, s[6:7]
	s_cbranch_vccnz .LBB120_334
; %bb.333:
	scratch_load_dwordx4 v[180:183], v8, off
	s_waitcnt vmcnt(0) lgkmcnt(0)
	v_mul_f64 v[10:11], v[2:3], v[182:183]
	v_mul_f64 v[6:7], v[4:5], v[182:183]
	v_fmac_f64_e32 v[10:11], v[4:5], v[180:181]
	v_fma_f64 v[2:3], v[2:3], v[180:181], -v[6:7]
	v_mov_b64_e32 v[4:5], v[10:11]
.LBB120_334:
	s_and_saveexec_b64 s[8:9], s[0:1]
	s_cbranch_execz .LBB120_338
; %bb.335:
	v_mov_b32_e32 v7, 0
	v_add_u32_e32 v6, -15, v0
	v_add_u32_e32 v7, 0xf8, v7
	s_movk_i32 s10, 0x480
	s_mov_b64 s[0:1], 0
.LBB120_336:                            ; =>This Inner Loop Header: Depth=1
	v_add_u32_e32 v10, -8, v7
	scratch_load_dwordx4 v[180:183], v10, off
	v_mov_b32_e32 v10, s10
	ds_read_b128 v[184:187], v10
	v_add_u32_e32 v6, -1, v6
	s_add_i32 s10, s10, 16
	v_cmp_eq_u32_e32 vcc, 0, v6
	v_add_u32_e32 v7, 16, v7
	s_or_b64 s[0:1], vcc, s[0:1]
	s_waitcnt vmcnt(0) lgkmcnt(0)
	v_mul_f64 v[10:11], v[186:187], v[182:183]
	v_mul_f64 v[44:45], v[184:185], v[182:183]
	v_fma_f64 v[10:11], v[184:185], v[180:181], -v[10:11]
	v_fmac_f64_e32 v[44:45], v[186:187], v[180:181]
	v_add_f64 v[2:3], v[2:3], v[10:11]
	v_add_f64 v[4:5], v[4:5], v[44:45]
	s_andn2_b64 exec, exec, s[0:1]
	s_cbranch_execnz .LBB120_336
; %bb.337:
	s_or_b64 exec, exec, s[0:1]
.LBB120_338:
	s_or_b64 exec, exec, s[8:9]
	v_mov_b32_e32 v6, 0
	ds_read_b128 v[180:183], v6 offset:224
	s_waitcnt lgkmcnt(0)
	v_mul_f64 v[6:7], v[4:5], v[182:183]
	v_mul_f64 v[184:185], v[2:3], v[182:183]
	v_fma_f64 v[182:183], v[2:3], v[180:181], -v[6:7]
	v_fmac_f64_e32 v[184:185], v[4:5], v[180:181]
	scratch_store_dwordx4 off, v[182:185], off offset:224
.LBB120_339:
	;; [unrolled: 63-line block ×15, first 2 shown]
	s_or_b64 exec, exec, s[4:5]
	scratch_load_dwordx4 v[2:5], off, off
	v_cmp_ne_u32_e32 vcc, 0, v0
	s_mov_b64 s[2:3], 0
	s_mov_b64 s[4:5], 0
                                        ; implicit-def: $vgpr6_vgpr7
                                        ; implicit-def: $vgpr180
	s_waitcnt vmcnt(0)
	ds_write_b128 v9, v[2:5]
	s_waitcnt lgkmcnt(0)
	; wave barrier
	s_waitcnt lgkmcnt(0)
	s_and_saveexec_b64 s[8:9], vcc
	s_cbranch_execz .LBB120_451
; %bb.444:
	ds_read_b128 v[2:5], v9
	s_andn2_b64 vcc, exec, s[6:7]
	s_cbranch_vccnz .LBB120_446
; %bb.445:
	scratch_load_dwordx4 v[180:183], v8, off
	s_waitcnt vmcnt(0) lgkmcnt(0)
	v_mul_f64 v[10:11], v[2:3], v[182:183]
	v_mul_f64 v[6:7], v[4:5], v[182:183]
	v_fmac_f64_e32 v[10:11], v[4:5], v[180:181]
	v_fma_f64 v[2:3], v[2:3], v[180:181], -v[6:7]
	v_mov_b64_e32 v[4:5], v[10:11]
.LBB120_446:
	s_and_saveexec_b64 s[4:5], s[0:1]
	s_cbranch_execz .LBB120_450
; %bb.447:
	v_mov_b32_e32 v7, 0
	v_add_u32_e32 v6, -1, v0
	v_add_u32_e32 v7, 24, v7
	s_movk_i32 s10, 0x3a0
	s_mov_b64 s[0:1], 0
.LBB120_448:                            ; =>This Inner Loop Header: Depth=1
	v_add_u32_e32 v10, -8, v7
	scratch_load_dwordx4 v[180:183], v10, off
	v_mov_b32_e32 v10, s10
	ds_read_b128 v[184:187], v10
	v_add_u32_e32 v6, -1, v6
	s_add_i32 s10, s10, 16
	v_cmp_eq_u32_e32 vcc, 0, v6
	v_add_u32_e32 v7, 16, v7
	s_or_b64 s[0:1], vcc, s[0:1]
	s_waitcnt vmcnt(0) lgkmcnt(0)
	v_mul_f64 v[10:11], v[186:187], v[182:183]
	v_mul_f64 v[44:45], v[184:185], v[182:183]
	v_fma_f64 v[10:11], v[184:185], v[180:181], -v[10:11]
	v_fmac_f64_e32 v[44:45], v[186:187], v[180:181]
	v_add_f64 v[2:3], v[2:3], v[10:11]
	v_add_f64 v[4:5], v[4:5], v[44:45]
	s_andn2_b64 exec, exec, s[0:1]
	s_cbranch_execnz .LBB120_448
; %bb.449:
	s_or_b64 exec, exec, s[0:1]
.LBB120_450:
	s_or_b64 exec, exec, s[4:5]
	v_mov_b32_e32 v6, 0
	ds_read_b128 v[182:185], v6
	v_mov_b32_e32 v6, 0
	v_or_b32_e32 v180, 8, v6
	s_mov_b64 s[4:5], exec
	s_waitcnt lgkmcnt(0)
	v_mul_f64 v[10:11], v[4:5], v[184:185]
	v_mul_f64 v[6:7], v[2:3], v[184:185]
	v_fma_f64 v[2:3], v[2:3], v[182:183], -v[10:11]
	v_fmac_f64_e32 v[6:7], v[4:5], v[182:183]
	scratch_store_dwordx2 off, v[2:3], off
.LBB120_451:
	s_or_b64 exec, exec, s[8:9]
	s_and_b64 vcc, exec, s[2:3]
	s_cbranch_vccnz .LBB120_453
	s_branch .LBB120_896
.LBB120_452:
	s_mov_b64 s[4:5], 0
                                        ; implicit-def: $vgpr6_vgpr7
                                        ; implicit-def: $vgpr180
	s_cbranch_execz .LBB120_896
.LBB120_453:
	scratch_load_dwordx4 v[2:5], v179, off
	v_cndmask_b32_e64 v6, 0, 1, s[6:7]
	v_cmp_eq_u32_e64 s[2:3], 0, v0
	v_cmp_ne_u32_e64 s[0:1], 1, v6
	s_waitcnt vmcnt(0)
	ds_write_b128 v9, v[2:5]
	s_waitcnt lgkmcnt(0)
	; wave barrier
	s_waitcnt lgkmcnt(0)
	s_and_saveexec_b64 s[6:7], s[2:3]
	s_cbranch_execz .LBB120_457
; %bb.454:
	ds_read_b128 v[2:5], v9
	s_and_b64 vcc, exec, s[0:1]
	s_cbranch_vccnz .LBB120_456
; %bb.455:
	scratch_load_dwordx4 v[180:183], v8, off
	s_waitcnt vmcnt(0) lgkmcnt(0)
	v_mul_f64 v[10:11], v[2:3], v[182:183]
	v_mul_f64 v[6:7], v[4:5], v[182:183]
	v_fmac_f64_e32 v[10:11], v[4:5], v[180:181]
	v_fma_f64 v[2:3], v[2:3], v[180:181], -v[6:7]
	v_mov_b64_e32 v[4:5], v[10:11]
.LBB120_456:
	v_mov_b32_e32 v6, 0
	ds_read_b128 v[180:183], v6 offset:16
	s_waitcnt lgkmcnt(0)
	v_mul_f64 v[6:7], v[4:5], v[182:183]
	v_mul_f64 v[184:185], v[2:3], v[182:183]
	v_fma_f64 v[182:183], v[2:3], v[180:181], -v[6:7]
	v_fmac_f64_e32 v[184:185], v[4:5], v[180:181]
	scratch_store_dwordx4 off, v[182:185], off offset:16
.LBB120_457:
	s_or_b64 exec, exec, s[6:7]
	scratch_load_dwordx4 v[2:5], v178, off
	v_cmp_gt_u32_e32 vcc, 2, v0
	s_waitcnt vmcnt(0)
	ds_write_b128 v9, v[2:5]
	s_waitcnt lgkmcnt(0)
	; wave barrier
	s_waitcnt lgkmcnt(0)
	s_and_saveexec_b64 s[6:7], vcc
	s_cbranch_execz .LBB120_463
; %bb.458:
	ds_read_b128 v[2:5], v9
	s_and_b64 vcc, exec, s[0:1]
	s_cbranch_vccnz .LBB120_460
; %bb.459:
	scratch_load_dwordx4 v[180:183], v8, off
	s_waitcnt vmcnt(0) lgkmcnt(0)
	v_mul_f64 v[10:11], v[2:3], v[182:183]
	v_mul_f64 v[6:7], v[4:5], v[182:183]
	v_fmac_f64_e32 v[10:11], v[4:5], v[180:181]
	v_fma_f64 v[2:3], v[2:3], v[180:181], -v[6:7]
	v_mov_b64_e32 v[4:5], v[10:11]
.LBB120_460:
	s_and_saveexec_b64 s[8:9], s[2:3]
	s_cbranch_execz .LBB120_462
; %bb.461:
	scratch_load_dwordx4 v[180:183], v8, off offset:16
	ds_read_b128 v[184:187], v9 offset:16
	s_waitcnt vmcnt(0) lgkmcnt(0)
	v_mul_f64 v[6:7], v[186:187], v[182:183]
	v_mul_f64 v[10:11], v[184:185], v[182:183]
	v_fma_f64 v[6:7], v[184:185], v[180:181], -v[6:7]
	v_fmac_f64_e32 v[10:11], v[186:187], v[180:181]
	v_add_f64 v[2:3], v[2:3], v[6:7]
	v_add_f64 v[4:5], v[4:5], v[10:11]
.LBB120_462:
	s_or_b64 exec, exec, s[8:9]
	v_mov_b32_e32 v6, 0
	ds_read_b128 v[180:183], v6 offset:32
	s_waitcnt lgkmcnt(0)
	v_mul_f64 v[6:7], v[4:5], v[182:183]
	v_mul_f64 v[184:185], v[2:3], v[182:183]
	v_fma_f64 v[182:183], v[2:3], v[180:181], -v[6:7]
	v_fmac_f64_e32 v[184:185], v[4:5], v[180:181]
	scratch_store_dwordx4 off, v[182:185], off offset:32
.LBB120_463:
	s_or_b64 exec, exec, s[6:7]
	scratch_load_dwordx4 v[2:5], v177, off
	v_cmp_gt_u32_e32 vcc, 3, v0
	s_waitcnt vmcnt(0)
	ds_write_b128 v9, v[2:5]
	s_waitcnt lgkmcnt(0)
	; wave barrier
	s_waitcnt lgkmcnt(0)
	s_and_saveexec_b64 s[6:7], vcc
	s_cbranch_execz .LBB120_471
; %bb.464:
	ds_read_b128 v[2:5], v9
	s_and_b64 vcc, exec, s[0:1]
	s_cbranch_vccnz .LBB120_466
; %bb.465:
	scratch_load_dwordx4 v[180:183], v8, off
	s_waitcnt vmcnt(0) lgkmcnt(0)
	v_mul_f64 v[10:11], v[2:3], v[182:183]
	v_mul_f64 v[6:7], v[4:5], v[182:183]
	v_fmac_f64_e32 v[10:11], v[4:5], v[180:181]
	v_fma_f64 v[2:3], v[2:3], v[180:181], -v[6:7]
	v_mov_b64_e32 v[4:5], v[10:11]
.LBB120_466:
	v_cmp_ne_u32_e32 vcc, 2, v0
	s_and_saveexec_b64 s[8:9], vcc
	s_cbranch_execz .LBB120_470
; %bb.467:
	scratch_load_dwordx4 v[180:183], v8, off offset:16
	ds_read_b128 v[184:187], v9 offset:16
	s_waitcnt vmcnt(0) lgkmcnt(0)
	v_mul_f64 v[6:7], v[186:187], v[182:183]
	v_mul_f64 v[10:11], v[184:185], v[182:183]
	v_fma_f64 v[6:7], v[184:185], v[180:181], -v[6:7]
	v_fmac_f64_e32 v[10:11], v[186:187], v[180:181]
	v_add_f64 v[2:3], v[2:3], v[6:7]
	v_add_f64 v[4:5], v[4:5], v[10:11]
	s_and_saveexec_b64 s[10:11], s[2:3]
	s_cbranch_execz .LBB120_469
; %bb.468:
	scratch_load_dwordx4 v[180:183], off, off offset:32
	v_mov_b32_e32 v6, 0
	ds_read_b128 v[184:187], v6 offset:944
	s_waitcnt vmcnt(0) lgkmcnt(0)
	v_mul_f64 v[6:7], v[184:185], v[182:183]
	v_mul_f64 v[10:11], v[186:187], v[182:183]
	v_fmac_f64_e32 v[6:7], v[186:187], v[180:181]
	v_fma_f64 v[10:11], v[184:185], v[180:181], -v[10:11]
	v_add_f64 v[4:5], v[4:5], v[6:7]
	v_add_f64 v[2:3], v[2:3], v[10:11]
.LBB120_469:
	s_or_b64 exec, exec, s[10:11]
.LBB120_470:
	s_or_b64 exec, exec, s[8:9]
	v_mov_b32_e32 v6, 0
	ds_read_b128 v[180:183], v6 offset:48
	s_waitcnt lgkmcnt(0)
	v_mul_f64 v[6:7], v[4:5], v[182:183]
	v_mul_f64 v[184:185], v[2:3], v[182:183]
	v_fma_f64 v[182:183], v[2:3], v[180:181], -v[6:7]
	v_fmac_f64_e32 v[184:185], v[4:5], v[180:181]
	scratch_store_dwordx4 off, v[182:185], off offset:48
.LBB120_471:
	s_or_b64 exec, exec, s[6:7]
	scratch_load_dwordx4 v[2:5], v176, off
	v_cmp_gt_u32_e32 vcc, 4, v0
	s_waitcnt vmcnt(0)
	ds_write_b128 v9, v[2:5]
	s_waitcnt lgkmcnt(0)
	; wave barrier
	s_waitcnt lgkmcnt(0)
	s_and_saveexec_b64 s[2:3], vcc
	s_cbranch_execz .LBB120_479
; %bb.472:
	ds_read_b128 v[2:5], v9
	s_and_b64 vcc, exec, s[0:1]
	s_cbranch_vccnz .LBB120_474
; %bb.473:
	scratch_load_dwordx4 v[180:183], v8, off
	s_waitcnt vmcnt(0) lgkmcnt(0)
	v_mul_f64 v[10:11], v[2:3], v[182:183]
	v_mul_f64 v[6:7], v[4:5], v[182:183]
	v_fmac_f64_e32 v[10:11], v[4:5], v[180:181]
	v_fma_f64 v[2:3], v[2:3], v[180:181], -v[6:7]
	v_mov_b64_e32 v[4:5], v[10:11]
.LBB120_474:
	v_cmp_ne_u32_e32 vcc, 3, v0
	s_and_saveexec_b64 s[6:7], vcc
	s_cbranch_execz .LBB120_478
; %bb.475:
	v_mov_b32_e32 v7, 0
	v_add_u32_e32 v6, 0x3a0, v64
	v_add3_u32 v7, v64, v7, 24
	s_mov_b64 s[8:9], 0
	v_mov_b32_e32 v180, v0
.LBB120_476:                            ; =>This Inner Loop Header: Depth=1
	v_add_u32_e32 v10, -8, v7
	scratch_load_dwordx4 v[182:185], v10, off
	ds_read_b128 v[186:189], v6
	v_add_u32_e32 v180, 1, v180
	v_cmp_lt_u32_e32 vcc, 2, v180
	v_add_u32_e32 v6, 16, v6
	v_add_u32_e32 v7, 16, v7
	s_or_b64 s[8:9], vcc, s[8:9]
	s_waitcnt vmcnt(0) lgkmcnt(0)
	v_mul_f64 v[10:11], v[188:189], v[184:185]
	v_mul_f64 v[44:45], v[186:187], v[184:185]
	v_fma_f64 v[10:11], v[186:187], v[182:183], -v[10:11]
	v_fmac_f64_e32 v[44:45], v[188:189], v[182:183]
	v_add_f64 v[2:3], v[2:3], v[10:11]
	v_add_f64 v[4:5], v[4:5], v[44:45]
	s_andn2_b64 exec, exec, s[8:9]
	s_cbranch_execnz .LBB120_476
; %bb.477:
	s_or_b64 exec, exec, s[8:9]
.LBB120_478:
	s_or_b64 exec, exec, s[6:7]
	v_mov_b32_e32 v6, 0
	ds_read_b128 v[180:183], v6 offset:64
	s_waitcnt lgkmcnt(0)
	v_mul_f64 v[6:7], v[4:5], v[182:183]
	v_mul_f64 v[184:185], v[2:3], v[182:183]
	v_fma_f64 v[182:183], v[2:3], v[180:181], -v[6:7]
	v_fmac_f64_e32 v[184:185], v[4:5], v[180:181]
	scratch_store_dwordx4 off, v[182:185], off offset:64
.LBB120_479:
	s_or_b64 exec, exec, s[2:3]
	scratch_load_dwordx4 v[2:5], v175, off
	v_cmp_gt_u32_e32 vcc, 5, v0
	s_waitcnt vmcnt(0)
	ds_write_b128 v9, v[2:5]
	s_waitcnt lgkmcnt(0)
	; wave barrier
	s_waitcnt lgkmcnt(0)
	s_and_saveexec_b64 s[2:3], vcc
	s_cbranch_execz .LBB120_487
; %bb.480:
	ds_read_b128 v[2:5], v9
	s_and_b64 vcc, exec, s[0:1]
	s_cbranch_vccnz .LBB120_482
; %bb.481:
	scratch_load_dwordx4 v[180:183], v8, off
	s_waitcnt vmcnt(0) lgkmcnt(0)
	v_mul_f64 v[10:11], v[2:3], v[182:183]
	v_mul_f64 v[6:7], v[4:5], v[182:183]
	v_fmac_f64_e32 v[10:11], v[4:5], v[180:181]
	v_fma_f64 v[2:3], v[2:3], v[180:181], -v[6:7]
	v_mov_b64_e32 v[4:5], v[10:11]
.LBB120_482:
	v_cmp_ne_u32_e32 vcc, 4, v0
	s_and_saveexec_b64 s[6:7], vcc
	s_cbranch_execz .LBB120_486
; %bb.483:
	v_mov_b32_e32 v7, 0
	v_add_u32_e32 v6, 0x3a0, v64
	v_add3_u32 v7, v64, v7, 24
	s_mov_b64 s[8:9], 0
	v_mov_b32_e32 v180, v0
.LBB120_484:                            ; =>This Inner Loop Header: Depth=1
	v_add_u32_e32 v10, -8, v7
	scratch_load_dwordx4 v[182:185], v10, off
	ds_read_b128 v[186:189], v6
	v_add_u32_e32 v180, 1, v180
	v_cmp_lt_u32_e32 vcc, 3, v180
	v_add_u32_e32 v6, 16, v6
	v_add_u32_e32 v7, 16, v7
	s_or_b64 s[8:9], vcc, s[8:9]
	s_waitcnt vmcnt(0) lgkmcnt(0)
	v_mul_f64 v[10:11], v[188:189], v[184:185]
	v_mul_f64 v[44:45], v[186:187], v[184:185]
	v_fma_f64 v[10:11], v[186:187], v[182:183], -v[10:11]
	v_fmac_f64_e32 v[44:45], v[188:189], v[182:183]
	v_add_f64 v[2:3], v[2:3], v[10:11]
	v_add_f64 v[4:5], v[4:5], v[44:45]
	s_andn2_b64 exec, exec, s[8:9]
	s_cbranch_execnz .LBB120_484
; %bb.485:
	s_or_b64 exec, exec, s[8:9]
.LBB120_486:
	s_or_b64 exec, exec, s[6:7]
	v_mov_b32_e32 v6, 0
	ds_read_b128 v[180:183], v6 offset:80
	s_waitcnt lgkmcnt(0)
	v_mul_f64 v[6:7], v[4:5], v[182:183]
	v_mul_f64 v[184:185], v[2:3], v[182:183]
	v_fma_f64 v[182:183], v[2:3], v[180:181], -v[6:7]
	v_fmac_f64_e32 v[184:185], v[4:5], v[180:181]
	scratch_store_dwordx4 off, v[182:185], off offset:80
.LBB120_487:
	;; [unrolled: 63-line block ×51, first 2 shown]
	s_or_b64 exec, exec, s[2:3]
	scratch_load_dwordx4 v[2:5], v41, off
	v_cmp_gt_u32_e64 s[2:3], 55, v0
	s_waitcnt vmcnt(0)
	ds_write_b128 v9, v[2:5]
	s_waitcnt lgkmcnt(0)
	; wave barrier
	s_waitcnt lgkmcnt(0)
	s_and_saveexec_b64 s[6:7], s[2:3]
	s_cbranch_execz .LBB120_887
; %bb.880:
	ds_read_b128 v[2:5], v9
	s_and_b64 vcc, exec, s[0:1]
	s_cbranch_vccnz .LBB120_882
; %bb.881:
	scratch_load_dwordx4 v[180:183], v8, off
	s_waitcnt vmcnt(0) lgkmcnt(0)
	v_mul_f64 v[10:11], v[2:3], v[182:183]
	v_mul_f64 v[6:7], v[4:5], v[182:183]
	v_fmac_f64_e32 v[10:11], v[4:5], v[180:181]
	v_fma_f64 v[2:3], v[2:3], v[180:181], -v[6:7]
	v_mov_b64_e32 v[4:5], v[10:11]
.LBB120_882:
	v_cmp_ne_u32_e32 vcc, 54, v0
	s_and_saveexec_b64 s[8:9], vcc
	s_cbranch_execz .LBB120_886
; %bb.883:
	v_mov_b32_e32 v7, 0
	v_add_u32_e32 v6, 0x3a0, v64
	v_add3_u32 v7, v64, v7, 24
	s_mov_b64 s[10:11], 0
	v_mov_b32_e32 v180, v0
.LBB120_884:                            ; =>This Inner Loop Header: Depth=1
	v_add_u32_e32 v10, -8, v7
	scratch_load_dwordx4 v[182:185], v10, off
	ds_read_b128 v[186:189], v6
	v_add_u32_e32 v180, 1, v180
	v_cmp_lt_u32_e32 vcc, 53, v180
	v_add_u32_e32 v6, 16, v6
	v_add_u32_e32 v7, 16, v7
	s_or_b64 s[10:11], vcc, s[10:11]
	s_waitcnt vmcnt(0) lgkmcnt(0)
	v_mul_f64 v[10:11], v[188:189], v[184:185]
	v_mul_f64 v[44:45], v[186:187], v[184:185]
	v_fma_f64 v[10:11], v[186:187], v[182:183], -v[10:11]
	v_fmac_f64_e32 v[44:45], v[188:189], v[182:183]
	v_add_f64 v[2:3], v[2:3], v[10:11]
	v_add_f64 v[4:5], v[4:5], v[44:45]
	s_andn2_b64 exec, exec, s[10:11]
	s_cbranch_execnz .LBB120_884
; %bb.885:
	s_or_b64 exec, exec, s[10:11]
.LBB120_886:
	s_or_b64 exec, exec, s[8:9]
	v_mov_b32_e32 v6, 0
	ds_read_b128 v[180:183], v6 offset:880
	s_waitcnt lgkmcnt(0)
	v_mul_f64 v[6:7], v[4:5], v[182:183]
	v_mul_f64 v[184:185], v[2:3], v[182:183]
	v_fma_f64 v[182:183], v[2:3], v[180:181], -v[6:7]
	v_fmac_f64_e32 v[184:185], v[4:5], v[180:181]
	scratch_store_dwordx4 off, v[182:185], off offset:880
.LBB120_887:
	s_or_b64 exec, exec, s[6:7]
	scratch_load_dwordx4 v[2:5], v1, off
	v_cmp_ne_u32_e32 vcc, 56, v0
                                        ; implicit-def: $vgpr6_vgpr7
                                        ; implicit-def: $vgpr180
	s_waitcnt vmcnt(0)
	ds_write_b128 v9, v[2:5]
	s_waitcnt lgkmcnt(0)
	; wave barrier
	s_waitcnt lgkmcnt(0)
	s_and_saveexec_b64 s[6:7], vcc
	s_cbranch_execz .LBB120_895
; %bb.888:
	ds_read_b128 v[2:5], v9
	s_and_b64 vcc, exec, s[0:1]
	s_cbranch_vccnz .LBB120_890
; %bb.889:
	scratch_load_dwordx4 v[6:9], v8, off
	s_waitcnt vmcnt(0) lgkmcnt(0)
	v_mul_f64 v[10:11], v[4:5], v[8:9]
	v_mul_f64 v[8:9], v[2:3], v[8:9]
	v_fmac_f64_e32 v[8:9], v[4:5], v[6:7]
	v_fma_f64 v[2:3], v[2:3], v[6:7], -v[10:11]
	v_mov_b64_e32 v[4:5], v[8:9]
.LBB120_890:
	s_and_saveexec_b64 s[0:1], s[2:3]
	s_cbranch_execz .LBB120_894
; %bb.891:
	v_mov_b32_e32 v7, 0
	v_add_u32_e32 v6, 0x3a0, v64
	v_add3_u32 v7, v64, v7, 24
	s_mov_b64 s[2:3], 0
.LBB120_892:                            ; =>This Inner Loop Header: Depth=1
	v_add_u32_e32 v8, -8, v7
	scratch_load_dwordx4 v[180:183], v8, off
	ds_read_b128 v[184:187], v6
	v_add_u32_e32 v0, 1, v0
	v_cmp_lt_u32_e32 vcc, 54, v0
	v_add_u32_e32 v6, 16, v6
	v_add_u32_e32 v7, 16, v7
	s_or_b64 s[2:3], vcc, s[2:3]
	s_waitcnt vmcnt(0) lgkmcnt(0)
	v_mul_f64 v[8:9], v[186:187], v[182:183]
	v_mul_f64 v[10:11], v[184:185], v[182:183]
	v_fma_f64 v[8:9], v[184:185], v[180:181], -v[8:9]
	v_fmac_f64_e32 v[10:11], v[186:187], v[180:181]
	v_add_f64 v[2:3], v[2:3], v[8:9]
	v_add_f64 v[4:5], v[4:5], v[10:11]
	s_andn2_b64 exec, exec, s[2:3]
	s_cbranch_execnz .LBB120_892
; %bb.893:
	s_or_b64 exec, exec, s[2:3]
.LBB120_894:
	s_or_b64 exec, exec, s[0:1]
	v_mov_b32_e32 v0, 0
	ds_read_b128 v[182:185], v0 offset:896
	v_mov_b32_e32 v0, 0
	v_add_u32_e32 v180, 0x388, v0
	s_or_b64 s[4:5], s[4:5], exec
	s_waitcnt lgkmcnt(0)
	v_mul_f64 v[8:9], v[4:5], v[184:185]
	v_mul_f64 v[6:7], v[2:3], v[184:185]
	v_fma_f64 v[2:3], v[2:3], v[182:183], -v[8:9]
	v_fmac_f64_e32 v[6:7], v[4:5], v[182:183]
	scratch_store_dwordx2 off, v[2:3], off offset:896
.LBB120_895:
	s_or_b64 exec, exec, s[6:7]
.LBB120_896:
	v_mov_b32_e32 v0, v41
	s_and_saveexec_b64 s[0:1], s[4:5]
	s_cbranch_execz .LBB120_898
; %bb.897:
	scratch_store_dwordx2 v180, v[6:7], off
.LBB120_898:
	s_or_b64 exec, exec, s[0:1]
	scratch_load_dwordx4 v[2:5], off, off
	scratch_load_dwordx4 v[6:9], v179, off
	s_nop 0
	scratch_load_dwordx4 v[178:181], v178, off
	s_nop 0
	scratch_load_dwordx4 v[182:185], v177, off
	scratch_load_dwordx4 v[186:189], v176, off
	scratch_load_dwordx4 v[190:193], v175, off
	s_nop 0
	scratch_load_dwordx4 v[174:177], v174, off
	s_nop 0
	scratch_load_dwordx4 v[194:197], v173, off
	scratch_load_dwordx4 v[198:201], v172, off
	;; [unrolled: 6-line block ×6, first 2 shown]
	scratch_load_dwordx4 v[250:253], v155, off
	s_nop 0
	scratch_load_dwordx4 v[154:157], v154, off
	s_waitcnt vmcnt(26)
	global_store_dwordx4 v[12:13], v[2:5], off
	scratch_load_dwordx4 v[2:5], v153, off
	s_nop 0
	scratch_load_dwordx4 v[10:13], v152, off
	s_waitcnt vmcnt(28)
	global_store_dwordx4 v[14:15], v[6:9], off
	;; [unrolled: 5-line block ×15, first 2 shown]
	scratch_load_dwordx4 v[166:169], v0, off
	s_nop 0
	scratch_load_dwordx4 v[42:45], v1, off
	v_accvgpr_read_b32 v0, a0
	v_accvgpr_read_b32 v1, a1
	s_waitcnt vmcnt(56)
	global_store_dwordx4 v[254:255], v[218:221], off
	s_waitcnt vmcnt(56)
	global_store_dwordx4 v[0:1], v[222:225], off
	;; [unrolled: 2-line block ×42, first 2 shown]
.LBB120_899:
	s_endpgm
	.section	.rodata,"a",@progbits
	.p2align	6, 0x0
	.amdhsa_kernel _ZN9rocsolver6v33100L18trti2_kernel_smallILi57E19rocblas_complex_numIdEPKPS3_EEv13rocblas_fill_17rocblas_diagonal_T1_iil
		.amdhsa_group_segment_fixed_size 1824
		.amdhsa_private_segment_fixed_size 928
		.amdhsa_kernarg_size 32
		.amdhsa_user_sgpr_count 2
		.amdhsa_user_sgpr_dispatch_ptr 0
		.amdhsa_user_sgpr_queue_ptr 0
		.amdhsa_user_sgpr_kernarg_segment_ptr 1
		.amdhsa_user_sgpr_dispatch_id 0
		.amdhsa_user_sgpr_kernarg_preload_length 0
		.amdhsa_user_sgpr_kernarg_preload_offset 0
		.amdhsa_user_sgpr_private_segment_size 0
		.amdhsa_uses_dynamic_stack 0
		.amdhsa_enable_private_segment 1
		.amdhsa_system_sgpr_workgroup_id_x 1
		.amdhsa_system_sgpr_workgroup_id_y 0
		.amdhsa_system_sgpr_workgroup_id_z 0
		.amdhsa_system_sgpr_workgroup_info 0
		.amdhsa_system_vgpr_workitem_id 0
		.amdhsa_next_free_vgpr 258
		.amdhsa_next_free_sgpr 12
		.amdhsa_accum_offset 256
		.amdhsa_reserve_vcc 1
		.amdhsa_float_round_mode_32 0
		.amdhsa_float_round_mode_16_64 0
		.amdhsa_float_denorm_mode_32 3
		.amdhsa_float_denorm_mode_16_64 3
		.amdhsa_dx10_clamp 1
		.amdhsa_ieee_mode 1
		.amdhsa_fp16_overflow 0
		.amdhsa_tg_split 0
		.amdhsa_exception_fp_ieee_invalid_op 0
		.amdhsa_exception_fp_denorm_src 0
		.amdhsa_exception_fp_ieee_div_zero 0
		.amdhsa_exception_fp_ieee_overflow 0
		.amdhsa_exception_fp_ieee_underflow 0
		.amdhsa_exception_fp_ieee_inexact 0
		.amdhsa_exception_int_div_zero 0
	.end_amdhsa_kernel
	.section	.text._ZN9rocsolver6v33100L18trti2_kernel_smallILi57E19rocblas_complex_numIdEPKPS3_EEv13rocblas_fill_17rocblas_diagonal_T1_iil,"axG",@progbits,_ZN9rocsolver6v33100L18trti2_kernel_smallILi57E19rocblas_complex_numIdEPKPS3_EEv13rocblas_fill_17rocblas_diagonal_T1_iil,comdat
.Lfunc_end120:
	.size	_ZN9rocsolver6v33100L18trti2_kernel_smallILi57E19rocblas_complex_numIdEPKPS3_EEv13rocblas_fill_17rocblas_diagonal_T1_iil, .Lfunc_end120-_ZN9rocsolver6v33100L18trti2_kernel_smallILi57E19rocblas_complex_numIdEPKPS3_EEv13rocblas_fill_17rocblas_diagonal_T1_iil
                                        ; -- End function
	.section	.AMDGPU.csdata,"",@progbits
; Kernel info:
; codeLenInByte = 37696
; NumSgprs: 18
; NumVgprs: 256
; NumAgprs: 2
; TotalNumVgprs: 258
; ScratchSize: 928
; MemoryBound: 0
; FloatMode: 240
; IeeeMode: 1
; LDSByteSize: 1824 bytes/workgroup (compile time only)
; SGPRBlocks: 2
; VGPRBlocks: 32
; NumSGPRsForWavesPerEU: 18
; NumVGPRsForWavesPerEU: 258
; AccumOffset: 256
; Occupancy: 1
; WaveLimiterHint : 1
; COMPUTE_PGM_RSRC2:SCRATCH_EN: 1
; COMPUTE_PGM_RSRC2:USER_SGPR: 2
; COMPUTE_PGM_RSRC2:TRAP_HANDLER: 0
; COMPUTE_PGM_RSRC2:TGID_X_EN: 1
; COMPUTE_PGM_RSRC2:TGID_Y_EN: 0
; COMPUTE_PGM_RSRC2:TGID_Z_EN: 0
; COMPUTE_PGM_RSRC2:TIDIG_COMP_CNT: 0
; COMPUTE_PGM_RSRC3_GFX90A:ACCUM_OFFSET: 63
; COMPUTE_PGM_RSRC3_GFX90A:TG_SPLIT: 0
	.section	.text._ZN9rocsolver6v33100L18trti2_kernel_smallILi58E19rocblas_complex_numIdEPKPS3_EEv13rocblas_fill_17rocblas_diagonal_T1_iil,"axG",@progbits,_ZN9rocsolver6v33100L18trti2_kernel_smallILi58E19rocblas_complex_numIdEPKPS3_EEv13rocblas_fill_17rocblas_diagonal_T1_iil,comdat
	.globl	_ZN9rocsolver6v33100L18trti2_kernel_smallILi58E19rocblas_complex_numIdEPKPS3_EEv13rocblas_fill_17rocblas_diagonal_T1_iil ; -- Begin function _ZN9rocsolver6v33100L18trti2_kernel_smallILi58E19rocblas_complex_numIdEPKPS3_EEv13rocblas_fill_17rocblas_diagonal_T1_iil
	.p2align	8
	.type	_ZN9rocsolver6v33100L18trti2_kernel_smallILi58E19rocblas_complex_numIdEPKPS3_EEv13rocblas_fill_17rocblas_diagonal_T1_iil,@function
_ZN9rocsolver6v33100L18trti2_kernel_smallILi58E19rocblas_complex_numIdEPKPS3_EEv13rocblas_fill_17rocblas_diagonal_T1_iil: ; @_ZN9rocsolver6v33100L18trti2_kernel_smallILi58E19rocblas_complex_numIdEPKPS3_EEv13rocblas_fill_17rocblas_diagonal_T1_iil
; %bb.0:
	v_cmp_gt_u32_e32 vcc, 58, v0
	s_and_saveexec_b64 s[4:5], vcc
	s_cbranch_execz .LBB121_915
; %bb.1:
	s_load_dwordx2 s[8:9], s[0:1], 0x10
	s_load_dwordx4 s[4:7], s[0:1], 0x0
	s_ashr_i32 s3, s2, 31
	s_lshl_b64 s[0:1], s[2:3], 3
	v_lshlrev_b32_e32 v152, 4, v0
	s_waitcnt lgkmcnt(0)
	s_ashr_i32 s3, s8, 31
	s_add_u32 s0, s6, s0
	s_addc_u32 s1, s7, s1
	s_load_dwordx2 s[0:1], s[0:1], 0x0
	s_mov_b32 s2, s8
	s_lshl_b64 s[2:3], s[2:3], 4
	v_mov_b32_e32 v153, 0
	v_mov_b32_e32 v1, 0
	s_waitcnt lgkmcnt(0)
	s_add_u32 s0, s0, s2
	s_addc_u32 s1, s1, s3
	v_lshl_add_u64 v[106:107], s[0:1], 0, v[152:153]
	s_ashr_i32 s3, s9, 31
	s_mov_b32 s2, s9
	v_lshl_add_u64 v[108:109], s[2:3], 4, v[106:107]
	s_add_i32 s2, s9, s9
	v_add_u32_e32 v14, s2, v0
	v_ashrrev_i32_e32 v15, 31, v14
	v_lshl_add_u64 v[110:111], v[14:15], 4, s[0:1]
	v_add_u32_e32 v14, s9, v14
	v_add_u32_e32 v22, s9, v14
	v_ashrrev_i32_e32 v23, 31, v22
	v_lshl_add_u64 v[114:115], v[22:23], 4, s[0:1]
	v_add_u32_e32 v22, s9, v22
	;; [unrolled: 4-line block ×10, first 2 shown]
	v_add_u32_e32 v94, s9, v86
	v_ashrrev_i32_e32 v95, 31, v94
	v_ashrrev_i32_e32 v63, 31, v62
	;; [unrolled: 1-line block ×3, first 2 shown]
	v_lshl_add_u64 v[150:151], v[94:95], 4, s[0:1]
	v_add_u32_e32 v94, s9, v94
	v_ashrrev_i32_e32 v15, 31, v14
	v_ashrrev_i32_e32 v23, 31, v22
	v_ashrrev_i32_e32 v31, 31, v30
	v_ashrrev_i32_e32 v39, 31, v38
	v_ashrrev_i32_e32 v47, 31, v46
	v_ashrrev_i32_e32 v55, 31, v54
	v_lshl_add_u64 v[64:65], v[62:63], 4, s[0:1]
	v_lshl_add_u64 v[72:73], v[70:71], 4, s[0:1]
	v_ashrrev_i32_e32 v79, 31, v78
	v_ashrrev_i32_e32 v87, 31, v86
	v_ashrrev_i32_e32 v95, 31, v94
	v_add_u32_e32 v102, s9, v94
	v_lshl_add_u64 v[112:113], v[14:15], 4, s[0:1]
	v_lshl_add_u64 v[116:117], v[22:23], 4, s[0:1]
	;; [unrolled: 1-line block ×6, first 2 shown]
	v_accvgpr_write_b32 a0, v58
	v_accvgpr_write_b32 a2, v64
	;; [unrolled: 1-line block ×5, first 2 shown]
	v_lshl_add_u64 v[144:145], v[78:79], 4, s[0:1]
	v_lshl_add_u64 v[148:149], v[86:87], 4, s[0:1]
	;; [unrolled: 1-line block ×3, first 2 shown]
	v_ashrrev_i32_e32 v103, 31, v102
	global_load_dwordx4 v[2:5], v152, s[0:1]
	global_load_dwordx4 v[6:9], v[108:109], off
	global_load_dwordx4 v[10:13], v[110:111], off
	;; [unrolled: 1-line block ×13, first 2 shown]
	v_accvgpr_write_b32 a1, v59
	global_load_dwordx4 v[58:61], v[58:59], off
	v_accvgpr_write_b32 a3, v65
	global_load_dwordx4 v[62:65], v[64:65], off
	;; [unrolled: 2-line block ×5, first 2 shown]
	s_nop 0
	global_load_dwordx4 v[78:81], v[144:145], off
	global_load_dwordx4 v[82:85], v[146:147], off
	;; [unrolled: 1-line block ×4, first 2 shown]
	v_lshl_add_u64 v[156:157], v[102:103], 4, s[0:1]
	global_load_dwordx4 v[94:97], v[154:155], off
	global_load_dwordx4 v[98:101], v[156:157], off
	v_add_u32_e32 v160, s9, v102
	v_add_u32_e32 v162, s9, v160
	;; [unrolled: 1-line block ×33, first 2 shown]
	v_ashrrev_i32_e32 v103, 31, v102
	v_lshl_add_u64 v[158:159], v[102:103], 4, s[0:1]
	v_ashrrev_i32_e32 v161, 31, v160
	v_ashrrev_i32_e32 v165, 31, v164
	;; [unrolled: 1-line block ×16, first 2 shown]
	global_load_dwordx4 v[102:105], v[158:159], off
	s_waitcnt vmcnt(25)
	scratch_store_dwordx4 off, v[2:5], off
	s_waitcnt vmcnt(25)
	scratch_store_dwordx4 off, v[6:9], off offset:16
	s_waitcnt vmcnt(25)
	scratch_store_dwordx4 off, v[10:13], off offset:32
	;; [unrolled: 2-line block ×24, first 2 shown]
	v_lshl_add_u64 v[12:13], v[160:161], 4, s[0:1]
	v_ashrrev_i32_e32 v163, 31, v162
	v_lshl_add_u64 v[16:17], v[164:165], 4, s[0:1]
	v_ashrrev_i32_e32 v167, 31, v166
	;; [unrolled: 2-line block ×16, first 2 shown]
	v_lshl_add_u64 v[14:15], v[162:163], 4, s[0:1]
	global_load_dwordx4 v[2:5], v[12:13], off
	global_load_dwordx4 v[6:9], v[14:15], off
	v_lshl_add_u64 v[18:19], v[166:167], 4, s[0:1]
	global_load_dwordx4 v[76:79], v[16:17], off
	global_load_dwordx4 v[80:83], v[18:19], off
	;; [unrolled: 3-line block ×16, first 2 shown]
	s_cmpk_lg_i32 s5, 0x84
	s_cselect_b64 s[6:7], -1, 0
	s_cmpk_eq_i32 s5, 0x84
	s_waitcnt vmcnt(31)
	scratch_store_dwordx4 off, v[2:5], off offset:400
	s_waitcnt vmcnt(31)
	scratch_store_dwordx4 off, v[6:9], off offset:416
	;; [unrolled: 2-line block ×32, first 2 shown]
	scratch_store_dwordx4 off, v[102:105], off offset:912
	s_cbranch_scc1 .LBB121_7
; %bb.2:
	scratch_load_dwordx4 v[8:11], v152, off
                                        ; implicit-def: $vgpr6_vgpr7
	s_waitcnt vmcnt(0)
	v_xor_b32_e32 v3, 0x80000000, v9
	v_cmp_gt_f64_e32 vcc, 0, v[8:9]
	v_xor_b32_e32 v4, 0x80000000, v11
	v_mov_b32_e32 v2, v8
	v_cndmask_b32_e32 v3, v9, v3, vcc
	v_cmp_gt_f64_e32 vcc, 0, v[10:11]
	s_nop 1
	v_cndmask_b32_e32 v5, v11, v4, vcc
	v_mov_b32_e32 v4, v10
	v_cmp_ngt_f64_e32 vcc, v[2:3], v[4:5]
                                        ; implicit-def: $vgpr2_vgpr3
	s_and_saveexec_b64 s[0:1], vcc
	s_xor_b64 s[0:1], exec, s[0:1]
	s_cbranch_execz .LBB121_4
; %bb.3:
	v_div_scale_f64 v[2:3], s[2:3], v[10:11], v[10:11], v[8:9]
	v_rcp_f64_e32 v[4:5], v[2:3]
	v_div_scale_f64 v[6:7], vcc, v[8:9], v[10:11], v[8:9]
	v_fma_f64 v[76:77], -v[2:3], v[4:5], 1.0
	v_fmac_f64_e32 v[4:5], v[4:5], v[76:77]
	v_fma_f64 v[76:77], -v[2:3], v[4:5], 1.0
	v_fmac_f64_e32 v[4:5], v[4:5], v[76:77]
	v_mul_f64 v[76:77], v[6:7], v[4:5]
	v_fma_f64 v[2:3], -v[2:3], v[76:77], v[6:7]
	v_div_fmas_f64 v[2:3], v[2:3], v[4:5], v[76:77]
	v_div_fixup_f64 v[2:3], v[2:3], v[10:11], v[8:9]
	v_fmac_f64_e32 v[10:11], v[8:9], v[2:3]
	v_div_scale_f64 v[4:5], s[2:3], v[10:11], v[10:11], 1.0
	v_rcp_f64_e32 v[6:7], v[4:5]
	s_nop 0
	v_fma_f64 v[8:9], -v[4:5], v[6:7], 1.0
	v_fmac_f64_e32 v[6:7], v[6:7], v[8:9]
	v_fma_f64 v[8:9], -v[4:5], v[6:7], 1.0
	v_fmac_f64_e32 v[6:7], v[6:7], v[8:9]
	v_div_scale_f64 v[8:9], vcc, 1.0, v[10:11], 1.0
	v_mul_f64 v[76:77], v[8:9], v[6:7]
	v_fma_f64 v[4:5], -v[4:5], v[76:77], v[8:9]
                                        ; implicit-def: $vgpr8_vgpr9
	s_nop 1
	v_div_fmas_f64 v[4:5], v[4:5], v[6:7], v[76:77]
	v_div_fixup_f64 v[4:5], v[4:5], v[10:11], 1.0
	v_mul_f64 v[2:3], v[2:3], v[4:5]
	v_xor_b32_e32 v5, 0x80000000, v5
	v_xor_b32_e32 v7, 0x80000000, v3
	v_mov_b32_e32 v6, v2
.LBB121_4:
	s_or_saveexec_b64 s[0:1], s[0:1]
	v_add_u32_e32 v76, 0, v152
	s_xor_b64 exec, exec, s[0:1]
	s_cbranch_execz .LBB121_6
; %bb.5:
	v_div_scale_f64 v[2:3], s[2:3], v[8:9], v[8:9], v[10:11]
	v_rcp_f64_e32 v[4:5], v[2:3]
	v_div_scale_f64 v[6:7], vcc, v[10:11], v[8:9], v[10:11]
	v_fma_f64 v[78:79], -v[2:3], v[4:5], 1.0
	v_fmac_f64_e32 v[4:5], v[4:5], v[78:79]
	v_fma_f64 v[78:79], -v[2:3], v[4:5], 1.0
	v_fmac_f64_e32 v[4:5], v[4:5], v[78:79]
	v_mul_f64 v[78:79], v[6:7], v[4:5]
	v_fma_f64 v[2:3], -v[2:3], v[78:79], v[6:7]
	v_div_fmas_f64 v[2:3], v[2:3], v[4:5], v[78:79]
	v_div_fixup_f64 v[4:5], v[2:3], v[8:9], v[10:11]
	v_fmac_f64_e32 v[8:9], v[10:11], v[4:5]
	v_div_scale_f64 v[2:3], s[2:3], v[8:9], v[8:9], 1.0
	v_rcp_f64_e32 v[6:7], v[2:3]
	s_nop 0
	v_fma_f64 v[10:11], -v[2:3], v[6:7], 1.0
	v_fmac_f64_e32 v[6:7], v[6:7], v[10:11]
	v_fma_f64 v[10:11], -v[2:3], v[6:7], 1.0
	v_fmac_f64_e32 v[6:7], v[6:7], v[10:11]
	v_div_scale_f64 v[10:11], vcc, 1.0, v[8:9], 1.0
	v_mul_f64 v[78:79], v[10:11], v[6:7]
	v_fma_f64 v[2:3], -v[2:3], v[78:79], v[10:11]
	s_nop 1
	v_div_fmas_f64 v[2:3], v[2:3], v[6:7], v[78:79]
	v_div_fixup_f64 v[2:3], v[2:3], v[8:9], 1.0
	v_xor_b32_e32 v7, 0x80000000, v3
	v_mov_b32_e32 v6, v2
	v_mul_f64 v[4:5], v[4:5], -v[2:3]
.LBB121_6:
	s_or_b64 exec, exec, s[0:1]
	scratch_store_dwordx4 v76, v[2:5], off
	s_nop 1
	v_xor_b32_e32 v5, 0x80000000, v5
	s_branch .LBB121_8
.LBB121_7:
	v_mov_b64_e32 v[4:5], 0
	v_mov_b64_e32 v[6:7], -1.0
.LBB121_8:
	v_mov_b32_e32 v8, v4
	v_mov_b32_e32 v9, v5
	v_add_u32_e32 v182, 16, v1
	v_add_u32_e32 v181, 32, v1
	;; [unrolled: 1-line block ×57, first 2 shown]
	ds_write_b128 v152, v[6:9]
	s_cmpk_eq_i32 s4, 0x79
	v_add_u32_e32 v9, 0x3a0, v152
	v_add_u32_e32 v8, 0, v152
	s_cbranch_scc1 .LBB121_460
; %bb.9:
	scratch_load_dwordx4 v[2:5], v140, off
	v_cmp_eq_u32_e64 s[0:1], 57, v0
	s_waitcnt vmcnt(0)
	ds_write_b128 v9, v[2:5]
	s_waitcnt lgkmcnt(0)
	; wave barrier
	s_waitcnt lgkmcnt(0)
	s_and_saveexec_b64 s[2:3], s[0:1]
	s_cbranch_execz .LBB121_13
; %bb.10:
	ds_read_b128 v[2:5], v9
	s_andn2_b64 vcc, exec, s[6:7]
	s_cbranch_vccnz .LBB121_12
; %bb.11:
	scratch_load_dwordx4 v[184:187], v8, off
	s_waitcnt vmcnt(0) lgkmcnt(0)
	v_mul_f64 v[76:77], v[2:3], v[186:187]
	v_mul_f64 v[6:7], v[4:5], v[186:187]
	v_fmac_f64_e32 v[76:77], v[4:5], v[184:185]
	v_fma_f64 v[2:3], v[2:3], v[184:185], -v[6:7]
	v_mov_b64_e32 v[4:5], v[76:77]
.LBB121_12:
	v_mov_b32_e32 v6, 0
	ds_read_b128 v[184:187], v6 offset:896
	s_waitcnt lgkmcnt(0)
	v_mul_f64 v[6:7], v[4:5], v[186:187]
	v_mul_f64 v[188:189], v[2:3], v[186:187]
	v_fma_f64 v[186:187], v[2:3], v[184:185], -v[6:7]
	v_fmac_f64_e32 v[188:189], v[4:5], v[184:185]
	scratch_store_dwordx4 off, v[186:189], off offset:896
.LBB121_13:
	s_or_b64 exec, exec, s[2:3]
	scratch_load_dwordx4 v[2:5], v136, off
	v_cmp_lt_u32_e64 s[2:3], 55, v0
	s_waitcnt vmcnt(0)
	ds_write_b128 v9, v[2:5]
	s_waitcnt lgkmcnt(0)
	; wave barrier
	s_waitcnt lgkmcnt(0)
	s_and_saveexec_b64 s[4:5], s[2:3]
	s_cbranch_execz .LBB121_19
; %bb.14:
	ds_read_b128 v[2:5], v9
	s_andn2_b64 vcc, exec, s[6:7]
	s_cbranch_vccnz .LBB121_16
; %bb.15:
	scratch_load_dwordx4 v[184:187], v8, off
	s_waitcnt vmcnt(0) lgkmcnt(0)
	v_mul_f64 v[76:77], v[2:3], v[186:187]
	v_mul_f64 v[6:7], v[4:5], v[186:187]
	v_fmac_f64_e32 v[76:77], v[4:5], v[184:185]
	v_fma_f64 v[2:3], v[2:3], v[184:185], -v[6:7]
	v_mov_b64_e32 v[4:5], v[76:77]
.LBB121_16:
	s_and_saveexec_b64 s[8:9], s[0:1]
	s_cbranch_execz .LBB121_18
; %bb.17:
	scratch_load_dwordx4 v[184:187], off, off offset:896
	v_mov_b32_e32 v6, 0
	ds_read_b128 v[188:191], v6 offset:1824
	s_waitcnt vmcnt(0) lgkmcnt(0)
	v_mul_f64 v[6:7], v[188:189], v[186:187]
	v_mul_f64 v[76:77], v[190:191], v[186:187]
	v_fmac_f64_e32 v[6:7], v[190:191], v[184:185]
	v_fma_f64 v[76:77], v[188:189], v[184:185], -v[76:77]
	v_add_f64 v[4:5], v[4:5], v[6:7]
	v_add_f64 v[2:3], v[2:3], v[76:77]
.LBB121_18:
	s_or_b64 exec, exec, s[8:9]
	v_mov_b32_e32 v6, 0
	ds_read_b128 v[184:187], v6 offset:880
	s_waitcnt lgkmcnt(0)
	v_mul_f64 v[6:7], v[4:5], v[186:187]
	v_mul_f64 v[188:189], v[2:3], v[186:187]
	v_fma_f64 v[186:187], v[2:3], v[184:185], -v[6:7]
	v_fmac_f64_e32 v[188:189], v[4:5], v[184:185]
	scratch_store_dwordx4 off, v[186:189], off offset:880
.LBB121_19:
	s_or_b64 exec, exec, s[4:5]
	scratch_load_dwordx4 v[2:5], v137, off
	v_cmp_lt_u32_e64 s[0:1], 54, v0
	s_waitcnt vmcnt(0)
	ds_write_b128 v9, v[2:5]
	s_waitcnt lgkmcnt(0)
	; wave barrier
	s_waitcnt lgkmcnt(0)
	s_and_saveexec_b64 s[4:5], s[0:1]
	s_cbranch_execz .LBB121_27
; %bb.20:
	ds_read_b128 v[2:5], v9
	s_andn2_b64 vcc, exec, s[6:7]
	s_cbranch_vccnz .LBB121_22
; %bb.21:
	scratch_load_dwordx4 v[184:187], v8, off
	s_waitcnt vmcnt(0) lgkmcnt(0)
	v_mul_f64 v[76:77], v[2:3], v[186:187]
	v_mul_f64 v[6:7], v[4:5], v[186:187]
	v_fmac_f64_e32 v[76:77], v[4:5], v[184:185]
	v_fma_f64 v[2:3], v[2:3], v[184:185], -v[6:7]
	v_mov_b64_e32 v[4:5], v[76:77]
.LBB121_22:
	s_and_saveexec_b64 s[8:9], s[2:3]
	s_cbranch_execz .LBB121_26
; %bb.23:
	v_mov_b32_e32 v7, 0
	v_subrev_u32_e32 v6, 55, v0
	v_add_u32_e32 v7, 0x378, v7
	s_movk_i32 s10, 0x710
	s_mov_b64 s[2:3], 0
.LBB121_24:                             ; =>This Inner Loop Header: Depth=1
	v_add_u32_e32 v76, -8, v7
	scratch_load_dwordx4 v[184:187], v76, off
	v_mov_b32_e32 v76, s10
	ds_read_b128 v[188:191], v76
	v_add_u32_e32 v6, -1, v6
	s_add_i32 s10, s10, 16
	v_cmp_eq_u32_e32 vcc, 0, v6
	v_add_u32_e32 v7, 16, v7
	s_or_b64 s[2:3], vcc, s[2:3]
	s_waitcnt vmcnt(0) lgkmcnt(0)
	v_mul_f64 v[76:77], v[190:191], v[186:187]
	v_mul_f64 v[78:79], v[188:189], v[186:187]
	v_fma_f64 v[76:77], v[188:189], v[184:185], -v[76:77]
	v_fmac_f64_e32 v[78:79], v[190:191], v[184:185]
	v_add_f64 v[2:3], v[2:3], v[76:77]
	v_add_f64 v[4:5], v[4:5], v[78:79]
	s_andn2_b64 exec, exec, s[2:3]
	s_cbranch_execnz .LBB121_24
; %bb.25:
	s_or_b64 exec, exec, s[2:3]
.LBB121_26:
	s_or_b64 exec, exec, s[8:9]
	v_mov_b32_e32 v6, 0
	ds_read_b128 v[184:187], v6 offset:864
	s_waitcnt lgkmcnt(0)
	v_mul_f64 v[6:7], v[4:5], v[186:187]
	v_mul_f64 v[188:189], v[2:3], v[186:187]
	v_fma_f64 v[186:187], v[2:3], v[184:185], -v[6:7]
	v_fmac_f64_e32 v[188:189], v[4:5], v[184:185]
	scratch_store_dwordx4 off, v[186:189], off offset:864
.LBB121_27:
	s_or_b64 exec, exec, s[4:5]
	scratch_load_dwordx4 v[2:5], v134, off
	v_cmp_lt_u32_e64 s[2:3], 53, v0
	s_waitcnt vmcnt(0)
	ds_write_b128 v9, v[2:5]
	s_waitcnt lgkmcnt(0)
	; wave barrier
	s_waitcnt lgkmcnt(0)
	s_and_saveexec_b64 s[4:5], s[2:3]
	s_cbranch_execz .LBB121_35
; %bb.28:
	ds_read_b128 v[2:5], v9
	s_andn2_b64 vcc, exec, s[6:7]
	s_cbranch_vccnz .LBB121_30
; %bb.29:
	scratch_load_dwordx4 v[184:187], v8, off
	s_waitcnt vmcnt(0) lgkmcnt(0)
	v_mul_f64 v[76:77], v[2:3], v[186:187]
	v_mul_f64 v[6:7], v[4:5], v[186:187]
	v_fmac_f64_e32 v[76:77], v[4:5], v[184:185]
	v_fma_f64 v[2:3], v[2:3], v[184:185], -v[6:7]
	v_mov_b64_e32 v[4:5], v[76:77]
.LBB121_30:
	s_and_saveexec_b64 s[8:9], s[0:1]
	s_cbranch_execz .LBB121_34
; %bb.31:
	v_mov_b32_e32 v7, 0
	v_subrev_u32_e32 v6, 54, v0
	v_add_u32_e32 v7, 0x368, v7
	s_movk_i32 s10, 0x700
	s_mov_b64 s[0:1], 0
.LBB121_32:                             ; =>This Inner Loop Header: Depth=1
	v_add_u32_e32 v76, -8, v7
	scratch_load_dwordx4 v[184:187], v76, off
	v_mov_b32_e32 v76, s10
	ds_read_b128 v[188:191], v76
	v_add_u32_e32 v6, -1, v6
	s_add_i32 s10, s10, 16
	v_cmp_eq_u32_e32 vcc, 0, v6
	v_add_u32_e32 v7, 16, v7
	s_or_b64 s[0:1], vcc, s[0:1]
	s_waitcnt vmcnt(0) lgkmcnt(0)
	v_mul_f64 v[76:77], v[190:191], v[186:187]
	v_mul_f64 v[78:79], v[188:189], v[186:187]
	v_fma_f64 v[76:77], v[188:189], v[184:185], -v[76:77]
	v_fmac_f64_e32 v[78:79], v[190:191], v[184:185]
	v_add_f64 v[2:3], v[2:3], v[76:77]
	v_add_f64 v[4:5], v[4:5], v[78:79]
	s_andn2_b64 exec, exec, s[0:1]
	s_cbranch_execnz .LBB121_32
; %bb.33:
	s_or_b64 exec, exec, s[0:1]
.LBB121_34:
	s_or_b64 exec, exec, s[8:9]
	v_mov_b32_e32 v6, 0
	ds_read_b128 v[184:187], v6 offset:848
	s_waitcnt lgkmcnt(0)
	v_mul_f64 v[6:7], v[4:5], v[186:187]
	v_mul_f64 v[188:189], v[2:3], v[186:187]
	v_fma_f64 v[186:187], v[2:3], v[184:185], -v[6:7]
	v_fmac_f64_e32 v[188:189], v[4:5], v[184:185]
	scratch_store_dwordx4 off, v[186:189], off offset:848
.LBB121_35:
	;; [unrolled: 63-line block ×10, first 2 shown]
	s_or_b64 exec, exec, s[4:5]
	scratch_load_dwordx4 v[2:5], v86, off
	v_cmp_lt_u32_e64 s[0:1], 44, v0
	s_waitcnt vmcnt(0)
	ds_write_b128 v9, v[2:5]
	s_waitcnt lgkmcnt(0)
	; wave barrier
	s_waitcnt lgkmcnt(0)
	s_and_saveexec_b64 s[4:5], s[0:1]
	s_cbranch_execz .LBB121_107
; %bb.100:
	ds_read_b128 v[2:5], v9
	s_andn2_b64 vcc, exec, s[6:7]
	s_cbranch_vccnz .LBB121_102
; %bb.101:
	scratch_load_dwordx4 v[184:187], v8, off
	s_waitcnt vmcnt(0) lgkmcnt(0)
	v_mul_f64 v[76:77], v[2:3], v[186:187]
	v_mul_f64 v[6:7], v[4:5], v[186:187]
	v_fmac_f64_e32 v[76:77], v[4:5], v[184:185]
	v_fma_f64 v[2:3], v[2:3], v[184:185], -v[6:7]
	v_mov_b64_e32 v[4:5], v[76:77]
.LBB121_102:
	s_and_saveexec_b64 s[8:9], s[2:3]
	s_cbranch_execz .LBB121_106
; %bb.103:
	v_mov_b32_e32 v7, 0
	v_subrev_u32_e32 v6, 45, v0
	v_add_u32_e32 v7, 0x2d8, v7
	s_movk_i32 s10, 0x670
	s_mov_b64 s[2:3], 0
.LBB121_104:                            ; =>This Inner Loop Header: Depth=1
	v_add_u32_e32 v76, -8, v7
	scratch_load_dwordx4 v[184:187], v76, off
	v_mov_b32_e32 v76, s10
	ds_read_b128 v[188:191], v76
	v_add_u32_e32 v6, -1, v6
	s_add_i32 s10, s10, 16
	v_cmp_eq_u32_e32 vcc, 0, v6
	v_add_u32_e32 v7, 16, v7
	s_or_b64 s[2:3], vcc, s[2:3]
	s_waitcnt vmcnt(0) lgkmcnt(0)
	v_mul_f64 v[76:77], v[190:191], v[186:187]
	v_mul_f64 v[78:79], v[188:189], v[186:187]
	v_fma_f64 v[76:77], v[188:189], v[184:185], -v[76:77]
	v_fmac_f64_e32 v[78:79], v[190:191], v[184:185]
	v_add_f64 v[2:3], v[2:3], v[76:77]
	v_add_f64 v[4:5], v[4:5], v[78:79]
	s_andn2_b64 exec, exec, s[2:3]
	s_cbranch_execnz .LBB121_104
; %bb.105:
	s_or_b64 exec, exec, s[2:3]
.LBB121_106:
	s_or_b64 exec, exec, s[8:9]
	v_mov_b32_e32 v6, 0
	ds_read_b128 v[184:187], v6 offset:704
	s_waitcnt lgkmcnt(0)
	v_mul_f64 v[6:7], v[4:5], v[186:187]
	v_mul_f64 v[188:189], v[2:3], v[186:187]
	v_fma_f64 v[186:187], v[2:3], v[184:185], -v[6:7]
	v_fmac_f64_e32 v[188:189], v[4:5], v[184:185]
	scratch_store_dwordx4 off, v[186:189], off offset:704
.LBB121_107:
	s_or_b64 exec, exec, s[4:5]
	scratch_load_dwordx4 v[2:5], v87, off
	v_cmp_lt_u32_e64 s[2:3], 43, v0
	s_waitcnt vmcnt(0)
	ds_write_b128 v9, v[2:5]
	s_waitcnt lgkmcnt(0)
	; wave barrier
	s_waitcnt lgkmcnt(0)
	s_and_saveexec_b64 s[4:5], s[2:3]
	s_cbranch_execz .LBB121_115
; %bb.108:
	ds_read_b128 v[2:5], v9
	s_andn2_b64 vcc, exec, s[6:7]
	s_cbranch_vccnz .LBB121_110
; %bb.109:
	scratch_load_dwordx4 v[184:187], v8, off
	s_waitcnt vmcnt(0) lgkmcnt(0)
	v_mul_f64 v[76:77], v[2:3], v[186:187]
	v_mul_f64 v[6:7], v[4:5], v[186:187]
	v_fmac_f64_e32 v[76:77], v[4:5], v[184:185]
	v_fma_f64 v[2:3], v[2:3], v[184:185], -v[6:7]
	v_mov_b64_e32 v[4:5], v[76:77]
.LBB121_110:
	s_and_saveexec_b64 s[8:9], s[0:1]
	s_cbranch_execz .LBB121_114
; %bb.111:
	v_mov_b32_e32 v7, 0
	v_subrev_u32_e32 v6, 44, v0
	v_add_u32_e32 v7, 0x2c8, v7
	s_movk_i32 s10, 0x660
	s_mov_b64 s[0:1], 0
.LBB121_112:                            ; =>This Inner Loop Header: Depth=1
	v_add_u32_e32 v76, -8, v7
	scratch_load_dwordx4 v[184:187], v76, off
	v_mov_b32_e32 v76, s10
	ds_read_b128 v[188:191], v76
	v_add_u32_e32 v6, -1, v6
	s_add_i32 s10, s10, 16
	v_cmp_eq_u32_e32 vcc, 0, v6
	v_add_u32_e32 v7, 16, v7
	s_or_b64 s[0:1], vcc, s[0:1]
	s_waitcnt vmcnt(0) lgkmcnt(0)
	v_mul_f64 v[76:77], v[190:191], v[186:187]
	v_mul_f64 v[78:79], v[188:189], v[186:187]
	v_fma_f64 v[76:77], v[188:189], v[184:185], -v[76:77]
	v_fmac_f64_e32 v[78:79], v[190:191], v[184:185]
	v_add_f64 v[2:3], v[2:3], v[76:77]
	v_add_f64 v[4:5], v[4:5], v[78:79]
	s_andn2_b64 exec, exec, s[0:1]
	s_cbranch_execnz .LBB121_112
; %bb.113:
	s_or_b64 exec, exec, s[0:1]
.LBB121_114:
	s_or_b64 exec, exec, s[8:9]
	v_mov_b32_e32 v6, 0
	ds_read_b128 v[184:187], v6 offset:688
	s_waitcnt lgkmcnt(0)
	v_mul_f64 v[6:7], v[4:5], v[186:187]
	v_mul_f64 v[188:189], v[2:3], v[186:187]
	v_fma_f64 v[186:187], v[2:3], v[184:185], -v[6:7]
	v_fmac_f64_e32 v[188:189], v[4:5], v[184:185]
	scratch_store_dwordx4 off, v[186:189], off offset:688
.LBB121_115:
	;; [unrolled: 63-line block ×29, first 2 shown]
	s_or_b64 exec, exec, s[4:5]
	scratch_load_dwordx4 v[2:5], v168, off
	v_cmp_lt_u32_e64 s[2:3], 15, v0
	s_waitcnt vmcnt(0)
	ds_write_b128 v9, v[2:5]
	s_waitcnt lgkmcnt(0)
	; wave barrier
	s_waitcnt lgkmcnt(0)
	s_and_saveexec_b64 s[4:5], s[2:3]
	s_cbranch_execz .LBB121_339
; %bb.332:
	ds_read_b128 v[2:5], v9
	s_andn2_b64 vcc, exec, s[6:7]
	s_cbranch_vccnz .LBB121_334
; %bb.333:
	scratch_load_dwordx4 v[184:187], v8, off
	s_waitcnt vmcnt(0) lgkmcnt(0)
	v_mul_f64 v[76:77], v[2:3], v[186:187]
	v_mul_f64 v[6:7], v[4:5], v[186:187]
	v_fmac_f64_e32 v[76:77], v[4:5], v[184:185]
	v_fma_f64 v[2:3], v[2:3], v[184:185], -v[6:7]
	v_mov_b64_e32 v[4:5], v[76:77]
.LBB121_334:
	s_and_saveexec_b64 s[8:9], s[0:1]
	s_cbranch_execz .LBB121_338
; %bb.335:
	v_mov_b32_e32 v7, 0
	v_add_u32_e32 v6, -16, v0
	v_add_u32_e32 v7, 0x108, v7
	s_movk_i32 s10, 0x4a0
	s_mov_b64 s[0:1], 0
.LBB121_336:                            ; =>This Inner Loop Header: Depth=1
	v_add_u32_e32 v76, -8, v7
	scratch_load_dwordx4 v[184:187], v76, off
	v_mov_b32_e32 v76, s10
	ds_read_b128 v[188:191], v76
	v_add_u32_e32 v6, -1, v6
	s_add_i32 s10, s10, 16
	v_cmp_eq_u32_e32 vcc, 0, v6
	v_add_u32_e32 v7, 16, v7
	s_or_b64 s[0:1], vcc, s[0:1]
	s_waitcnt vmcnt(0) lgkmcnt(0)
	v_mul_f64 v[76:77], v[190:191], v[186:187]
	v_mul_f64 v[78:79], v[188:189], v[186:187]
	v_fma_f64 v[76:77], v[188:189], v[184:185], -v[76:77]
	v_fmac_f64_e32 v[78:79], v[190:191], v[184:185]
	v_add_f64 v[2:3], v[2:3], v[76:77]
	v_add_f64 v[4:5], v[4:5], v[78:79]
	s_andn2_b64 exec, exec, s[0:1]
	s_cbranch_execnz .LBB121_336
; %bb.337:
	s_or_b64 exec, exec, s[0:1]
.LBB121_338:
	s_or_b64 exec, exec, s[8:9]
	v_mov_b32_e32 v6, 0
	ds_read_b128 v[184:187], v6 offset:240
	s_waitcnt lgkmcnt(0)
	v_mul_f64 v[6:7], v[4:5], v[186:187]
	v_mul_f64 v[188:189], v[2:3], v[186:187]
	v_fma_f64 v[186:187], v[2:3], v[184:185], -v[6:7]
	v_fmac_f64_e32 v[188:189], v[4:5], v[184:185]
	scratch_store_dwordx4 off, v[186:189], off offset:240
.LBB121_339:
	s_or_b64 exec, exec, s[4:5]
	scratch_load_dwordx4 v[2:5], v169, off
	v_cmp_lt_u32_e64 s[0:1], 14, v0
	s_waitcnt vmcnt(0)
	ds_write_b128 v9, v[2:5]
	s_waitcnt lgkmcnt(0)
	; wave barrier
	s_waitcnt lgkmcnt(0)
	s_and_saveexec_b64 s[4:5], s[0:1]
	s_cbranch_execz .LBB121_347
; %bb.340:
	ds_read_b128 v[2:5], v9
	s_andn2_b64 vcc, exec, s[6:7]
	s_cbranch_vccnz .LBB121_342
; %bb.341:
	scratch_load_dwordx4 v[184:187], v8, off
	s_waitcnt vmcnt(0) lgkmcnt(0)
	v_mul_f64 v[76:77], v[2:3], v[186:187]
	v_mul_f64 v[6:7], v[4:5], v[186:187]
	v_fmac_f64_e32 v[76:77], v[4:5], v[184:185]
	v_fma_f64 v[2:3], v[2:3], v[184:185], -v[6:7]
	v_mov_b64_e32 v[4:5], v[76:77]
.LBB121_342:
	s_and_saveexec_b64 s[8:9], s[2:3]
	s_cbranch_execz .LBB121_346
; %bb.343:
	v_mov_b32_e32 v7, 0
	v_add_u32_e32 v6, -15, v0
	v_add_u32_e32 v7, 0xf8, v7
	s_movk_i32 s10, 0x490
	s_mov_b64 s[2:3], 0
.LBB121_344:                            ; =>This Inner Loop Header: Depth=1
	v_add_u32_e32 v76, -8, v7
	scratch_load_dwordx4 v[184:187], v76, off
	v_mov_b32_e32 v76, s10
	ds_read_b128 v[188:191], v76
	v_add_u32_e32 v6, -1, v6
	s_add_i32 s10, s10, 16
	v_cmp_eq_u32_e32 vcc, 0, v6
	v_add_u32_e32 v7, 16, v7
	s_or_b64 s[2:3], vcc, s[2:3]
	s_waitcnt vmcnt(0) lgkmcnt(0)
	v_mul_f64 v[76:77], v[190:191], v[186:187]
	v_mul_f64 v[78:79], v[188:189], v[186:187]
	v_fma_f64 v[76:77], v[188:189], v[184:185], -v[76:77]
	v_fmac_f64_e32 v[78:79], v[190:191], v[184:185]
	v_add_f64 v[2:3], v[2:3], v[76:77]
	v_add_f64 v[4:5], v[4:5], v[78:79]
	s_andn2_b64 exec, exec, s[2:3]
	s_cbranch_execnz .LBB121_344
; %bb.345:
	s_or_b64 exec, exec, s[2:3]
.LBB121_346:
	s_or_b64 exec, exec, s[8:9]
	v_mov_b32_e32 v6, 0
	ds_read_b128 v[184:187], v6 offset:224
	s_waitcnt lgkmcnt(0)
	v_mul_f64 v[6:7], v[4:5], v[186:187]
	v_mul_f64 v[188:189], v[2:3], v[186:187]
	v_fma_f64 v[186:187], v[2:3], v[184:185], -v[6:7]
	v_fmac_f64_e32 v[188:189], v[4:5], v[184:185]
	scratch_store_dwordx4 off, v[186:189], off offset:224
.LBB121_347:
	;; [unrolled: 63-line block ×15, first 2 shown]
	s_or_b64 exec, exec, s[2:3]
	scratch_load_dwordx4 v[2:5], off, off
	v_cmp_ne_u32_e32 vcc, 0, v0
	s_mov_b64 s[2:3], 0
	s_mov_b64 s[4:5], 0
                                        ; implicit-def: $vgpr6_vgpr7
                                        ; implicit-def: $vgpr183
	s_waitcnt vmcnt(0)
	ds_write_b128 v9, v[2:5]
	s_waitcnt lgkmcnt(0)
	; wave barrier
	s_waitcnt lgkmcnt(0)
	s_and_saveexec_b64 s[8:9], vcc
	s_cbranch_execz .LBB121_459
; %bb.452:
	ds_read_b128 v[2:5], v9
	s_andn2_b64 vcc, exec, s[6:7]
	s_cbranch_vccnz .LBB121_454
; %bb.453:
	scratch_load_dwordx4 v[184:187], v8, off
	s_waitcnt vmcnt(0) lgkmcnt(0)
	v_mul_f64 v[76:77], v[2:3], v[186:187]
	v_mul_f64 v[6:7], v[4:5], v[186:187]
	v_fmac_f64_e32 v[76:77], v[4:5], v[184:185]
	v_fma_f64 v[2:3], v[2:3], v[184:185], -v[6:7]
	v_mov_b64_e32 v[4:5], v[76:77]
.LBB121_454:
	s_and_saveexec_b64 s[4:5], s[0:1]
	s_cbranch_execz .LBB121_458
; %bb.455:
	v_mov_b32_e32 v7, 0
	v_add_u32_e32 v6, -1, v0
	v_add_u32_e32 v7, 24, v7
	s_movk_i32 s10, 0x3b0
	s_mov_b64 s[0:1], 0
.LBB121_456:                            ; =>This Inner Loop Header: Depth=1
	v_add_u32_e32 v76, -8, v7
	scratch_load_dwordx4 v[184:187], v76, off
	v_mov_b32_e32 v76, s10
	ds_read_b128 v[188:191], v76
	v_add_u32_e32 v6, -1, v6
	s_add_i32 s10, s10, 16
	v_cmp_eq_u32_e32 vcc, 0, v6
	v_add_u32_e32 v7, 16, v7
	s_or_b64 s[0:1], vcc, s[0:1]
	s_waitcnt vmcnt(0) lgkmcnt(0)
	v_mul_f64 v[76:77], v[190:191], v[186:187]
	v_mul_f64 v[78:79], v[188:189], v[186:187]
	v_fma_f64 v[76:77], v[188:189], v[184:185], -v[76:77]
	v_fmac_f64_e32 v[78:79], v[190:191], v[184:185]
	v_add_f64 v[2:3], v[2:3], v[76:77]
	v_add_f64 v[4:5], v[4:5], v[78:79]
	s_andn2_b64 exec, exec, s[0:1]
	s_cbranch_execnz .LBB121_456
; %bb.457:
	s_or_b64 exec, exec, s[0:1]
.LBB121_458:
	s_or_b64 exec, exec, s[4:5]
	v_mov_b32_e32 v6, 0
	ds_read_b128 v[184:187], v6
	v_mov_b32_e32 v6, 0
	v_or_b32_e32 v183, 8, v6
	s_mov_b64 s[4:5], exec
	s_waitcnt lgkmcnt(0)
	v_mul_f64 v[76:77], v[4:5], v[186:187]
	v_mul_f64 v[6:7], v[2:3], v[186:187]
	v_fma_f64 v[2:3], v[2:3], v[184:185], -v[76:77]
	v_fmac_f64_e32 v[6:7], v[4:5], v[184:185]
	scratch_store_dwordx2 off, v[2:3], off
.LBB121_459:
	s_or_b64 exec, exec, s[8:9]
	s_and_b64 vcc, exec, s[2:3]
	s_cbranch_vccnz .LBB121_461
	s_branch .LBB121_912
.LBB121_460:
	s_mov_b64 s[4:5], 0
                                        ; implicit-def: $vgpr6_vgpr7
                                        ; implicit-def: $vgpr183
	s_cbranch_execz .LBB121_912
.LBB121_461:
	scratch_load_dwordx4 v[2:5], v182, off
	v_cndmask_b32_e64 v6, 0, 1, s[6:7]
	v_cmp_eq_u32_e64 s[2:3], 0, v0
	v_cmp_ne_u32_e64 s[0:1], 1, v6
	s_waitcnt vmcnt(0)
	ds_write_b128 v9, v[2:5]
	s_waitcnt lgkmcnt(0)
	; wave barrier
	s_waitcnt lgkmcnt(0)
	s_and_saveexec_b64 s[6:7], s[2:3]
	s_cbranch_execz .LBB121_465
; %bb.462:
	ds_read_b128 v[2:5], v9
	s_and_b64 vcc, exec, s[0:1]
	s_cbranch_vccnz .LBB121_464
; %bb.463:
	scratch_load_dwordx4 v[184:187], v8, off
	s_waitcnt vmcnt(0) lgkmcnt(0)
	v_mul_f64 v[76:77], v[2:3], v[186:187]
	v_mul_f64 v[6:7], v[4:5], v[186:187]
	v_fmac_f64_e32 v[76:77], v[4:5], v[184:185]
	v_fma_f64 v[2:3], v[2:3], v[184:185], -v[6:7]
	v_mov_b64_e32 v[4:5], v[76:77]
.LBB121_464:
	v_mov_b32_e32 v6, 0
	ds_read_b128 v[184:187], v6 offset:16
	s_waitcnt lgkmcnt(0)
	v_mul_f64 v[6:7], v[4:5], v[186:187]
	v_mul_f64 v[188:189], v[2:3], v[186:187]
	v_fma_f64 v[186:187], v[2:3], v[184:185], -v[6:7]
	v_fmac_f64_e32 v[188:189], v[4:5], v[184:185]
	scratch_store_dwordx4 off, v[186:189], off offset:16
.LBB121_465:
	s_or_b64 exec, exec, s[6:7]
	scratch_load_dwordx4 v[2:5], v181, off
	v_cmp_gt_u32_e32 vcc, 2, v0
	s_waitcnt vmcnt(0)
	ds_write_b128 v9, v[2:5]
	s_waitcnt lgkmcnt(0)
	; wave barrier
	s_waitcnt lgkmcnt(0)
	s_and_saveexec_b64 s[6:7], vcc
	s_cbranch_execz .LBB121_471
; %bb.466:
	ds_read_b128 v[2:5], v9
	s_and_b64 vcc, exec, s[0:1]
	s_cbranch_vccnz .LBB121_468
; %bb.467:
	scratch_load_dwordx4 v[184:187], v8, off
	s_waitcnt vmcnt(0) lgkmcnt(0)
	v_mul_f64 v[76:77], v[2:3], v[186:187]
	v_mul_f64 v[6:7], v[4:5], v[186:187]
	v_fmac_f64_e32 v[76:77], v[4:5], v[184:185]
	v_fma_f64 v[2:3], v[2:3], v[184:185], -v[6:7]
	v_mov_b64_e32 v[4:5], v[76:77]
.LBB121_468:
	s_and_saveexec_b64 s[8:9], s[2:3]
	s_cbranch_execz .LBB121_470
; %bb.469:
	scratch_load_dwordx4 v[184:187], v8, off offset:16
	ds_read_b128 v[188:191], v9 offset:16
	s_waitcnt vmcnt(0) lgkmcnt(0)
	v_mul_f64 v[6:7], v[190:191], v[186:187]
	v_mul_f64 v[76:77], v[188:189], v[186:187]
	v_fma_f64 v[6:7], v[188:189], v[184:185], -v[6:7]
	v_fmac_f64_e32 v[76:77], v[190:191], v[184:185]
	v_add_f64 v[2:3], v[2:3], v[6:7]
	v_add_f64 v[4:5], v[4:5], v[76:77]
.LBB121_470:
	s_or_b64 exec, exec, s[8:9]
	v_mov_b32_e32 v6, 0
	ds_read_b128 v[184:187], v6 offset:32
	s_waitcnt lgkmcnt(0)
	v_mul_f64 v[6:7], v[4:5], v[186:187]
	v_mul_f64 v[188:189], v[2:3], v[186:187]
	v_fma_f64 v[186:187], v[2:3], v[184:185], -v[6:7]
	v_fmac_f64_e32 v[188:189], v[4:5], v[184:185]
	scratch_store_dwordx4 off, v[186:189], off offset:32
.LBB121_471:
	s_or_b64 exec, exec, s[6:7]
	scratch_load_dwordx4 v[2:5], v180, off
	v_cmp_gt_u32_e32 vcc, 3, v0
	s_waitcnt vmcnt(0)
	ds_write_b128 v9, v[2:5]
	s_waitcnt lgkmcnt(0)
	; wave barrier
	s_waitcnt lgkmcnt(0)
	s_and_saveexec_b64 s[6:7], vcc
	s_cbranch_execz .LBB121_479
; %bb.472:
	ds_read_b128 v[2:5], v9
	s_and_b64 vcc, exec, s[0:1]
	s_cbranch_vccnz .LBB121_474
; %bb.473:
	scratch_load_dwordx4 v[184:187], v8, off
	s_waitcnt vmcnt(0) lgkmcnt(0)
	v_mul_f64 v[76:77], v[2:3], v[186:187]
	v_mul_f64 v[6:7], v[4:5], v[186:187]
	v_fmac_f64_e32 v[76:77], v[4:5], v[184:185]
	v_fma_f64 v[2:3], v[2:3], v[184:185], -v[6:7]
	v_mov_b64_e32 v[4:5], v[76:77]
.LBB121_474:
	v_cmp_ne_u32_e32 vcc, 2, v0
	s_and_saveexec_b64 s[8:9], vcc
	s_cbranch_execz .LBB121_478
; %bb.475:
	scratch_load_dwordx4 v[184:187], v8, off offset:16
	ds_read_b128 v[188:191], v9 offset:16
	s_waitcnt vmcnt(0) lgkmcnt(0)
	v_mul_f64 v[6:7], v[190:191], v[186:187]
	v_mul_f64 v[76:77], v[188:189], v[186:187]
	v_fma_f64 v[6:7], v[188:189], v[184:185], -v[6:7]
	v_fmac_f64_e32 v[76:77], v[190:191], v[184:185]
	v_add_f64 v[2:3], v[2:3], v[6:7]
	v_add_f64 v[4:5], v[4:5], v[76:77]
	s_and_saveexec_b64 s[10:11], s[2:3]
	s_cbranch_execz .LBB121_477
; %bb.476:
	scratch_load_dwordx4 v[184:187], off, off offset:32
	v_mov_b32_e32 v6, 0
	ds_read_b128 v[188:191], v6 offset:960
	s_waitcnt vmcnt(0) lgkmcnt(0)
	v_mul_f64 v[6:7], v[188:189], v[186:187]
	v_mul_f64 v[76:77], v[190:191], v[186:187]
	v_fmac_f64_e32 v[6:7], v[190:191], v[184:185]
	v_fma_f64 v[76:77], v[188:189], v[184:185], -v[76:77]
	v_add_f64 v[4:5], v[4:5], v[6:7]
	v_add_f64 v[2:3], v[2:3], v[76:77]
.LBB121_477:
	s_or_b64 exec, exec, s[10:11]
.LBB121_478:
	s_or_b64 exec, exec, s[8:9]
	v_mov_b32_e32 v6, 0
	ds_read_b128 v[184:187], v6 offset:48
	s_waitcnt lgkmcnt(0)
	v_mul_f64 v[6:7], v[4:5], v[186:187]
	v_mul_f64 v[188:189], v[2:3], v[186:187]
	v_fma_f64 v[186:187], v[2:3], v[184:185], -v[6:7]
	v_fmac_f64_e32 v[188:189], v[4:5], v[184:185]
	scratch_store_dwordx4 off, v[186:189], off offset:48
.LBB121_479:
	s_or_b64 exec, exec, s[6:7]
	scratch_load_dwordx4 v[2:5], v179, off
	v_cmp_gt_u32_e32 vcc, 4, v0
	s_waitcnt vmcnt(0)
	ds_write_b128 v9, v[2:5]
	s_waitcnt lgkmcnt(0)
	; wave barrier
	s_waitcnt lgkmcnt(0)
	s_and_saveexec_b64 s[2:3], vcc
	s_cbranch_execz .LBB121_487
; %bb.480:
	ds_read_b128 v[2:5], v9
	s_and_b64 vcc, exec, s[0:1]
	s_cbranch_vccnz .LBB121_482
; %bb.481:
	scratch_load_dwordx4 v[184:187], v8, off
	s_waitcnt vmcnt(0) lgkmcnt(0)
	v_mul_f64 v[76:77], v[2:3], v[186:187]
	v_mul_f64 v[6:7], v[4:5], v[186:187]
	v_fmac_f64_e32 v[76:77], v[4:5], v[184:185]
	v_fma_f64 v[2:3], v[2:3], v[184:185], -v[6:7]
	v_mov_b64_e32 v[4:5], v[76:77]
.LBB121_482:
	v_cmp_ne_u32_e32 vcc, 3, v0
	s_and_saveexec_b64 s[6:7], vcc
	s_cbranch_execz .LBB121_486
; %bb.483:
	v_mov_b32_e32 v7, 0
	v_add_u32_e32 v6, 0x3b0, v152
	v_add3_u32 v7, v152, v7, 24
	s_mov_b64 s[8:9], 0
	v_mov_b32_e32 v183, v0
.LBB121_484:                            ; =>This Inner Loop Header: Depth=1
	v_add_u32_e32 v76, -8, v7
	scratch_load_dwordx4 v[184:187], v76, off
	ds_read_b128 v[188:191], v6
	v_add_u32_e32 v183, 1, v183
	v_cmp_lt_u32_e32 vcc, 2, v183
	v_add_u32_e32 v6, 16, v6
	v_add_u32_e32 v7, 16, v7
	s_or_b64 s[8:9], vcc, s[8:9]
	s_waitcnt vmcnt(0) lgkmcnt(0)
	v_mul_f64 v[76:77], v[190:191], v[186:187]
	v_mul_f64 v[78:79], v[188:189], v[186:187]
	v_fma_f64 v[76:77], v[188:189], v[184:185], -v[76:77]
	v_fmac_f64_e32 v[78:79], v[190:191], v[184:185]
	v_add_f64 v[2:3], v[2:3], v[76:77]
	v_add_f64 v[4:5], v[4:5], v[78:79]
	s_andn2_b64 exec, exec, s[8:9]
	s_cbranch_execnz .LBB121_484
; %bb.485:
	s_or_b64 exec, exec, s[8:9]
.LBB121_486:
	s_or_b64 exec, exec, s[6:7]
	v_mov_b32_e32 v6, 0
	ds_read_b128 v[184:187], v6 offset:64
	s_waitcnt lgkmcnt(0)
	v_mul_f64 v[6:7], v[4:5], v[186:187]
	v_mul_f64 v[188:189], v[2:3], v[186:187]
	v_fma_f64 v[186:187], v[2:3], v[184:185], -v[6:7]
	v_fmac_f64_e32 v[188:189], v[4:5], v[184:185]
	scratch_store_dwordx4 off, v[186:189], off offset:64
.LBB121_487:
	s_or_b64 exec, exec, s[2:3]
	scratch_load_dwordx4 v[2:5], v178, off
	v_cmp_gt_u32_e32 vcc, 5, v0
	s_waitcnt vmcnt(0)
	ds_write_b128 v9, v[2:5]
	s_waitcnt lgkmcnt(0)
	; wave barrier
	s_waitcnt lgkmcnt(0)
	s_and_saveexec_b64 s[2:3], vcc
	s_cbranch_execz .LBB121_495
; %bb.488:
	ds_read_b128 v[2:5], v9
	s_and_b64 vcc, exec, s[0:1]
	s_cbranch_vccnz .LBB121_490
; %bb.489:
	scratch_load_dwordx4 v[184:187], v8, off
	s_waitcnt vmcnt(0) lgkmcnt(0)
	v_mul_f64 v[76:77], v[2:3], v[186:187]
	v_mul_f64 v[6:7], v[4:5], v[186:187]
	v_fmac_f64_e32 v[76:77], v[4:5], v[184:185]
	v_fma_f64 v[2:3], v[2:3], v[184:185], -v[6:7]
	v_mov_b64_e32 v[4:5], v[76:77]
.LBB121_490:
	v_cmp_ne_u32_e32 vcc, 4, v0
	s_and_saveexec_b64 s[6:7], vcc
	s_cbranch_execz .LBB121_494
; %bb.491:
	v_mov_b32_e32 v7, 0
	v_add_u32_e32 v6, 0x3b0, v152
	v_add3_u32 v7, v152, v7, 24
	s_mov_b64 s[8:9], 0
	v_mov_b32_e32 v183, v0
.LBB121_492:                            ; =>This Inner Loop Header: Depth=1
	v_add_u32_e32 v76, -8, v7
	scratch_load_dwordx4 v[184:187], v76, off
	ds_read_b128 v[188:191], v6
	v_add_u32_e32 v183, 1, v183
	v_cmp_lt_u32_e32 vcc, 3, v183
	v_add_u32_e32 v6, 16, v6
	v_add_u32_e32 v7, 16, v7
	s_or_b64 s[8:9], vcc, s[8:9]
	s_waitcnt vmcnt(0) lgkmcnt(0)
	v_mul_f64 v[76:77], v[190:191], v[186:187]
	v_mul_f64 v[78:79], v[188:189], v[186:187]
	v_fma_f64 v[76:77], v[188:189], v[184:185], -v[76:77]
	v_fmac_f64_e32 v[78:79], v[190:191], v[184:185]
	v_add_f64 v[2:3], v[2:3], v[76:77]
	v_add_f64 v[4:5], v[4:5], v[78:79]
	s_andn2_b64 exec, exec, s[8:9]
	s_cbranch_execnz .LBB121_492
; %bb.493:
	s_or_b64 exec, exec, s[8:9]
.LBB121_494:
	s_or_b64 exec, exec, s[6:7]
	v_mov_b32_e32 v6, 0
	ds_read_b128 v[184:187], v6 offset:80
	s_waitcnt lgkmcnt(0)
	v_mul_f64 v[6:7], v[4:5], v[186:187]
	v_mul_f64 v[188:189], v[2:3], v[186:187]
	v_fma_f64 v[186:187], v[2:3], v[184:185], -v[6:7]
	v_fmac_f64_e32 v[188:189], v[4:5], v[184:185]
	scratch_store_dwordx4 off, v[186:189], off offset:80
.LBB121_495:
	;; [unrolled: 63-line block ×52, first 2 shown]
	s_or_b64 exec, exec, s[2:3]
	scratch_load_dwordx4 v[2:5], v140, off
	v_cmp_gt_u32_e64 s[2:3], 56, v0
	s_waitcnt vmcnt(0)
	ds_write_b128 v9, v[2:5]
	s_waitcnt lgkmcnt(0)
	; wave barrier
	s_waitcnt lgkmcnt(0)
	s_and_saveexec_b64 s[6:7], s[2:3]
	s_cbranch_execz .LBB121_903
; %bb.896:
	ds_read_b128 v[2:5], v9
	s_and_b64 vcc, exec, s[0:1]
	s_cbranch_vccnz .LBB121_898
; %bb.897:
	scratch_load_dwordx4 v[184:187], v8, off
	s_waitcnt vmcnt(0) lgkmcnt(0)
	v_mul_f64 v[76:77], v[2:3], v[186:187]
	v_mul_f64 v[6:7], v[4:5], v[186:187]
	v_fmac_f64_e32 v[76:77], v[4:5], v[184:185]
	v_fma_f64 v[2:3], v[2:3], v[184:185], -v[6:7]
	v_mov_b64_e32 v[4:5], v[76:77]
.LBB121_898:
	v_cmp_ne_u32_e32 vcc, 55, v0
	s_and_saveexec_b64 s[8:9], vcc
	s_cbranch_execz .LBB121_902
; %bb.899:
	v_mov_b32_e32 v7, 0
	v_add_u32_e32 v6, 0x3b0, v152
	v_add3_u32 v7, v152, v7, 24
	s_mov_b64 s[10:11], 0
	v_mov_b32_e32 v183, v0
.LBB121_900:                            ; =>This Inner Loop Header: Depth=1
	v_add_u32_e32 v76, -8, v7
	scratch_load_dwordx4 v[184:187], v76, off
	ds_read_b128 v[188:191], v6
	v_add_u32_e32 v183, 1, v183
	v_cmp_lt_u32_e32 vcc, 54, v183
	v_add_u32_e32 v6, 16, v6
	v_add_u32_e32 v7, 16, v7
	s_or_b64 s[10:11], vcc, s[10:11]
	s_waitcnt vmcnt(0) lgkmcnt(0)
	v_mul_f64 v[76:77], v[190:191], v[186:187]
	v_mul_f64 v[78:79], v[188:189], v[186:187]
	v_fma_f64 v[76:77], v[188:189], v[184:185], -v[76:77]
	v_fmac_f64_e32 v[78:79], v[190:191], v[184:185]
	v_add_f64 v[2:3], v[2:3], v[76:77]
	v_add_f64 v[4:5], v[4:5], v[78:79]
	s_andn2_b64 exec, exec, s[10:11]
	s_cbranch_execnz .LBB121_900
; %bb.901:
	s_or_b64 exec, exec, s[10:11]
.LBB121_902:
	s_or_b64 exec, exec, s[8:9]
	v_mov_b32_e32 v6, 0
	ds_read_b128 v[184:187], v6 offset:896
	s_waitcnt lgkmcnt(0)
	v_mul_f64 v[6:7], v[4:5], v[186:187]
	v_mul_f64 v[188:189], v[2:3], v[186:187]
	v_fma_f64 v[186:187], v[2:3], v[184:185], -v[6:7]
	v_fmac_f64_e32 v[188:189], v[4:5], v[184:185]
	scratch_store_dwordx4 off, v[186:189], off offset:896
.LBB121_903:
	s_or_b64 exec, exec, s[6:7]
	scratch_load_dwordx4 v[2:5], v1, off
	v_cmp_ne_u32_e32 vcc, 57, v0
                                        ; implicit-def: $vgpr6_vgpr7
                                        ; implicit-def: $vgpr183
	s_waitcnt vmcnt(0)
	ds_write_b128 v9, v[2:5]
	s_waitcnt lgkmcnt(0)
	; wave barrier
	s_waitcnt lgkmcnt(0)
	s_and_saveexec_b64 s[6:7], vcc
	s_cbranch_execz .LBB121_911
; %bb.904:
	ds_read_b128 v[2:5], v9
	s_and_b64 vcc, exec, s[0:1]
	s_cbranch_vccnz .LBB121_906
; %bb.905:
	scratch_load_dwordx4 v[6:9], v8, off
	s_waitcnt vmcnt(0) lgkmcnt(0)
	v_mul_f64 v[76:77], v[4:5], v[8:9]
	v_mul_f64 v[8:9], v[2:3], v[8:9]
	v_fmac_f64_e32 v[8:9], v[4:5], v[6:7]
	v_fma_f64 v[2:3], v[2:3], v[6:7], -v[76:77]
	v_mov_b64_e32 v[4:5], v[8:9]
.LBB121_906:
	s_and_saveexec_b64 s[0:1], s[2:3]
	s_cbranch_execz .LBB121_910
; %bb.907:
	v_mov_b32_e32 v7, 0
	v_add_u32_e32 v6, 0x3b0, v152
	v_add3_u32 v7, v152, v7, 24
	s_mov_b64 s[2:3], 0
.LBB121_908:                            ; =>This Inner Loop Header: Depth=1
	v_add_u32_e32 v8, -8, v7
	scratch_load_dwordx4 v[184:187], v8, off
	ds_read_b128 v[188:191], v6
	v_add_u32_e32 v0, 1, v0
	v_cmp_lt_u32_e32 vcc, 55, v0
	v_add_u32_e32 v6, 16, v6
	v_add_u32_e32 v7, 16, v7
	s_or_b64 s[2:3], vcc, s[2:3]
	s_waitcnt vmcnt(0) lgkmcnt(0)
	v_mul_f64 v[8:9], v[190:191], v[186:187]
	v_mul_f64 v[76:77], v[188:189], v[186:187]
	v_fma_f64 v[8:9], v[188:189], v[184:185], -v[8:9]
	v_fmac_f64_e32 v[76:77], v[190:191], v[184:185]
	v_add_f64 v[2:3], v[2:3], v[8:9]
	v_add_f64 v[4:5], v[4:5], v[76:77]
	s_andn2_b64 exec, exec, s[2:3]
	s_cbranch_execnz .LBB121_908
; %bb.909:
	s_or_b64 exec, exec, s[2:3]
.LBB121_910:
	s_or_b64 exec, exec, s[0:1]
	v_mov_b32_e32 v0, 0
	ds_read_b128 v[184:187], v0 offset:912
	v_mov_b32_e32 v0, 0
	v_add_u32_e32 v183, 0x398, v0
	s_or_b64 s[4:5], s[4:5], exec
	s_waitcnt lgkmcnt(0)
	v_mul_f64 v[8:9], v[4:5], v[186:187]
	v_mul_f64 v[6:7], v[2:3], v[186:187]
	v_fma_f64 v[2:3], v[2:3], v[184:185], -v[8:9]
	v_fmac_f64_e32 v[6:7], v[4:5], v[184:185]
	scratch_store_dwordx2 off, v[2:3], off offset:912
.LBB121_911:
	s_or_b64 exec, exec, s[6:7]
.LBB121_912:
	s_and_saveexec_b64 s[0:1], s[4:5]
	s_cbranch_execz .LBB121_914
; %bb.913:
	scratch_store_dwordx2 v183, v[6:7], off
.LBB121_914:
	s_or_b64 exec, exec, s[0:1]
	scratch_load_dwordx4 v[2:5], off, off
	scratch_load_dwordx4 v[6:9], v182, off
	s_nop 0
	scratch_load_dwordx4 v[182:185], v181, off
	scratch_load_dwordx4 v[186:189], v180, off
	scratch_load_dwordx4 v[190:193], v179, off
	s_nop 0
	scratch_load_dwordx4 v[178:181], v178, off
	s_nop 0
	scratch_load_dwordx4 v[194:197], v177, off
	scratch_load_dwordx4 v[198:201], v176, off
	scratch_load_dwordx4 v[202:205], v175, off
	s_nop 0
	;; [unrolled: 6-line block ×5, first 2 shown]
	scratch_load_dwordx4 v[162:165], v162, off
	s_nop 0
	scratch_load_dwordx4 v[242:245], v161, off
	scratch_load_dwordx4 v[246:249], v160, off
	;; [unrolled: 1-line block ×4, first 2 shown]
	s_waitcnt vmcnt(25)
	global_store_dwordx4 v[106:107], v[2:5], off
	scratch_load_dwordx4 v[2:5], v104, off
	s_nop 0
	scratch_load_dwordx4 v[104:107], v103, off
	s_waitcnt vmcnt(27)
	global_store_dwordx4 v[108:109], v[6:9], off
	scratch_load_dwordx4 v[6:9], v102, off
	s_nop 0
	scratch_load_dwordx4 v[80:83], v101, off
	s_waitcnt vmcnt(29)
	global_store_dwordx4 v[110:111], v[182:185], off
	scratch_load_dwordx4 v[100:103], v100, off
	s_nop 0
	scratch_load_dwordx4 v[108:111], v99, off
	s_waitcnt vmcnt(31)
	global_store_dwordx4 v[112:113], v[186:189], off
	scratch_load_dwordx4 v[182:185], v98, off
	s_nop 0
	scratch_load_dwordx4 v[186:189], v97, off
	s_waitcnt vmcnt(33)
	global_store_dwordx4 v[114:115], v[190:193], off
	scratch_load_dwordx4 v[96:99], v96, off
	s_nop 0
	scratch_load_dwordx4 v[112:115], v95, off
	s_waitcnt vmcnt(35)
	global_store_dwordx4 v[116:117], v[178:181], off
	scratch_load_dwordx4 v[178:181], v94, off
	s_nop 0
	scratch_load_dwordx4 v[190:193], v93, off
	s_waitcnt vmcnt(37)
	global_store_dwordx4 v[118:119], v[194:197], off
	scratch_load_dwordx4 v[92:95], v92, off
	s_nop 0
	scratch_load_dwordx4 v[116:119], v91, off
	s_waitcnt vmcnt(39)
	global_store_dwordx4 v[120:121], v[198:201], off
	scratch_load_dwordx4 v[194:197], v90, off
	s_nop 0
	scratch_load_dwordx4 v[198:201], v89, off
	s_waitcnt vmcnt(41)
	global_store_dwordx4 v[122:123], v[202:205], off
	scratch_load_dwordx4 v[88:91], v88, off
	s_nop 0
	scratch_load_dwordx4 v[120:123], v87, off
	s_waitcnt vmcnt(43)
	global_store_dwordx4 v[124:125], v[174:177], off
	scratch_load_dwordx4 v[174:177], v86, off
	s_nop 0
	scratch_load_dwordx4 v[202:205], v85, off
	s_waitcnt vmcnt(45)
	global_store_dwordx4 v[126:127], v[206:209], off
	scratch_load_dwordx4 v[84:87], v84, off
	s_nop 0
	scratch_load_dwordx4 v[124:127], v11, off
	s_waitcnt vmcnt(47)
	global_store_dwordx4 v[128:129], v[210:213], off
	scratch_load_dwordx4 v[206:209], v10, off
	s_nop 0
	scratch_load_dwordx4 v[210:213], v255, off
	v_accvgpr_read_b32 v11, a1
	s_waitcnt vmcnt(49)
	global_store_dwordx4 v[130:131], v[214:217], off
	scratch_load_dwordx4 v[128:131], v254, off
	s_nop 0
	scratch_load_dwordx4 v[214:217], v138, off
	v_accvgpr_read_b32 v10, a0
	s_waitcnt vmcnt(51)
	global_store_dwordx4 v[132:133], v[170:173], off
	scratch_load_dwordx4 v[170:173], v135, off
	s_nop 0
	scratch_load_dwordx4 v[132:135], v134, off
	s_waitcnt vmcnt(53)
	global_store_dwordx4 v[10:11], v[218:221], off
	v_accvgpr_read_b32 v11, a3
	v_accvgpr_read_b32 v10, a2
	scratch_load_dwordx4 v[218:221], v137, off
	s_nop 0
	scratch_load_dwordx4 v[136:139], v136, off
	s_waitcnt vmcnt(55)
	global_store_dwordx4 v[10:11], v[222:225], off
	scratch_load_dwordx4 v[222:225], v140, off
	s_nop 0
	scratch_load_dwordx4 v[140:143], v1, off
	v_accvgpr_read_b32 v0, a4
	v_accvgpr_read_b32 v1, a5
	s_waitcnt vmcnt(57)
	global_store_dwordx4 v[0:1], v[226:229], off
	v_accvgpr_read_b32 v0, a6
	v_accvgpr_read_b32 v1, a7
	s_waitcnt vmcnt(57)
	global_store_dwordx4 v[0:1], v[166:169], off
	;; [unrolled: 4-line block ×3, first 2 shown]
	s_waitcnt vmcnt(57)
	global_store_dwordx4 v[144:145], v[234:237], off
	s_waitcnt vmcnt(57)
	global_store_dwordx4 v[146:147], v[238:241], off
	;; [unrolled: 2-line block ×39, first 2 shown]
.LBB121_915:
	s_endpgm
	.section	.rodata,"a",@progbits
	.p2align	6, 0x0
	.amdhsa_kernel _ZN9rocsolver6v33100L18trti2_kernel_smallILi58E19rocblas_complex_numIdEPKPS3_EEv13rocblas_fill_17rocblas_diagonal_T1_iil
		.amdhsa_group_segment_fixed_size 1856
		.amdhsa_private_segment_fixed_size 944
		.amdhsa_kernarg_size 32
		.amdhsa_user_sgpr_count 2
		.amdhsa_user_sgpr_dispatch_ptr 0
		.amdhsa_user_sgpr_queue_ptr 0
		.amdhsa_user_sgpr_kernarg_segment_ptr 1
		.amdhsa_user_sgpr_dispatch_id 0
		.amdhsa_user_sgpr_kernarg_preload_length 0
		.amdhsa_user_sgpr_kernarg_preload_offset 0
		.amdhsa_user_sgpr_private_segment_size 0
		.amdhsa_uses_dynamic_stack 0
		.amdhsa_enable_private_segment 1
		.amdhsa_system_sgpr_workgroup_id_x 1
		.amdhsa_system_sgpr_workgroup_id_y 0
		.amdhsa_system_sgpr_workgroup_id_z 0
		.amdhsa_system_sgpr_workgroup_info 0
		.amdhsa_system_vgpr_workitem_id 0
		.amdhsa_next_free_vgpr 266
		.amdhsa_next_free_sgpr 12
		.amdhsa_accum_offset 256
		.amdhsa_reserve_vcc 1
		.amdhsa_float_round_mode_32 0
		.amdhsa_float_round_mode_16_64 0
		.amdhsa_float_denorm_mode_32 3
		.amdhsa_float_denorm_mode_16_64 3
		.amdhsa_dx10_clamp 1
		.amdhsa_ieee_mode 1
		.amdhsa_fp16_overflow 0
		.amdhsa_tg_split 0
		.amdhsa_exception_fp_ieee_invalid_op 0
		.amdhsa_exception_fp_denorm_src 0
		.amdhsa_exception_fp_ieee_div_zero 0
		.amdhsa_exception_fp_ieee_overflow 0
		.amdhsa_exception_fp_ieee_underflow 0
		.amdhsa_exception_fp_ieee_inexact 0
		.amdhsa_exception_int_div_zero 0
	.end_amdhsa_kernel
	.section	.text._ZN9rocsolver6v33100L18trti2_kernel_smallILi58E19rocblas_complex_numIdEPKPS3_EEv13rocblas_fill_17rocblas_diagonal_T1_iil,"axG",@progbits,_ZN9rocsolver6v33100L18trti2_kernel_smallILi58E19rocblas_complex_numIdEPKPS3_EEv13rocblas_fill_17rocblas_diagonal_T1_iil,comdat
.Lfunc_end121:
	.size	_ZN9rocsolver6v33100L18trti2_kernel_smallILi58E19rocblas_complex_numIdEPKPS3_EEv13rocblas_fill_17rocblas_diagonal_T1_iil, .Lfunc_end121-_ZN9rocsolver6v33100L18trti2_kernel_smallILi58E19rocblas_complex_numIdEPKPS3_EEv13rocblas_fill_17rocblas_diagonal_T1_iil
                                        ; -- End function
	.section	.AMDGPU.csdata,"",@progbits
; Kernel info:
; codeLenInByte = 38480
; NumSgprs: 18
; NumVgprs: 256
; NumAgprs: 10
; TotalNumVgprs: 266
; ScratchSize: 944
; MemoryBound: 0
; FloatMode: 240
; IeeeMode: 1
; LDSByteSize: 1856 bytes/workgroup (compile time only)
; SGPRBlocks: 2
; VGPRBlocks: 33
; NumSGPRsForWavesPerEU: 18
; NumVGPRsForWavesPerEU: 266
; AccumOffset: 256
; Occupancy: 1
; WaveLimiterHint : 1
; COMPUTE_PGM_RSRC2:SCRATCH_EN: 1
; COMPUTE_PGM_RSRC2:USER_SGPR: 2
; COMPUTE_PGM_RSRC2:TRAP_HANDLER: 0
; COMPUTE_PGM_RSRC2:TGID_X_EN: 1
; COMPUTE_PGM_RSRC2:TGID_Y_EN: 0
; COMPUTE_PGM_RSRC2:TGID_Z_EN: 0
; COMPUTE_PGM_RSRC2:TIDIG_COMP_CNT: 0
; COMPUTE_PGM_RSRC3_GFX90A:ACCUM_OFFSET: 63
; COMPUTE_PGM_RSRC3_GFX90A:TG_SPLIT: 0
	.section	.text._ZN9rocsolver6v33100L18trti2_kernel_smallILi59E19rocblas_complex_numIdEPKPS3_EEv13rocblas_fill_17rocblas_diagonal_T1_iil,"axG",@progbits,_ZN9rocsolver6v33100L18trti2_kernel_smallILi59E19rocblas_complex_numIdEPKPS3_EEv13rocblas_fill_17rocblas_diagonal_T1_iil,comdat
	.globl	_ZN9rocsolver6v33100L18trti2_kernel_smallILi59E19rocblas_complex_numIdEPKPS3_EEv13rocblas_fill_17rocblas_diagonal_T1_iil ; -- Begin function _ZN9rocsolver6v33100L18trti2_kernel_smallILi59E19rocblas_complex_numIdEPKPS3_EEv13rocblas_fill_17rocblas_diagonal_T1_iil
	.p2align	8
	.type	_ZN9rocsolver6v33100L18trti2_kernel_smallILi59E19rocblas_complex_numIdEPKPS3_EEv13rocblas_fill_17rocblas_diagonal_T1_iil,@function
_ZN9rocsolver6v33100L18trti2_kernel_smallILi59E19rocblas_complex_numIdEPKPS3_EEv13rocblas_fill_17rocblas_diagonal_T1_iil: ; @_ZN9rocsolver6v33100L18trti2_kernel_smallILi59E19rocblas_complex_numIdEPKPS3_EEv13rocblas_fill_17rocblas_diagonal_T1_iil
; %bb.0:
	v_cmp_gt_u32_e32 vcc, 59, v0
	s_and_saveexec_b64 s[4:5], vcc
	s_cbranch_execz .LBB122_931
; %bb.1:
	s_load_dwordx2 s[8:9], s[0:1], 0x10
	s_load_dwordx4 s[4:7], s[0:1], 0x0
	s_ashr_i32 s3, s2, 31
	s_lshl_b64 s[0:1], s[2:3], 3
	v_lshlrev_b32_e32 v66, 4, v0
	s_waitcnt lgkmcnt(0)
	s_ashr_i32 s3, s8, 31
	s_add_u32 s0, s6, s0
	s_addc_u32 s1, s7, s1
	s_load_dwordx2 s[0:1], s[0:1], 0x0
	s_mov_b32 s2, s8
	s_lshl_b64 s[2:3], s[2:3], 4
	v_mov_b32_e32 v67, 0
	v_mov_b32_e32 v1, 0
	s_waitcnt lgkmcnt(0)
	s_add_u32 s0, s0, s2
	s_addc_u32 s1, s1, s3
	v_lshl_add_u64 v[12:13], s[0:1], 0, v[66:67]
	s_ashr_i32 s3, s9, 31
	s_mov_b32 s2, s9
	v_lshl_add_u64 v[14:15], s[2:3], 4, v[12:13]
	s_add_i32 s2, s9, s9
	v_add_u32_e32 v10, s2, v0
	v_ashrrev_i32_e32 v11, 31, v10
	v_lshl_add_u64 v[16:17], v[10:11], 4, s[0:1]
	v_add_u32_e32 v10, s9, v10
	v_ashrrev_i32_e32 v11, 31, v10
	v_lshl_add_u64 v[18:19], v[10:11], 4, s[0:1]
	;; [unrolled: 3-line block ×6, first 2 shown]
	v_add_u32_e32 v10, s9, v10
	v_ashrrev_i32_e32 v11, 31, v10
	v_add_u32_e32 v30, s9, v10
	v_lshl_add_u64 v[28:29], v[10:11], 4, s[0:1]
	v_add_u32_e32 v10, s9, v30
	v_ashrrev_i32_e32 v11, 31, v10
	v_add_u32_e32 v34, s9, v10
	v_lshl_add_u64 v[32:33], v[10:11], 4, s[0:1]
	;; [unrolled: 4-line block ×3, first 2 shown]
	v_add_u32_e32 v10, s9, v40
	v_ashrrev_i32_e32 v41, 31, v40
	v_ashrrev_i32_e32 v11, 31, v10
	v_add_u32_e32 v42, s9, v10
	v_lshl_add_u64 v[38:39], v[40:41], 4, s[0:1]
	v_lshl_add_u64 v[40:41], v[10:11], 4, s[0:1]
	v_add_u32_e32 v10, s9, v42
	v_ashrrev_i32_e32 v11, 31, v10
	v_add_u32_e32 v46, s9, v10
	v_lshl_add_u64 v[44:45], v[10:11], 4, s[0:1]
	v_ashrrev_i32_e32 v47, 31, v46
	v_add_u32_e32 v10, s9, v46
	v_lshl_add_u64 v[50:51], v[46:47], 4, s[0:1]
	;; [unrolled: 3-line block ×3, first 2 shown]
	v_add_u32_e32 v10, s9, v46
	v_ashrrev_i32_e32 v11, 31, v10
	v_lshl_add_u64 v[52:53], v[10:11], 4, s[0:1]
	v_add_u32_e32 v10, s9, v10
	v_ashrrev_i32_e32 v11, 31, v10
	v_lshl_add_u64 v[54:55], v[10:11], 4, s[0:1]
	;; [unrolled: 3-line block ×5, first 2 shown]
	v_add_u32_e32 v10, s9, v10
	v_ashrrev_i32_e32 v31, 31, v30
	v_ashrrev_i32_e32 v35, 31, v34
	;; [unrolled: 1-line block ×4, first 2 shown]
	v_lshl_add_u64 v[30:31], v[30:31], 4, s[0:1]
	v_lshl_add_u64 v[34:35], v[34:35], 4, s[0:1]
	;; [unrolled: 1-line block ×3, first 2 shown]
	v_ashrrev_i32_e32 v47, 31, v46
	v_accvgpr_write_b32 a0, v50
	v_lshl_add_u64 v[62:63], v[10:11], 4, s[0:1]
	v_add_u32_e32 v10, s9, v10
	global_load_dwordx4 v[2:5], v66, s[0:1]
	global_load_dwordx4 v[6:9], v[14:15], off
	global_load_dwordx4 v[68:71], v[16:17], off
	;; [unrolled: 1-line block ×16, first 2 shown]
	v_accvgpr_write_b32 a1, v51
	global_load_dwordx4 v[128:131], v[50:51], off
	global_load_dwordx4 v[132:135], v[48:49], off
	v_lshl_add_u64 v[50:51], v[46:47], 4, s[0:1]
	v_ashrrev_i32_e32 v11, 31, v10
	global_load_dwordx4 v[136:139], v[50:51], off
	global_load_dwordx4 v[140:143], v[52:53], off
	;; [unrolled: 1-line block ×6, first 2 shown]
	v_lshl_add_u64 v[64:65], v[10:11], 4, s[0:1]
	global_load_dwordx4 v[160:163], v[62:63], off
	global_load_dwordx4 v[164:167], v[64:65], off
	s_cmpk_lg_i32 s5, 0x84
	s_cselect_b64 s[6:7], -1, 0
	s_cmpk_eq_i32 s5, 0x84
	s_waitcnt vmcnt(26)
	scratch_store_dwordx4 off, v[2:5], off
	s_waitcnt vmcnt(26)
	scratch_store_dwordx4 off, v[6:9], off offset:16
	s_waitcnt vmcnt(26)
	scratch_store_dwordx4 off, v[68:71], off offset:32
	;; [unrolled: 2-line block ×26, first 2 shown]
	v_add_u32_e32 v2, s9, v10
	v_add_u32_e32 v10, s9, v2
	v_ashrrev_i32_e32 v11, 31, v10
	v_lshl_add_u64 v[70:71], v[10:11], 4, s[0:1]
	v_add_u32_e32 v10, s9, v10
	v_ashrrev_i32_e32 v11, 31, v10
	v_lshl_add_u64 v[72:73], v[10:11], 4, s[0:1]
	;; [unrolled: 3-line block ×29, first 2 shown]
	v_add_u32_e32 v10, s9, v10
	v_ashrrev_i32_e32 v11, 31, v10
	v_ashrrev_i32_e32 v3, 31, v2
	v_lshl_add_u64 v[128:129], v[10:11], 4, s[0:1]
	v_add_u32_e32 v10, s9, v10
	v_lshl_add_u64 v[68:69], v[2:3], 4, s[0:1]
	v_ashrrev_i32_e32 v11, 31, v10
	global_load_dwordx4 v[2:5], v[68:69], off
	global_load_dwordx4 v[6:9], v[70:71], off
	;; [unrolled: 1-line block ×30, first 2 shown]
	v_lshl_add_u64 v[130:131], v[10:11], 4, s[0:1]
	global_load_dwordx4 v[244:247], v[128:129], off
	global_load_dwordx4 v[248:251], v[130:131], off
	s_waitcnt vmcnt(31)
	scratch_store_dwordx4 off, v[2:5], off offset:432
	s_waitcnt vmcnt(31)
	scratch_store_dwordx4 off, v[6:9], off offset:448
	;; [unrolled: 2-line block ×32, first 2 shown]
	s_cbranch_scc1 .LBB122_7
; %bb.2:
	scratch_load_dwordx4 v[8:11], v66, off
                                        ; implicit-def: $vgpr6_vgpr7
	s_waitcnt vmcnt(0)
	v_xor_b32_e32 v3, 0x80000000, v9
	v_cmp_gt_f64_e32 vcc, 0, v[8:9]
	v_xor_b32_e32 v4, 0x80000000, v11
	v_mov_b32_e32 v2, v8
	v_cndmask_b32_e32 v3, v9, v3, vcc
	v_cmp_gt_f64_e32 vcc, 0, v[10:11]
	s_nop 1
	v_cndmask_b32_e32 v5, v11, v4, vcc
	v_mov_b32_e32 v4, v10
	v_cmp_ngt_f64_e32 vcc, v[2:3], v[4:5]
                                        ; implicit-def: $vgpr2_vgpr3
	s_and_saveexec_b64 s[0:1], vcc
	s_xor_b64 s[0:1], exec, s[0:1]
	s_cbranch_execz .LBB122_4
; %bb.3:
	v_div_scale_f64 v[2:3], s[2:3], v[10:11], v[10:11], v[8:9]
	v_rcp_f64_e32 v[4:5], v[2:3]
	v_div_scale_f64 v[6:7], vcc, v[8:9], v[10:11], v[8:9]
	v_fma_f64 v[46:47], -v[2:3], v[4:5], 1.0
	v_fmac_f64_e32 v[4:5], v[4:5], v[46:47]
	v_fma_f64 v[46:47], -v[2:3], v[4:5], 1.0
	v_fmac_f64_e32 v[4:5], v[4:5], v[46:47]
	v_mul_f64 v[46:47], v[6:7], v[4:5]
	v_fma_f64 v[2:3], -v[2:3], v[46:47], v[6:7]
	v_div_fmas_f64 v[2:3], v[2:3], v[4:5], v[46:47]
	v_div_fixup_f64 v[2:3], v[2:3], v[10:11], v[8:9]
	v_fmac_f64_e32 v[10:11], v[8:9], v[2:3]
	v_div_scale_f64 v[4:5], s[2:3], v[10:11], v[10:11], 1.0
	v_rcp_f64_e32 v[6:7], v[4:5]
	s_nop 0
	v_fma_f64 v[8:9], -v[4:5], v[6:7], 1.0
	v_fmac_f64_e32 v[6:7], v[6:7], v[8:9]
	v_fma_f64 v[8:9], -v[4:5], v[6:7], 1.0
	v_fmac_f64_e32 v[6:7], v[6:7], v[8:9]
	v_div_scale_f64 v[8:9], vcc, 1.0, v[10:11], 1.0
	v_mul_f64 v[46:47], v[8:9], v[6:7]
	v_fma_f64 v[4:5], -v[4:5], v[46:47], v[8:9]
                                        ; implicit-def: $vgpr8_vgpr9
	s_nop 1
	v_div_fmas_f64 v[4:5], v[4:5], v[6:7], v[46:47]
	v_div_fixup_f64 v[4:5], v[4:5], v[10:11], 1.0
	v_mul_f64 v[2:3], v[2:3], v[4:5]
	v_xor_b32_e32 v5, 0x80000000, v5
	v_xor_b32_e32 v7, 0x80000000, v3
	v_mov_b32_e32 v6, v2
.LBB122_4:
	s_or_saveexec_b64 s[0:1], s[0:1]
	v_add_u32_e32 v67, 0, v66
	s_xor_b64 exec, exec, s[0:1]
	s_cbranch_execz .LBB122_6
; %bb.5:
	v_div_scale_f64 v[2:3], s[2:3], v[8:9], v[8:9], v[10:11]
	v_rcp_f64_e32 v[4:5], v[2:3]
	v_div_scale_f64 v[6:7], vcc, v[10:11], v[8:9], v[10:11]
	v_fma_f64 v[46:47], -v[2:3], v[4:5], 1.0
	v_fmac_f64_e32 v[4:5], v[4:5], v[46:47]
	v_fma_f64 v[46:47], -v[2:3], v[4:5], 1.0
	v_fmac_f64_e32 v[4:5], v[4:5], v[46:47]
	v_mul_f64 v[46:47], v[6:7], v[4:5]
	v_fma_f64 v[2:3], -v[2:3], v[46:47], v[6:7]
	v_div_fmas_f64 v[2:3], v[2:3], v[4:5], v[46:47]
	v_div_fixup_f64 v[4:5], v[2:3], v[8:9], v[10:11]
	v_fmac_f64_e32 v[8:9], v[10:11], v[4:5]
	v_div_scale_f64 v[2:3], s[2:3], v[8:9], v[8:9], 1.0
	v_rcp_f64_e32 v[6:7], v[2:3]
	s_nop 0
	v_fma_f64 v[10:11], -v[2:3], v[6:7], 1.0
	v_fmac_f64_e32 v[6:7], v[6:7], v[10:11]
	v_fma_f64 v[10:11], -v[2:3], v[6:7], 1.0
	v_fmac_f64_e32 v[6:7], v[6:7], v[10:11]
	v_div_scale_f64 v[10:11], vcc, 1.0, v[8:9], 1.0
	v_mul_f64 v[46:47], v[10:11], v[6:7]
	v_fma_f64 v[2:3], -v[2:3], v[46:47], v[10:11]
	s_nop 1
	v_div_fmas_f64 v[2:3], v[2:3], v[6:7], v[46:47]
	v_div_fixup_f64 v[2:3], v[2:3], v[8:9], 1.0
	v_xor_b32_e32 v7, 0x80000000, v3
	v_mov_b32_e32 v6, v2
	v_mul_f64 v[4:5], v[4:5], -v[2:3]
.LBB122_6:
	s_or_b64 exec, exec, s[0:1]
	scratch_store_dwordx4 v67, v[2:5], off
	s_nop 1
	v_xor_b32_e32 v5, 0x80000000, v5
	s_branch .LBB122_8
.LBB122_7:
	v_mov_b64_e32 v[4:5], 0
	v_mov_b64_e32 v[6:7], -1.0
.LBB122_8:
	v_mov_b32_e32 v8, v4
	v_mov_b32_e32 v9, v5
	v_add_u32_e32 v185, 16, v1
	v_add_u32_e32 v184, 32, v1
	;; [unrolled: 1-line block ×58, first 2 shown]
	ds_write_b128 v66, v[6:9]
	s_cmpk_eq_i32 s4, 0x79
	v_add_u32_e32 v9, 0x3b0, v66
	v_add_u32_e32 v8, 0, v66
	s_cbranch_scc1 .LBB122_468
; %bb.9:
	scratch_load_dwordx4 v[2:5], v10, off
	v_cmp_eq_u32_e64 s[0:1], 58, v0
	s_waitcnt vmcnt(0)
	ds_write_b128 v9, v[2:5]
	s_waitcnt lgkmcnt(0)
	; wave barrier
	s_waitcnt lgkmcnt(0)
	s_and_saveexec_b64 s[2:3], s[0:1]
	s_cbranch_execz .LBB122_13
; %bb.10:
	ds_read_b128 v[2:5], v9
	s_andn2_b64 vcc, exec, s[6:7]
	s_cbranch_vccnz .LBB122_12
; %bb.11:
	scratch_load_dwordx4 v[186:189], v8, off
	s_waitcnt vmcnt(0) lgkmcnt(0)
	v_mul_f64 v[46:47], v[2:3], v[188:189]
	v_mul_f64 v[6:7], v[4:5], v[188:189]
	v_fmac_f64_e32 v[46:47], v[4:5], v[186:187]
	v_fma_f64 v[2:3], v[2:3], v[186:187], -v[6:7]
	v_mov_b64_e32 v[4:5], v[46:47]
.LBB122_12:
	v_mov_b32_e32 v6, 0
	ds_read_b128 v[186:189], v6 offset:912
	s_waitcnt lgkmcnt(0)
	v_mul_f64 v[6:7], v[4:5], v[188:189]
	v_mul_f64 v[190:191], v[2:3], v[188:189]
	v_fma_f64 v[188:189], v[2:3], v[186:187], -v[6:7]
	v_fmac_f64_e32 v[190:191], v[4:5], v[186:187]
	scratch_store_dwordx4 off, v[188:191], off offset:912
.LBB122_13:
	s_or_b64 exec, exec, s[2:3]
	scratch_load_dwordx4 v[2:5], v11, off
	v_cmp_lt_u32_e64 s[2:3], 56, v0
	s_waitcnt vmcnt(0)
	ds_write_b128 v9, v[2:5]
	s_waitcnt lgkmcnt(0)
	; wave barrier
	s_waitcnt lgkmcnt(0)
	s_and_saveexec_b64 s[4:5], s[2:3]
	s_cbranch_execz .LBB122_19
; %bb.14:
	ds_read_b128 v[2:5], v9
	s_andn2_b64 vcc, exec, s[6:7]
	s_cbranch_vccnz .LBB122_16
; %bb.15:
	scratch_load_dwordx4 v[186:189], v8, off
	s_waitcnt vmcnt(0) lgkmcnt(0)
	v_mul_f64 v[46:47], v[2:3], v[188:189]
	v_mul_f64 v[6:7], v[4:5], v[188:189]
	v_fmac_f64_e32 v[46:47], v[4:5], v[186:187]
	v_fma_f64 v[2:3], v[2:3], v[186:187], -v[6:7]
	v_mov_b64_e32 v[4:5], v[46:47]
.LBB122_16:
	s_and_saveexec_b64 s[8:9], s[0:1]
	s_cbranch_execz .LBB122_18
; %bb.17:
	scratch_load_dwordx4 v[186:189], off, off offset:912
	v_mov_b32_e32 v6, 0
	ds_read_b128 v[190:193], v6 offset:1856
	s_waitcnt vmcnt(0) lgkmcnt(0)
	v_mul_f64 v[6:7], v[190:191], v[188:189]
	v_mul_f64 v[46:47], v[192:193], v[188:189]
	v_fmac_f64_e32 v[6:7], v[192:193], v[186:187]
	v_fma_f64 v[46:47], v[190:191], v[186:187], -v[46:47]
	v_add_f64 v[4:5], v[4:5], v[6:7]
	v_add_f64 v[2:3], v[2:3], v[46:47]
.LBB122_18:
	s_or_b64 exec, exec, s[8:9]
	v_mov_b32_e32 v6, 0
	ds_read_b128 v[186:189], v6 offset:896
	s_waitcnt lgkmcnt(0)
	v_mul_f64 v[6:7], v[4:5], v[188:189]
	v_mul_f64 v[190:191], v[2:3], v[188:189]
	v_fma_f64 v[188:189], v[2:3], v[186:187], -v[6:7]
	v_fmac_f64_e32 v[190:191], v[4:5], v[186:187]
	scratch_store_dwordx4 off, v[188:191], off offset:896
.LBB122_19:
	s_or_b64 exec, exec, s[4:5]
	scratch_load_dwordx4 v[2:5], v67, off
	v_cmp_lt_u32_e64 s[0:1], 55, v0
	s_waitcnt vmcnt(0)
	ds_write_b128 v9, v[2:5]
	s_waitcnt lgkmcnt(0)
	; wave barrier
	s_waitcnt lgkmcnt(0)
	s_and_saveexec_b64 s[4:5], s[0:1]
	s_cbranch_execz .LBB122_27
; %bb.20:
	ds_read_b128 v[2:5], v9
	s_andn2_b64 vcc, exec, s[6:7]
	s_cbranch_vccnz .LBB122_22
; %bb.21:
	scratch_load_dwordx4 v[186:189], v8, off
	s_waitcnt vmcnt(0) lgkmcnt(0)
	v_mul_f64 v[46:47], v[2:3], v[188:189]
	v_mul_f64 v[6:7], v[4:5], v[188:189]
	v_fmac_f64_e32 v[46:47], v[4:5], v[186:187]
	v_fma_f64 v[2:3], v[2:3], v[186:187], -v[6:7]
	v_mov_b64_e32 v[4:5], v[46:47]
.LBB122_22:
	s_and_saveexec_b64 s[8:9], s[2:3]
	s_cbranch_execz .LBB122_26
; %bb.23:
	v_mov_b32_e32 v7, 0
	v_subrev_u32_e32 v6, 56, v0
	v_add_u32_e32 v7, 0x388, v7
	s_movk_i32 s10, 0x730
	s_mov_b64 s[2:3], 0
.LBB122_24:                             ; =>This Inner Loop Header: Depth=1
	v_add_u32_e32 v46, -8, v7
	scratch_load_dwordx4 v[186:189], v46, off
	v_mov_b32_e32 v46, s10
	ds_read_b128 v[190:193], v46
	v_add_u32_e32 v6, -1, v6
	s_add_i32 s10, s10, 16
	v_cmp_eq_u32_e32 vcc, 0, v6
	v_add_u32_e32 v7, 16, v7
	s_or_b64 s[2:3], vcc, s[2:3]
	s_waitcnt vmcnt(0) lgkmcnt(0)
	v_mul_f64 v[46:47], v[192:193], v[188:189]
	v_mul_f64 v[188:189], v[190:191], v[188:189]
	v_fma_f64 v[46:47], v[190:191], v[186:187], -v[46:47]
	v_fmac_f64_e32 v[188:189], v[192:193], v[186:187]
	v_add_f64 v[2:3], v[2:3], v[46:47]
	v_add_f64 v[4:5], v[4:5], v[188:189]
	s_andn2_b64 exec, exec, s[2:3]
	s_cbranch_execnz .LBB122_24
; %bb.25:
	s_or_b64 exec, exec, s[2:3]
.LBB122_26:
	s_or_b64 exec, exec, s[8:9]
	v_mov_b32_e32 v6, 0
	ds_read_b128 v[186:189], v6 offset:880
	s_waitcnt lgkmcnt(0)
	v_mul_f64 v[6:7], v[4:5], v[188:189]
	v_mul_f64 v[190:191], v[2:3], v[188:189]
	v_fma_f64 v[188:189], v[2:3], v[186:187], -v[6:7]
	v_fmac_f64_e32 v[190:191], v[4:5], v[186:187]
	scratch_store_dwordx4 off, v[188:191], off offset:880
.LBB122_27:
	s_or_b64 exec, exec, s[4:5]
	scratch_load_dwordx4 v[2:5], v132, off
	v_cmp_lt_u32_e64 s[2:3], 54, v0
	s_waitcnt vmcnt(0)
	ds_write_b128 v9, v[2:5]
	s_waitcnt lgkmcnt(0)
	; wave barrier
	s_waitcnt lgkmcnt(0)
	s_and_saveexec_b64 s[4:5], s[2:3]
	s_cbranch_execz .LBB122_35
; %bb.28:
	ds_read_b128 v[2:5], v9
	s_andn2_b64 vcc, exec, s[6:7]
	s_cbranch_vccnz .LBB122_30
; %bb.29:
	scratch_load_dwordx4 v[186:189], v8, off
	s_waitcnt vmcnt(0) lgkmcnt(0)
	v_mul_f64 v[46:47], v[2:3], v[188:189]
	v_mul_f64 v[6:7], v[4:5], v[188:189]
	v_fmac_f64_e32 v[46:47], v[4:5], v[186:187]
	v_fma_f64 v[2:3], v[2:3], v[186:187], -v[6:7]
	v_mov_b64_e32 v[4:5], v[46:47]
.LBB122_30:
	s_and_saveexec_b64 s[8:9], s[0:1]
	s_cbranch_execz .LBB122_34
; %bb.31:
	v_mov_b32_e32 v7, 0
	v_subrev_u32_e32 v6, 55, v0
	v_add_u32_e32 v7, 0x378, v7
	s_movk_i32 s10, 0x720
	s_mov_b64 s[0:1], 0
.LBB122_32:                             ; =>This Inner Loop Header: Depth=1
	v_add_u32_e32 v46, -8, v7
	scratch_load_dwordx4 v[186:189], v46, off
	v_mov_b32_e32 v46, s10
	ds_read_b128 v[190:193], v46
	v_add_u32_e32 v6, -1, v6
	s_add_i32 s10, s10, 16
	v_cmp_eq_u32_e32 vcc, 0, v6
	v_add_u32_e32 v7, 16, v7
	s_or_b64 s[0:1], vcc, s[0:1]
	s_waitcnt vmcnt(0) lgkmcnt(0)
	v_mul_f64 v[46:47], v[192:193], v[188:189]
	v_mul_f64 v[188:189], v[190:191], v[188:189]
	v_fma_f64 v[46:47], v[190:191], v[186:187], -v[46:47]
	v_fmac_f64_e32 v[188:189], v[192:193], v[186:187]
	v_add_f64 v[2:3], v[2:3], v[46:47]
	v_add_f64 v[4:5], v[4:5], v[188:189]
	s_andn2_b64 exec, exec, s[0:1]
	s_cbranch_execnz .LBB122_32
; %bb.33:
	s_or_b64 exec, exec, s[0:1]
.LBB122_34:
	s_or_b64 exec, exec, s[8:9]
	v_mov_b32_e32 v6, 0
	ds_read_b128 v[186:189], v6 offset:864
	s_waitcnt lgkmcnt(0)
	v_mul_f64 v[6:7], v[4:5], v[188:189]
	v_mul_f64 v[190:191], v[2:3], v[188:189]
	v_fma_f64 v[188:189], v[2:3], v[186:187], -v[6:7]
	v_fmac_f64_e32 v[190:191], v[4:5], v[186:187]
	scratch_store_dwordx4 off, v[188:191], off offset:864
.LBB122_35:
	;; [unrolled: 63-line block ×10, first 2 shown]
	s_or_b64 exec, exec, s[4:5]
	scratch_load_dwordx4 v[2:5], v141, off
	v_cmp_lt_u32_e64 s[0:1], 45, v0
	s_waitcnt vmcnt(0)
	ds_write_b128 v9, v[2:5]
	s_waitcnt lgkmcnt(0)
	; wave barrier
	s_waitcnt lgkmcnt(0)
	s_and_saveexec_b64 s[4:5], s[0:1]
	s_cbranch_execz .LBB122_107
; %bb.100:
	ds_read_b128 v[2:5], v9
	s_andn2_b64 vcc, exec, s[6:7]
	s_cbranch_vccnz .LBB122_102
; %bb.101:
	scratch_load_dwordx4 v[186:189], v8, off
	s_waitcnt vmcnt(0) lgkmcnt(0)
	v_mul_f64 v[46:47], v[2:3], v[188:189]
	v_mul_f64 v[6:7], v[4:5], v[188:189]
	v_fmac_f64_e32 v[46:47], v[4:5], v[186:187]
	v_fma_f64 v[2:3], v[2:3], v[186:187], -v[6:7]
	v_mov_b64_e32 v[4:5], v[46:47]
.LBB122_102:
	s_and_saveexec_b64 s[8:9], s[2:3]
	s_cbranch_execz .LBB122_106
; %bb.103:
	v_mov_b32_e32 v7, 0
	v_subrev_u32_e32 v6, 46, v0
	v_add_u32_e32 v7, 0x2e8, v7
	s_movk_i32 s10, 0x690
	s_mov_b64 s[2:3], 0
.LBB122_104:                            ; =>This Inner Loop Header: Depth=1
	v_add_u32_e32 v46, -8, v7
	scratch_load_dwordx4 v[186:189], v46, off
	v_mov_b32_e32 v46, s10
	ds_read_b128 v[190:193], v46
	v_add_u32_e32 v6, -1, v6
	s_add_i32 s10, s10, 16
	v_cmp_eq_u32_e32 vcc, 0, v6
	v_add_u32_e32 v7, 16, v7
	s_or_b64 s[2:3], vcc, s[2:3]
	s_waitcnt vmcnt(0) lgkmcnt(0)
	v_mul_f64 v[46:47], v[192:193], v[188:189]
	v_mul_f64 v[188:189], v[190:191], v[188:189]
	v_fma_f64 v[46:47], v[190:191], v[186:187], -v[46:47]
	v_fmac_f64_e32 v[188:189], v[192:193], v[186:187]
	v_add_f64 v[2:3], v[2:3], v[46:47]
	v_add_f64 v[4:5], v[4:5], v[188:189]
	s_andn2_b64 exec, exec, s[2:3]
	s_cbranch_execnz .LBB122_104
; %bb.105:
	s_or_b64 exec, exec, s[2:3]
.LBB122_106:
	s_or_b64 exec, exec, s[8:9]
	v_mov_b32_e32 v6, 0
	ds_read_b128 v[186:189], v6 offset:720
	s_waitcnt lgkmcnt(0)
	v_mul_f64 v[6:7], v[4:5], v[188:189]
	v_mul_f64 v[190:191], v[2:3], v[188:189]
	v_fma_f64 v[188:189], v[2:3], v[186:187], -v[6:7]
	v_fmac_f64_e32 v[190:191], v[4:5], v[186:187]
	scratch_store_dwordx4 off, v[188:191], off offset:720
.LBB122_107:
	s_or_b64 exec, exec, s[4:5]
	scratch_load_dwordx4 v[2:5], v142, off
	v_cmp_lt_u32_e64 s[2:3], 44, v0
	s_waitcnt vmcnt(0)
	ds_write_b128 v9, v[2:5]
	s_waitcnt lgkmcnt(0)
	; wave barrier
	s_waitcnt lgkmcnt(0)
	s_and_saveexec_b64 s[4:5], s[2:3]
	s_cbranch_execz .LBB122_115
; %bb.108:
	ds_read_b128 v[2:5], v9
	s_andn2_b64 vcc, exec, s[6:7]
	s_cbranch_vccnz .LBB122_110
; %bb.109:
	scratch_load_dwordx4 v[186:189], v8, off
	s_waitcnt vmcnt(0) lgkmcnt(0)
	v_mul_f64 v[46:47], v[2:3], v[188:189]
	v_mul_f64 v[6:7], v[4:5], v[188:189]
	v_fmac_f64_e32 v[46:47], v[4:5], v[186:187]
	v_fma_f64 v[2:3], v[2:3], v[186:187], -v[6:7]
	v_mov_b64_e32 v[4:5], v[46:47]
.LBB122_110:
	s_and_saveexec_b64 s[8:9], s[0:1]
	s_cbranch_execz .LBB122_114
; %bb.111:
	v_mov_b32_e32 v7, 0
	v_subrev_u32_e32 v6, 45, v0
	v_add_u32_e32 v7, 0x2d8, v7
	s_movk_i32 s10, 0x680
	s_mov_b64 s[0:1], 0
.LBB122_112:                            ; =>This Inner Loop Header: Depth=1
	v_add_u32_e32 v46, -8, v7
	scratch_load_dwordx4 v[186:189], v46, off
	v_mov_b32_e32 v46, s10
	ds_read_b128 v[190:193], v46
	v_add_u32_e32 v6, -1, v6
	s_add_i32 s10, s10, 16
	v_cmp_eq_u32_e32 vcc, 0, v6
	v_add_u32_e32 v7, 16, v7
	s_or_b64 s[0:1], vcc, s[0:1]
	s_waitcnt vmcnt(0) lgkmcnt(0)
	v_mul_f64 v[46:47], v[192:193], v[188:189]
	v_mul_f64 v[188:189], v[190:191], v[188:189]
	v_fma_f64 v[46:47], v[190:191], v[186:187], -v[46:47]
	v_fmac_f64_e32 v[188:189], v[192:193], v[186:187]
	v_add_f64 v[2:3], v[2:3], v[46:47]
	v_add_f64 v[4:5], v[4:5], v[188:189]
	s_andn2_b64 exec, exec, s[0:1]
	s_cbranch_execnz .LBB122_112
; %bb.113:
	s_or_b64 exec, exec, s[0:1]
.LBB122_114:
	s_or_b64 exec, exec, s[8:9]
	v_mov_b32_e32 v6, 0
	ds_read_b128 v[186:189], v6 offset:704
	s_waitcnt lgkmcnt(0)
	v_mul_f64 v[6:7], v[4:5], v[188:189]
	v_mul_f64 v[190:191], v[2:3], v[188:189]
	v_fma_f64 v[188:189], v[2:3], v[186:187], -v[6:7]
	v_fmac_f64_e32 v[190:191], v[4:5], v[186:187]
	scratch_store_dwordx4 off, v[188:191], off offset:704
.LBB122_115:
	;; [unrolled: 63-line block ×30, first 2 shown]
	s_or_b64 exec, exec, s[4:5]
	scratch_load_dwordx4 v[2:5], v171, off
	v_cmp_lt_u32_e64 s[0:1], 15, v0
	s_waitcnt vmcnt(0)
	ds_write_b128 v9, v[2:5]
	s_waitcnt lgkmcnt(0)
	; wave barrier
	s_waitcnt lgkmcnt(0)
	s_and_saveexec_b64 s[4:5], s[0:1]
	s_cbranch_execz .LBB122_347
; %bb.340:
	ds_read_b128 v[2:5], v9
	s_andn2_b64 vcc, exec, s[6:7]
	s_cbranch_vccnz .LBB122_342
; %bb.341:
	scratch_load_dwordx4 v[186:189], v8, off
	s_waitcnt vmcnt(0) lgkmcnt(0)
	v_mul_f64 v[46:47], v[2:3], v[188:189]
	v_mul_f64 v[6:7], v[4:5], v[188:189]
	v_fmac_f64_e32 v[46:47], v[4:5], v[186:187]
	v_fma_f64 v[2:3], v[2:3], v[186:187], -v[6:7]
	v_mov_b64_e32 v[4:5], v[46:47]
.LBB122_342:
	s_and_saveexec_b64 s[8:9], s[2:3]
	s_cbranch_execz .LBB122_346
; %bb.343:
	v_mov_b32_e32 v7, 0
	v_add_u32_e32 v6, -16, v0
	v_add_u32_e32 v7, 0x108, v7
	s_movk_i32 s10, 0x4b0
	s_mov_b64 s[2:3], 0
.LBB122_344:                            ; =>This Inner Loop Header: Depth=1
	v_add_u32_e32 v46, -8, v7
	scratch_load_dwordx4 v[186:189], v46, off
	v_mov_b32_e32 v46, s10
	ds_read_b128 v[190:193], v46
	v_add_u32_e32 v6, -1, v6
	s_add_i32 s10, s10, 16
	v_cmp_eq_u32_e32 vcc, 0, v6
	v_add_u32_e32 v7, 16, v7
	s_or_b64 s[2:3], vcc, s[2:3]
	s_waitcnt vmcnt(0) lgkmcnt(0)
	v_mul_f64 v[46:47], v[192:193], v[188:189]
	v_mul_f64 v[188:189], v[190:191], v[188:189]
	v_fma_f64 v[46:47], v[190:191], v[186:187], -v[46:47]
	v_fmac_f64_e32 v[188:189], v[192:193], v[186:187]
	v_add_f64 v[2:3], v[2:3], v[46:47]
	v_add_f64 v[4:5], v[4:5], v[188:189]
	s_andn2_b64 exec, exec, s[2:3]
	s_cbranch_execnz .LBB122_344
; %bb.345:
	s_or_b64 exec, exec, s[2:3]
.LBB122_346:
	s_or_b64 exec, exec, s[8:9]
	v_mov_b32_e32 v6, 0
	ds_read_b128 v[186:189], v6 offset:240
	s_waitcnt lgkmcnt(0)
	v_mul_f64 v[6:7], v[4:5], v[188:189]
	v_mul_f64 v[190:191], v[2:3], v[188:189]
	v_fma_f64 v[188:189], v[2:3], v[186:187], -v[6:7]
	v_fmac_f64_e32 v[190:191], v[4:5], v[186:187]
	scratch_store_dwordx4 off, v[188:191], off offset:240
.LBB122_347:
	s_or_b64 exec, exec, s[4:5]
	scratch_load_dwordx4 v[2:5], v172, off
	v_cmp_lt_u32_e64 s[2:3], 14, v0
	s_waitcnt vmcnt(0)
	ds_write_b128 v9, v[2:5]
	s_waitcnt lgkmcnt(0)
	; wave barrier
	s_waitcnt lgkmcnt(0)
	s_and_saveexec_b64 s[4:5], s[2:3]
	s_cbranch_execz .LBB122_355
; %bb.348:
	ds_read_b128 v[2:5], v9
	s_andn2_b64 vcc, exec, s[6:7]
	s_cbranch_vccnz .LBB122_350
; %bb.349:
	scratch_load_dwordx4 v[186:189], v8, off
	s_waitcnt vmcnt(0) lgkmcnt(0)
	v_mul_f64 v[46:47], v[2:3], v[188:189]
	v_mul_f64 v[6:7], v[4:5], v[188:189]
	v_fmac_f64_e32 v[46:47], v[4:5], v[186:187]
	v_fma_f64 v[2:3], v[2:3], v[186:187], -v[6:7]
	v_mov_b64_e32 v[4:5], v[46:47]
.LBB122_350:
	s_and_saveexec_b64 s[8:9], s[0:1]
	s_cbranch_execz .LBB122_354
; %bb.351:
	v_mov_b32_e32 v7, 0
	v_add_u32_e32 v6, -15, v0
	v_add_u32_e32 v7, 0xf8, v7
	s_movk_i32 s10, 0x4a0
	s_mov_b64 s[0:1], 0
.LBB122_352:                            ; =>This Inner Loop Header: Depth=1
	v_add_u32_e32 v46, -8, v7
	scratch_load_dwordx4 v[186:189], v46, off
	v_mov_b32_e32 v46, s10
	ds_read_b128 v[190:193], v46
	v_add_u32_e32 v6, -1, v6
	s_add_i32 s10, s10, 16
	v_cmp_eq_u32_e32 vcc, 0, v6
	v_add_u32_e32 v7, 16, v7
	s_or_b64 s[0:1], vcc, s[0:1]
	s_waitcnt vmcnt(0) lgkmcnt(0)
	v_mul_f64 v[46:47], v[192:193], v[188:189]
	v_mul_f64 v[188:189], v[190:191], v[188:189]
	v_fma_f64 v[46:47], v[190:191], v[186:187], -v[46:47]
	v_fmac_f64_e32 v[188:189], v[192:193], v[186:187]
	v_add_f64 v[2:3], v[2:3], v[46:47]
	v_add_f64 v[4:5], v[4:5], v[188:189]
	s_andn2_b64 exec, exec, s[0:1]
	s_cbranch_execnz .LBB122_352
; %bb.353:
	s_or_b64 exec, exec, s[0:1]
.LBB122_354:
	s_or_b64 exec, exec, s[8:9]
	v_mov_b32_e32 v6, 0
	ds_read_b128 v[186:189], v6 offset:224
	s_waitcnt lgkmcnt(0)
	v_mul_f64 v[6:7], v[4:5], v[188:189]
	v_mul_f64 v[190:191], v[2:3], v[188:189]
	v_fma_f64 v[188:189], v[2:3], v[186:187], -v[6:7]
	v_fmac_f64_e32 v[190:191], v[4:5], v[186:187]
	scratch_store_dwordx4 off, v[188:191], off offset:224
.LBB122_355:
	;; [unrolled: 63-line block ×15, first 2 shown]
	s_or_b64 exec, exec, s[4:5]
	scratch_load_dwordx4 v[2:5], off, off
	v_cmp_ne_u32_e32 vcc, 0, v0
	s_mov_b64 s[2:3], 0
	s_mov_b64 s[4:5], 0
                                        ; implicit-def: $vgpr6_vgpr7
                                        ; implicit-def: $vgpr186
	s_waitcnt vmcnt(0)
	ds_write_b128 v9, v[2:5]
	s_waitcnt lgkmcnt(0)
	; wave barrier
	s_waitcnt lgkmcnt(0)
	s_and_saveexec_b64 s[8:9], vcc
	s_cbranch_execz .LBB122_467
; %bb.460:
	ds_read_b128 v[2:5], v9
	s_andn2_b64 vcc, exec, s[6:7]
	s_cbranch_vccnz .LBB122_462
; %bb.461:
	scratch_load_dwordx4 v[186:189], v8, off
	s_waitcnt vmcnt(0) lgkmcnt(0)
	v_mul_f64 v[46:47], v[2:3], v[188:189]
	v_mul_f64 v[6:7], v[4:5], v[188:189]
	v_fmac_f64_e32 v[46:47], v[4:5], v[186:187]
	v_fma_f64 v[2:3], v[2:3], v[186:187], -v[6:7]
	v_mov_b64_e32 v[4:5], v[46:47]
.LBB122_462:
	s_and_saveexec_b64 s[4:5], s[0:1]
	s_cbranch_execz .LBB122_466
; %bb.463:
	v_mov_b32_e32 v7, 0
	v_add_u32_e32 v6, -1, v0
	v_add_u32_e32 v7, 24, v7
	s_movk_i32 s10, 0x3c0
	s_mov_b64 s[0:1], 0
.LBB122_464:                            ; =>This Inner Loop Header: Depth=1
	v_add_u32_e32 v46, -8, v7
	scratch_load_dwordx4 v[186:189], v46, off
	v_mov_b32_e32 v46, s10
	ds_read_b128 v[190:193], v46
	v_add_u32_e32 v6, -1, v6
	s_add_i32 s10, s10, 16
	v_cmp_eq_u32_e32 vcc, 0, v6
	v_add_u32_e32 v7, 16, v7
	s_or_b64 s[0:1], vcc, s[0:1]
	s_waitcnt vmcnt(0) lgkmcnt(0)
	v_mul_f64 v[46:47], v[192:193], v[188:189]
	v_mul_f64 v[188:189], v[190:191], v[188:189]
	v_fma_f64 v[46:47], v[190:191], v[186:187], -v[46:47]
	v_fmac_f64_e32 v[188:189], v[192:193], v[186:187]
	v_add_f64 v[2:3], v[2:3], v[46:47]
	v_add_f64 v[4:5], v[4:5], v[188:189]
	s_andn2_b64 exec, exec, s[0:1]
	s_cbranch_execnz .LBB122_464
; %bb.465:
	s_or_b64 exec, exec, s[0:1]
.LBB122_466:
	s_or_b64 exec, exec, s[4:5]
	v_mov_b32_e32 v6, 0
	ds_read_b128 v[188:191], v6
	v_mov_b32_e32 v6, 0
	v_or_b32_e32 v186, 8, v6
	s_mov_b64 s[4:5], exec
	s_waitcnt lgkmcnt(0)
	v_mul_f64 v[46:47], v[4:5], v[190:191]
	v_mul_f64 v[6:7], v[2:3], v[190:191]
	v_fma_f64 v[2:3], v[2:3], v[188:189], -v[46:47]
	v_fmac_f64_e32 v[6:7], v[4:5], v[188:189]
	scratch_store_dwordx2 off, v[2:3], off
.LBB122_467:
	s_or_b64 exec, exec, s[8:9]
	s_and_b64 vcc, exec, s[2:3]
	s_cbranch_vccnz .LBB122_469
	s_branch .LBB122_928
.LBB122_468:
	s_mov_b64 s[4:5], 0
                                        ; implicit-def: $vgpr6_vgpr7
                                        ; implicit-def: $vgpr186
	s_cbranch_execz .LBB122_928
.LBB122_469:
	scratch_load_dwordx4 v[2:5], v185, off
	v_cndmask_b32_e64 v6, 0, 1, s[6:7]
	v_cmp_eq_u32_e64 s[2:3], 0, v0
	v_cmp_ne_u32_e64 s[0:1], 1, v6
	s_waitcnt vmcnt(0)
	ds_write_b128 v9, v[2:5]
	s_waitcnt lgkmcnt(0)
	; wave barrier
	s_waitcnt lgkmcnt(0)
	s_and_saveexec_b64 s[6:7], s[2:3]
	s_cbranch_execz .LBB122_473
; %bb.470:
	ds_read_b128 v[2:5], v9
	s_and_b64 vcc, exec, s[0:1]
	s_cbranch_vccnz .LBB122_472
; %bb.471:
	scratch_load_dwordx4 v[186:189], v8, off
	s_waitcnt vmcnt(0) lgkmcnt(0)
	v_mul_f64 v[46:47], v[2:3], v[188:189]
	v_mul_f64 v[6:7], v[4:5], v[188:189]
	v_fmac_f64_e32 v[46:47], v[4:5], v[186:187]
	v_fma_f64 v[2:3], v[2:3], v[186:187], -v[6:7]
	v_mov_b64_e32 v[4:5], v[46:47]
.LBB122_472:
	v_mov_b32_e32 v6, 0
	ds_read_b128 v[186:189], v6 offset:16
	s_waitcnt lgkmcnt(0)
	v_mul_f64 v[6:7], v[4:5], v[188:189]
	v_mul_f64 v[190:191], v[2:3], v[188:189]
	v_fma_f64 v[188:189], v[2:3], v[186:187], -v[6:7]
	v_fmac_f64_e32 v[190:191], v[4:5], v[186:187]
	scratch_store_dwordx4 off, v[188:191], off offset:16
.LBB122_473:
	s_or_b64 exec, exec, s[6:7]
	scratch_load_dwordx4 v[2:5], v184, off
	v_cmp_gt_u32_e32 vcc, 2, v0
	s_waitcnt vmcnt(0)
	ds_write_b128 v9, v[2:5]
	s_waitcnt lgkmcnt(0)
	; wave barrier
	s_waitcnt lgkmcnt(0)
	s_and_saveexec_b64 s[6:7], vcc
	s_cbranch_execz .LBB122_479
; %bb.474:
	ds_read_b128 v[2:5], v9
	s_and_b64 vcc, exec, s[0:1]
	s_cbranch_vccnz .LBB122_476
; %bb.475:
	scratch_load_dwordx4 v[186:189], v8, off
	s_waitcnt vmcnt(0) lgkmcnt(0)
	v_mul_f64 v[46:47], v[2:3], v[188:189]
	v_mul_f64 v[6:7], v[4:5], v[188:189]
	v_fmac_f64_e32 v[46:47], v[4:5], v[186:187]
	v_fma_f64 v[2:3], v[2:3], v[186:187], -v[6:7]
	v_mov_b64_e32 v[4:5], v[46:47]
.LBB122_476:
	s_and_saveexec_b64 s[8:9], s[2:3]
	s_cbranch_execz .LBB122_478
; %bb.477:
	scratch_load_dwordx4 v[186:189], v8, off offset:16
	ds_read_b128 v[190:193], v9 offset:16
	s_waitcnt vmcnt(0) lgkmcnt(0)
	v_mul_f64 v[6:7], v[192:193], v[188:189]
	v_mul_f64 v[46:47], v[190:191], v[188:189]
	v_fma_f64 v[6:7], v[190:191], v[186:187], -v[6:7]
	v_fmac_f64_e32 v[46:47], v[192:193], v[186:187]
	v_add_f64 v[2:3], v[2:3], v[6:7]
	v_add_f64 v[4:5], v[4:5], v[46:47]
.LBB122_478:
	s_or_b64 exec, exec, s[8:9]
	v_mov_b32_e32 v6, 0
	ds_read_b128 v[186:189], v6 offset:32
	s_waitcnt lgkmcnt(0)
	v_mul_f64 v[6:7], v[4:5], v[188:189]
	v_mul_f64 v[190:191], v[2:3], v[188:189]
	v_fma_f64 v[188:189], v[2:3], v[186:187], -v[6:7]
	v_fmac_f64_e32 v[190:191], v[4:5], v[186:187]
	scratch_store_dwordx4 off, v[188:191], off offset:32
.LBB122_479:
	s_or_b64 exec, exec, s[6:7]
	scratch_load_dwordx4 v[2:5], v183, off
	v_cmp_gt_u32_e32 vcc, 3, v0
	s_waitcnt vmcnt(0)
	ds_write_b128 v9, v[2:5]
	s_waitcnt lgkmcnt(0)
	; wave barrier
	s_waitcnt lgkmcnt(0)
	s_and_saveexec_b64 s[6:7], vcc
	s_cbranch_execz .LBB122_487
; %bb.480:
	ds_read_b128 v[2:5], v9
	s_and_b64 vcc, exec, s[0:1]
	s_cbranch_vccnz .LBB122_482
; %bb.481:
	scratch_load_dwordx4 v[186:189], v8, off
	s_waitcnt vmcnt(0) lgkmcnt(0)
	v_mul_f64 v[46:47], v[2:3], v[188:189]
	v_mul_f64 v[6:7], v[4:5], v[188:189]
	v_fmac_f64_e32 v[46:47], v[4:5], v[186:187]
	v_fma_f64 v[2:3], v[2:3], v[186:187], -v[6:7]
	v_mov_b64_e32 v[4:5], v[46:47]
.LBB122_482:
	v_cmp_ne_u32_e32 vcc, 2, v0
	s_and_saveexec_b64 s[8:9], vcc
	s_cbranch_execz .LBB122_486
; %bb.483:
	scratch_load_dwordx4 v[186:189], v8, off offset:16
	ds_read_b128 v[190:193], v9 offset:16
	s_waitcnt vmcnt(0) lgkmcnt(0)
	v_mul_f64 v[6:7], v[192:193], v[188:189]
	v_mul_f64 v[46:47], v[190:191], v[188:189]
	v_fma_f64 v[6:7], v[190:191], v[186:187], -v[6:7]
	v_fmac_f64_e32 v[46:47], v[192:193], v[186:187]
	v_add_f64 v[2:3], v[2:3], v[6:7]
	v_add_f64 v[4:5], v[4:5], v[46:47]
	s_and_saveexec_b64 s[10:11], s[2:3]
	s_cbranch_execz .LBB122_485
; %bb.484:
	scratch_load_dwordx4 v[186:189], off, off offset:32
	v_mov_b32_e32 v6, 0
	ds_read_b128 v[190:193], v6 offset:976
	s_waitcnt vmcnt(0) lgkmcnt(0)
	v_mul_f64 v[6:7], v[190:191], v[188:189]
	v_mul_f64 v[46:47], v[192:193], v[188:189]
	v_fmac_f64_e32 v[6:7], v[192:193], v[186:187]
	v_fma_f64 v[46:47], v[190:191], v[186:187], -v[46:47]
	v_add_f64 v[4:5], v[4:5], v[6:7]
	v_add_f64 v[2:3], v[2:3], v[46:47]
.LBB122_485:
	s_or_b64 exec, exec, s[10:11]
.LBB122_486:
	s_or_b64 exec, exec, s[8:9]
	v_mov_b32_e32 v6, 0
	ds_read_b128 v[186:189], v6 offset:48
	s_waitcnt lgkmcnt(0)
	v_mul_f64 v[6:7], v[4:5], v[188:189]
	v_mul_f64 v[190:191], v[2:3], v[188:189]
	v_fma_f64 v[188:189], v[2:3], v[186:187], -v[6:7]
	v_fmac_f64_e32 v[190:191], v[4:5], v[186:187]
	scratch_store_dwordx4 off, v[188:191], off offset:48
.LBB122_487:
	s_or_b64 exec, exec, s[6:7]
	scratch_load_dwordx4 v[2:5], v182, off
	v_cmp_gt_u32_e32 vcc, 4, v0
	s_waitcnt vmcnt(0)
	ds_write_b128 v9, v[2:5]
	s_waitcnt lgkmcnt(0)
	; wave barrier
	s_waitcnt lgkmcnt(0)
	s_and_saveexec_b64 s[2:3], vcc
	s_cbranch_execz .LBB122_495
; %bb.488:
	ds_read_b128 v[2:5], v9
	s_and_b64 vcc, exec, s[0:1]
	s_cbranch_vccnz .LBB122_490
; %bb.489:
	scratch_load_dwordx4 v[186:189], v8, off
	s_waitcnt vmcnt(0) lgkmcnt(0)
	v_mul_f64 v[46:47], v[2:3], v[188:189]
	v_mul_f64 v[6:7], v[4:5], v[188:189]
	v_fmac_f64_e32 v[46:47], v[4:5], v[186:187]
	v_fma_f64 v[2:3], v[2:3], v[186:187], -v[6:7]
	v_mov_b64_e32 v[4:5], v[46:47]
.LBB122_490:
	v_cmp_ne_u32_e32 vcc, 3, v0
	s_and_saveexec_b64 s[6:7], vcc
	s_cbranch_execz .LBB122_494
; %bb.491:
	v_mov_b32_e32 v7, 0
	v_add_u32_e32 v6, 0x3c0, v66
	v_add3_u32 v7, v66, v7, 24
	s_mov_b64 s[8:9], 0
	v_mov_b32_e32 v186, v0
.LBB122_492:                            ; =>This Inner Loop Header: Depth=1
	v_add_u32_e32 v46, -8, v7
	scratch_load_dwordx4 v[188:191], v46, off
	ds_read_b128 v[192:195], v6
	v_add_u32_e32 v186, 1, v186
	v_cmp_lt_u32_e32 vcc, 2, v186
	v_add_u32_e32 v6, 16, v6
	v_add_u32_e32 v7, 16, v7
	s_or_b64 s[8:9], vcc, s[8:9]
	s_waitcnt vmcnt(0) lgkmcnt(0)
	v_mul_f64 v[46:47], v[194:195], v[190:191]
	v_mul_f64 v[190:191], v[192:193], v[190:191]
	v_fma_f64 v[46:47], v[192:193], v[188:189], -v[46:47]
	v_fmac_f64_e32 v[190:191], v[194:195], v[188:189]
	v_add_f64 v[2:3], v[2:3], v[46:47]
	v_add_f64 v[4:5], v[4:5], v[190:191]
	s_andn2_b64 exec, exec, s[8:9]
	s_cbranch_execnz .LBB122_492
; %bb.493:
	s_or_b64 exec, exec, s[8:9]
.LBB122_494:
	s_or_b64 exec, exec, s[6:7]
	v_mov_b32_e32 v6, 0
	ds_read_b128 v[186:189], v6 offset:64
	s_waitcnt lgkmcnt(0)
	v_mul_f64 v[6:7], v[4:5], v[188:189]
	v_mul_f64 v[190:191], v[2:3], v[188:189]
	v_fma_f64 v[188:189], v[2:3], v[186:187], -v[6:7]
	v_fmac_f64_e32 v[190:191], v[4:5], v[186:187]
	scratch_store_dwordx4 off, v[188:191], off offset:64
.LBB122_495:
	s_or_b64 exec, exec, s[2:3]
	scratch_load_dwordx4 v[2:5], v181, off
	v_cmp_gt_u32_e32 vcc, 5, v0
	s_waitcnt vmcnt(0)
	ds_write_b128 v9, v[2:5]
	s_waitcnt lgkmcnt(0)
	; wave barrier
	s_waitcnt lgkmcnt(0)
	s_and_saveexec_b64 s[2:3], vcc
	s_cbranch_execz .LBB122_503
; %bb.496:
	ds_read_b128 v[2:5], v9
	s_and_b64 vcc, exec, s[0:1]
	s_cbranch_vccnz .LBB122_498
; %bb.497:
	scratch_load_dwordx4 v[186:189], v8, off
	s_waitcnt vmcnt(0) lgkmcnt(0)
	v_mul_f64 v[46:47], v[2:3], v[188:189]
	v_mul_f64 v[6:7], v[4:5], v[188:189]
	v_fmac_f64_e32 v[46:47], v[4:5], v[186:187]
	v_fma_f64 v[2:3], v[2:3], v[186:187], -v[6:7]
	v_mov_b64_e32 v[4:5], v[46:47]
.LBB122_498:
	v_cmp_ne_u32_e32 vcc, 4, v0
	s_and_saveexec_b64 s[6:7], vcc
	s_cbranch_execz .LBB122_502
; %bb.499:
	v_mov_b32_e32 v7, 0
	v_add_u32_e32 v6, 0x3c0, v66
	v_add3_u32 v7, v66, v7, 24
	s_mov_b64 s[8:9], 0
	v_mov_b32_e32 v186, v0
.LBB122_500:                            ; =>This Inner Loop Header: Depth=1
	v_add_u32_e32 v46, -8, v7
	scratch_load_dwordx4 v[188:191], v46, off
	ds_read_b128 v[192:195], v6
	v_add_u32_e32 v186, 1, v186
	v_cmp_lt_u32_e32 vcc, 3, v186
	v_add_u32_e32 v6, 16, v6
	v_add_u32_e32 v7, 16, v7
	s_or_b64 s[8:9], vcc, s[8:9]
	s_waitcnt vmcnt(0) lgkmcnt(0)
	v_mul_f64 v[46:47], v[194:195], v[190:191]
	v_mul_f64 v[190:191], v[192:193], v[190:191]
	v_fma_f64 v[46:47], v[192:193], v[188:189], -v[46:47]
	v_fmac_f64_e32 v[190:191], v[194:195], v[188:189]
	v_add_f64 v[2:3], v[2:3], v[46:47]
	v_add_f64 v[4:5], v[4:5], v[190:191]
	s_andn2_b64 exec, exec, s[8:9]
	s_cbranch_execnz .LBB122_500
; %bb.501:
	s_or_b64 exec, exec, s[8:9]
.LBB122_502:
	s_or_b64 exec, exec, s[6:7]
	v_mov_b32_e32 v6, 0
	ds_read_b128 v[186:189], v6 offset:80
	s_waitcnt lgkmcnt(0)
	v_mul_f64 v[6:7], v[4:5], v[188:189]
	v_mul_f64 v[190:191], v[2:3], v[188:189]
	v_fma_f64 v[188:189], v[2:3], v[186:187], -v[6:7]
	v_fmac_f64_e32 v[190:191], v[4:5], v[186:187]
	scratch_store_dwordx4 off, v[188:191], off offset:80
.LBB122_503:
	;; [unrolled: 63-line block ×53, first 2 shown]
	s_or_b64 exec, exec, s[2:3]
	scratch_load_dwordx4 v[2:5], v10, off
	v_cmp_gt_u32_e64 s[2:3], 57, v0
	s_waitcnt vmcnt(0)
	ds_write_b128 v9, v[2:5]
	s_waitcnt lgkmcnt(0)
	; wave barrier
	s_waitcnt lgkmcnt(0)
	s_and_saveexec_b64 s[6:7], s[2:3]
	s_cbranch_execz .LBB122_919
; %bb.912:
	ds_read_b128 v[2:5], v9
	s_and_b64 vcc, exec, s[0:1]
	s_cbranch_vccnz .LBB122_914
; %bb.913:
	scratch_load_dwordx4 v[186:189], v8, off
	s_waitcnt vmcnt(0) lgkmcnt(0)
	v_mul_f64 v[46:47], v[2:3], v[188:189]
	v_mul_f64 v[6:7], v[4:5], v[188:189]
	v_fmac_f64_e32 v[46:47], v[4:5], v[186:187]
	v_fma_f64 v[2:3], v[2:3], v[186:187], -v[6:7]
	v_mov_b64_e32 v[4:5], v[46:47]
.LBB122_914:
	v_cmp_ne_u32_e32 vcc, 56, v0
	s_and_saveexec_b64 s[8:9], vcc
	s_cbranch_execz .LBB122_918
; %bb.915:
	v_mov_b32_e32 v7, 0
	v_add_u32_e32 v6, 0x3c0, v66
	v_add3_u32 v7, v66, v7, 24
	s_mov_b64 s[10:11], 0
	v_mov_b32_e32 v186, v0
.LBB122_916:                            ; =>This Inner Loop Header: Depth=1
	v_add_u32_e32 v46, -8, v7
	scratch_load_dwordx4 v[188:191], v46, off
	ds_read_b128 v[192:195], v6
	v_add_u32_e32 v186, 1, v186
	v_cmp_lt_u32_e32 vcc, 55, v186
	v_add_u32_e32 v6, 16, v6
	v_add_u32_e32 v7, 16, v7
	s_or_b64 s[10:11], vcc, s[10:11]
	s_waitcnt vmcnt(0) lgkmcnt(0)
	v_mul_f64 v[46:47], v[194:195], v[190:191]
	v_mul_f64 v[190:191], v[192:193], v[190:191]
	v_fma_f64 v[46:47], v[192:193], v[188:189], -v[46:47]
	v_fmac_f64_e32 v[190:191], v[194:195], v[188:189]
	v_add_f64 v[2:3], v[2:3], v[46:47]
	v_add_f64 v[4:5], v[4:5], v[190:191]
	s_andn2_b64 exec, exec, s[10:11]
	s_cbranch_execnz .LBB122_916
; %bb.917:
	s_or_b64 exec, exec, s[10:11]
.LBB122_918:
	s_or_b64 exec, exec, s[8:9]
	v_mov_b32_e32 v6, 0
	ds_read_b128 v[186:189], v6 offset:912
	s_waitcnt lgkmcnt(0)
	v_mul_f64 v[6:7], v[4:5], v[188:189]
	v_mul_f64 v[190:191], v[2:3], v[188:189]
	v_fma_f64 v[188:189], v[2:3], v[186:187], -v[6:7]
	v_fmac_f64_e32 v[190:191], v[4:5], v[186:187]
	scratch_store_dwordx4 off, v[188:191], off offset:912
.LBB122_919:
	s_or_b64 exec, exec, s[6:7]
	scratch_load_dwordx4 v[2:5], v1, off
	v_cmp_ne_u32_e32 vcc, 58, v0
                                        ; implicit-def: $vgpr6_vgpr7
                                        ; implicit-def: $vgpr186
	s_waitcnt vmcnt(0)
	ds_write_b128 v9, v[2:5]
	s_waitcnt lgkmcnt(0)
	; wave barrier
	s_waitcnt lgkmcnt(0)
	s_and_saveexec_b64 s[6:7], vcc
	s_cbranch_execz .LBB122_927
; %bb.920:
	ds_read_b128 v[2:5], v9
	s_and_b64 vcc, exec, s[0:1]
	s_cbranch_vccnz .LBB122_922
; %bb.921:
	scratch_load_dwordx4 v[6:9], v8, off
	s_waitcnt vmcnt(0) lgkmcnt(0)
	v_mul_f64 v[46:47], v[4:5], v[8:9]
	v_mul_f64 v[8:9], v[2:3], v[8:9]
	v_fmac_f64_e32 v[8:9], v[4:5], v[6:7]
	v_fma_f64 v[2:3], v[2:3], v[6:7], -v[46:47]
	v_mov_b64_e32 v[4:5], v[8:9]
.LBB122_922:
	s_and_saveexec_b64 s[0:1], s[2:3]
	s_cbranch_execz .LBB122_926
; %bb.923:
	v_mov_b32_e32 v7, 0
	v_add_u32_e32 v6, 0x3c0, v66
	v_add3_u32 v7, v66, v7, 24
	s_mov_b64 s[2:3], 0
.LBB122_924:                            ; =>This Inner Loop Header: Depth=1
	v_add_u32_e32 v8, -8, v7
	scratch_load_dwordx4 v[186:189], v8, off
	ds_read_b128 v[190:193], v6
	v_add_u32_e32 v0, 1, v0
	v_cmp_lt_u32_e32 vcc, 56, v0
	v_add_u32_e32 v6, 16, v6
	v_add_u32_e32 v7, 16, v7
	s_or_b64 s[2:3], vcc, s[2:3]
	s_waitcnt vmcnt(0) lgkmcnt(0)
	v_mul_f64 v[8:9], v[192:193], v[188:189]
	v_mul_f64 v[46:47], v[190:191], v[188:189]
	v_fma_f64 v[8:9], v[190:191], v[186:187], -v[8:9]
	v_fmac_f64_e32 v[46:47], v[192:193], v[186:187]
	v_add_f64 v[2:3], v[2:3], v[8:9]
	v_add_f64 v[4:5], v[4:5], v[46:47]
	s_andn2_b64 exec, exec, s[2:3]
	s_cbranch_execnz .LBB122_924
; %bb.925:
	s_or_b64 exec, exec, s[2:3]
.LBB122_926:
	s_or_b64 exec, exec, s[0:1]
	v_mov_b32_e32 v0, 0
	ds_read_b128 v[188:191], v0 offset:928
	v_mov_b32_e32 v0, 0
	v_add_u32_e32 v186, 0x3a8, v0
	s_or_b64 s[4:5], s[4:5], exec
	s_waitcnt lgkmcnt(0)
	v_mul_f64 v[8:9], v[4:5], v[190:191]
	v_mul_f64 v[6:7], v[2:3], v[190:191]
	v_fma_f64 v[2:3], v[2:3], v[188:189], -v[8:9]
	v_fmac_f64_e32 v[6:7], v[4:5], v[188:189]
	scratch_store_dwordx2 off, v[2:3], off offset:928
.LBB122_927:
	s_or_b64 exec, exec, s[6:7]
.LBB122_928:
	s_and_saveexec_b64 s[0:1], s[4:5]
	s_cbranch_execz .LBB122_930
; %bb.929:
	scratch_store_dwordx2 v186, v[6:7], off
.LBB122_930:
	s_or_b64 exec, exec, s[0:1]
	scratch_load_dwordx4 v[2:5], off, off
	scratch_load_dwordx4 v[6:9], v185, off
	s_nop 0
	scratch_load_dwordx4 v[184:187], v184, off
	s_nop 0
	scratch_load_dwordx4 v[188:191], v183, off
	scratch_load_dwordx4 v[192:195], v182, off
	scratch_load_dwordx4 v[196:199], v181, off
	s_nop 0
	scratch_load_dwordx4 v[180:183], v180, off
	s_nop 0
	scratch_load_dwordx4 v[200:203], v179, off
	scratch_load_dwordx4 v[204:207], v178, off
	;; [unrolled: 6-line block ×6, first 2 shown]
	s_waitcnt vmcnt(24)
	global_store_dwordx4 v[12:13], v[2:5], off
	scratch_load_dwordx4 v[2:5], v161, off
	s_nop 0
	scratch_load_dwordx4 v[160:163], v160, off
	s_waitcnt vmcnt(26)
	global_store_dwordx4 v[14:15], v[6:9], off
	scratch_load_dwordx4 v[6:9], v159, off
	s_nop 0
	scratch_load_dwordx4 v[12:15], v158, off
	;; [unrolled: 5-line block ×17, first 2 shown]
	v_accvgpr_read_b32 v0, a0
	v_accvgpr_read_b32 v1, a1
	s_waitcnt vmcnt(58)
	global_store_dwordx4 v[0:1], v[232:235], off
	s_waitcnt vmcnt(58)
	global_store_dwordx4 v[48:49], v[168:171], off
	;; [unrolled: 2-line block ×42, first 2 shown]
.LBB122_931:
	s_endpgm
	.section	.rodata,"a",@progbits
	.p2align	6, 0x0
	.amdhsa_kernel _ZN9rocsolver6v33100L18trti2_kernel_smallILi59E19rocblas_complex_numIdEPKPS3_EEv13rocblas_fill_17rocblas_diagonal_T1_iil
		.amdhsa_group_segment_fixed_size 1888
		.amdhsa_private_segment_fixed_size 960
		.amdhsa_kernarg_size 32
		.amdhsa_user_sgpr_count 2
		.amdhsa_user_sgpr_dispatch_ptr 0
		.amdhsa_user_sgpr_queue_ptr 0
		.amdhsa_user_sgpr_kernarg_segment_ptr 1
		.amdhsa_user_sgpr_dispatch_id 0
		.amdhsa_user_sgpr_kernarg_preload_length 0
		.amdhsa_user_sgpr_kernarg_preload_offset 0
		.amdhsa_user_sgpr_private_segment_size 0
		.amdhsa_uses_dynamic_stack 0
		.amdhsa_enable_private_segment 1
		.amdhsa_system_sgpr_workgroup_id_x 1
		.amdhsa_system_sgpr_workgroup_id_y 0
		.amdhsa_system_sgpr_workgroup_id_z 0
		.amdhsa_system_sgpr_workgroup_info 0
		.amdhsa_system_vgpr_workitem_id 0
		.amdhsa_next_free_vgpr 258
		.amdhsa_next_free_sgpr 12
		.amdhsa_accum_offset 256
		.amdhsa_reserve_vcc 1
		.amdhsa_float_round_mode_32 0
		.amdhsa_float_round_mode_16_64 0
		.amdhsa_float_denorm_mode_32 3
		.amdhsa_float_denorm_mode_16_64 3
		.amdhsa_dx10_clamp 1
		.amdhsa_ieee_mode 1
		.amdhsa_fp16_overflow 0
		.amdhsa_tg_split 0
		.amdhsa_exception_fp_ieee_invalid_op 0
		.amdhsa_exception_fp_denorm_src 0
		.amdhsa_exception_fp_ieee_div_zero 0
		.amdhsa_exception_fp_ieee_overflow 0
		.amdhsa_exception_fp_ieee_underflow 0
		.amdhsa_exception_fp_ieee_inexact 0
		.amdhsa_exception_int_div_zero 0
	.end_amdhsa_kernel
	.section	.text._ZN9rocsolver6v33100L18trti2_kernel_smallILi59E19rocblas_complex_numIdEPKPS3_EEv13rocblas_fill_17rocblas_diagonal_T1_iil,"axG",@progbits,_ZN9rocsolver6v33100L18trti2_kernel_smallILi59E19rocblas_complex_numIdEPKPS3_EEv13rocblas_fill_17rocblas_diagonal_T1_iil,comdat
.Lfunc_end122:
	.size	_ZN9rocsolver6v33100L18trti2_kernel_smallILi59E19rocblas_complex_numIdEPKPS3_EEv13rocblas_fill_17rocblas_diagonal_T1_iil, .Lfunc_end122-_ZN9rocsolver6v33100L18trti2_kernel_smallILi59E19rocblas_complex_numIdEPKPS3_EEv13rocblas_fill_17rocblas_diagonal_T1_iil
                                        ; -- End function
	.section	.AMDGPU.csdata,"",@progbits
; Kernel info:
; codeLenInByte = 39024
; NumSgprs: 18
; NumVgprs: 256
; NumAgprs: 2
; TotalNumVgprs: 258
; ScratchSize: 960
; MemoryBound: 0
; FloatMode: 240
; IeeeMode: 1
; LDSByteSize: 1888 bytes/workgroup (compile time only)
; SGPRBlocks: 2
; VGPRBlocks: 32
; NumSGPRsForWavesPerEU: 18
; NumVGPRsForWavesPerEU: 258
; AccumOffset: 256
; Occupancy: 1
; WaveLimiterHint : 1
; COMPUTE_PGM_RSRC2:SCRATCH_EN: 1
; COMPUTE_PGM_RSRC2:USER_SGPR: 2
; COMPUTE_PGM_RSRC2:TRAP_HANDLER: 0
; COMPUTE_PGM_RSRC2:TGID_X_EN: 1
; COMPUTE_PGM_RSRC2:TGID_Y_EN: 0
; COMPUTE_PGM_RSRC2:TGID_Z_EN: 0
; COMPUTE_PGM_RSRC2:TIDIG_COMP_CNT: 0
; COMPUTE_PGM_RSRC3_GFX90A:ACCUM_OFFSET: 63
; COMPUTE_PGM_RSRC3_GFX90A:TG_SPLIT: 0
	.section	.text._ZN9rocsolver6v33100L18trti2_kernel_smallILi60E19rocblas_complex_numIdEPKPS3_EEv13rocblas_fill_17rocblas_diagonal_T1_iil,"axG",@progbits,_ZN9rocsolver6v33100L18trti2_kernel_smallILi60E19rocblas_complex_numIdEPKPS3_EEv13rocblas_fill_17rocblas_diagonal_T1_iil,comdat
	.globl	_ZN9rocsolver6v33100L18trti2_kernel_smallILi60E19rocblas_complex_numIdEPKPS3_EEv13rocblas_fill_17rocblas_diagonal_T1_iil ; -- Begin function _ZN9rocsolver6v33100L18trti2_kernel_smallILi60E19rocblas_complex_numIdEPKPS3_EEv13rocblas_fill_17rocblas_diagonal_T1_iil
	.p2align	8
	.type	_ZN9rocsolver6v33100L18trti2_kernel_smallILi60E19rocblas_complex_numIdEPKPS3_EEv13rocblas_fill_17rocblas_diagonal_T1_iil,@function
_ZN9rocsolver6v33100L18trti2_kernel_smallILi60E19rocblas_complex_numIdEPKPS3_EEv13rocblas_fill_17rocblas_diagonal_T1_iil: ; @_ZN9rocsolver6v33100L18trti2_kernel_smallILi60E19rocblas_complex_numIdEPKPS3_EEv13rocblas_fill_17rocblas_diagonal_T1_iil
; %bb.0:
	v_cmp_gt_u32_e32 vcc, 60, v0
	s_and_saveexec_b64 s[4:5], vcc
	s_cbranch_execz .LBB123_947
; %bb.1:
	s_load_dwordx2 s[8:9], s[0:1], 0x10
	s_load_dwordx4 s[4:7], s[0:1], 0x0
	s_ashr_i32 s3, s2, 31
	s_lshl_b64 s[0:1], s[2:3], 3
	v_lshlrev_b32_e32 v164, 4, v0
	s_waitcnt lgkmcnt(0)
	s_ashr_i32 s3, s8, 31
	s_add_u32 s0, s6, s0
	s_addc_u32 s1, s7, s1
	s_load_dwordx2 s[0:1], s[0:1], 0x0
	s_mov_b32 s2, s8
	s_lshl_b64 s[2:3], s[2:3], 4
	v_mov_b32_e32 v165, 0
	v_mov_b32_e32 v1, 0
	s_waitcnt lgkmcnt(0)
	s_add_u32 s0, s0, s2
	s_addc_u32 s1, s1, s3
	v_lshl_add_u64 v[118:119], s[0:1], 0, v[164:165]
	s_ashr_i32 s3, s9, 31
	s_mov_b32 s2, s9
	v_lshl_add_u64 v[120:121], s[2:3], 4, v[118:119]
	s_add_i32 s2, s9, s9
	v_add_u32_e32 v14, s2, v0
	v_ashrrev_i32_e32 v15, 31, v14
	v_lshl_add_u64 v[122:123], v[14:15], 4, s[0:1]
	v_add_u32_e32 v14, s9, v14
	v_add_u32_e32 v22, s9, v14
	v_ashrrev_i32_e32 v23, 31, v22
	v_lshl_add_u64 v[126:127], v[22:23], 4, s[0:1]
	v_add_u32_e32 v22, s9, v22
	;; [unrolled: 4-line block ×12, first 2 shown]
	v_add_u32_e32 v110, s9, v102
	v_ashrrev_i32_e32 v111, 31, v110
	v_ashrrev_i32_e32 v71, 31, v70
	;; [unrolled: 1-line block ×3, first 2 shown]
	v_lshl_add_u64 v[172:173], v[110:111], 4, s[0:1]
	v_add_u32_e32 v110, s9, v110
	v_ashrrev_i32_e32 v15, 31, v14
	v_ashrrev_i32_e32 v23, 31, v22
	;; [unrolled: 1-line block ×7, first 2 shown]
	v_lshl_add_u64 v[72:73], v[70:71], 4, s[0:1]
	v_lshl_add_u64 v[80:81], v[78:79], 4, s[0:1]
	v_ashrrev_i32_e32 v87, 31, v86
	v_ashrrev_i32_e32 v95, 31, v94
	;; [unrolled: 1-line block ×4, first 2 shown]
	v_lshl_add_u64 v[124:125], v[14:15], 4, s[0:1]
	v_lshl_add_u64 v[128:129], v[22:23], 4, s[0:1]
	;; [unrolled: 1-line block ×7, first 2 shown]
	v_accvgpr_write_b32 a0, v72
	v_accvgpr_write_b32 a2, v74
	v_accvgpr_write_b32 a4, v80
	v_lshl_add_u64 v[160:161], v[86:87], 4, s[0:1]
	v_lshl_add_u64 v[166:167], v[94:95], 4, s[0:1]
	;; [unrolled: 1-line block ×4, first 2 shown]
	global_load_dwordx4 v[2:5], v164, s[0:1]
	global_load_dwordx4 v[6:9], v[120:121], off
	global_load_dwordx4 v[10:13], v[122:123], off
	;; [unrolled: 1-line block ×16, first 2 shown]
	v_accvgpr_write_b32 a1, v73
	global_load_dwordx4 v[70:73], v[72:73], off
	v_accvgpr_write_b32 a3, v75
	global_load_dwordx4 v[74:77], v[74:75], off
	;; [unrolled: 2-line block ×3, first 2 shown]
	s_nop 0
	global_load_dwordx4 v[82:85], v[158:159], off
	global_load_dwordx4 v[86:89], v[160:161], off
	;; [unrolled: 1-line block ×8, first 2 shown]
	v_add_u32_e32 v178, s9, v110
	v_add_u32_e32 v180, s9, v178
	v_add_u32_e32 v182, s9, v180
	v_add_u32_e32 v184, s9, v182
	v_add_u32_e32 v186, s9, v184
	v_add_u32_e32 v188, s9, v186
	v_add_u32_e32 v190, s9, v188
	v_add_u32_e32 v192, s9, v190
	v_add_u32_e32 v194, s9, v192
	v_add_u32_e32 v196, s9, v194
	v_add_u32_e32 v198, s9, v196
	v_add_u32_e32 v200, s9, v198
	v_add_u32_e32 v202, s9, v200
	v_add_u32_e32 v204, s9, v202
	v_add_u32_e32 v206, s9, v204
	v_add_u32_e32 v208, s9, v206
	v_add_u32_e32 v152, s9, v208
	v_add_u32_e32 v154, s9, v152
	v_add_u32_e32 v156, s9, v154
	v_add_u32_e32 v210, s9, v156
	v_add_u32_e32 v212, s9, v210
	v_add_u32_e32 v214, s9, v212
	v_add_u32_e32 v216, s9, v214
	v_add_u32_e32 v222, s9, v216
	v_add_u32_e32 v224, s9, v222
	v_add_u32_e32 v230, s9, v224
	v_add_u32_e32 v232, s9, v230
	v_add_u32_e32 v238, s9, v232
	v_add_u32_e32 v240, s9, v238
	v_add_u32_e32 v246, s9, v240
	v_add_u32_e32 v248, s9, v246
	v_add_u32_e32 v110, s9, v248
	v_ashrrev_i32_e32 v111, 31, v110
	v_lshl_add_u64 v[176:177], v[110:111], 4, s[0:1]
	global_load_dwordx4 v[110:113], v[176:177], off
	v_ashrrev_i32_e32 v179, 31, v178
	v_ashrrev_i32_e32 v181, 31, v180
	;; [unrolled: 1-line block ×16, first 2 shown]
	s_waitcnt vmcnt(28)
	scratch_store_dwordx4 off, v[2:5], off
	s_waitcnt vmcnt(28)
	scratch_store_dwordx4 off, v[6:9], off offset:16
	s_waitcnt vmcnt(28)
	scratch_store_dwordx4 off, v[10:13], off offset:32
	;; [unrolled: 2-line block ×26, first 2 shown]
	v_lshl_add_u64 v[12:13], v[178:179], 4, s[0:1]
	s_waitcnt vmcnt(28)
	scratch_store_dwordx4 off, v[114:117], off offset:432
	v_lshl_add_u64 v[14:15], v[180:181], 4, s[0:1]
	v_ashrrev_i32_e32 v183, 31, v182
	v_lshl_add_u64 v[18:19], v[184:185], 4, s[0:1]
	v_ashrrev_i32_e32 v187, 31, v186
	;; [unrolled: 2-line block ×15, first 2 shown]
	global_load_dwordx4 v[2:5], v[12:13], off
	v_lshl_add_u64 v[16:17], v[182:183], 4, s[0:1]
	global_load_dwordx4 v[6:9], v[14:15], off
	global_load_dwordx4 v[74:77], v[16:17], off
	v_lshl_add_u64 v[20:21], v[186:187], 4, s[0:1]
	global_load_dwordx4 v[78:81], v[18:19], off
	;; [unrolled: 3-line block ×15, first 2 shown]
	global_load_dwordx4 v[250:253], v[72:73], off
	s_cmpk_lg_i32 s5, 0x84
	s_cselect_b64 s[6:7], -1, 0
	s_cmpk_eq_i32 s5, 0x84
	s_waitcnt vmcnt(30)
	scratch_store_dwordx4 off, v[2:5], off offset:448
	s_waitcnt vmcnt(30)
	scratch_store_dwordx4 off, v[6:9], off offset:464
	;; [unrolled: 2-line block ×31, first 2 shown]
	scratch_store_dwordx4 off, v[110:113], off offset:944
	s_cbranch_scc1 .LBB123_7
; %bb.2:
	scratch_load_dwordx4 v[8:11], v164, off
                                        ; implicit-def: $vgpr6_vgpr7
	s_waitcnt vmcnt(0)
	v_xor_b32_e32 v3, 0x80000000, v9
	v_cmp_gt_f64_e32 vcc, 0, v[8:9]
	v_xor_b32_e32 v4, 0x80000000, v11
	v_mov_b32_e32 v2, v8
	v_cndmask_b32_e32 v3, v9, v3, vcc
	v_cmp_gt_f64_e32 vcc, 0, v[10:11]
	s_nop 1
	v_cndmask_b32_e32 v5, v11, v4, vcc
	v_mov_b32_e32 v4, v10
	v_cmp_ngt_f64_e32 vcc, v[2:3], v[4:5]
                                        ; implicit-def: $vgpr2_vgpr3
	s_and_saveexec_b64 s[0:1], vcc
	s_xor_b64 s[0:1], exec, s[0:1]
	s_cbranch_execz .LBB123_4
; %bb.3:
	v_div_scale_f64 v[2:3], s[2:3], v[10:11], v[10:11], v[8:9]
	v_rcp_f64_e32 v[4:5], v[2:3]
	v_div_scale_f64 v[6:7], vcc, v[8:9], v[10:11], v[8:9]
	v_fma_f64 v[74:75], -v[2:3], v[4:5], 1.0
	v_fmac_f64_e32 v[4:5], v[4:5], v[74:75]
	v_fma_f64 v[74:75], -v[2:3], v[4:5], 1.0
	v_fmac_f64_e32 v[4:5], v[4:5], v[74:75]
	v_mul_f64 v[74:75], v[6:7], v[4:5]
	v_fma_f64 v[2:3], -v[2:3], v[74:75], v[6:7]
	v_div_fmas_f64 v[2:3], v[2:3], v[4:5], v[74:75]
	v_div_fixup_f64 v[2:3], v[2:3], v[10:11], v[8:9]
	v_fmac_f64_e32 v[10:11], v[8:9], v[2:3]
	v_div_scale_f64 v[4:5], s[2:3], v[10:11], v[10:11], 1.0
	v_rcp_f64_e32 v[6:7], v[4:5]
	s_nop 0
	v_fma_f64 v[8:9], -v[4:5], v[6:7], 1.0
	v_fmac_f64_e32 v[6:7], v[6:7], v[8:9]
	v_fma_f64 v[8:9], -v[4:5], v[6:7], 1.0
	v_fmac_f64_e32 v[6:7], v[6:7], v[8:9]
	v_div_scale_f64 v[8:9], vcc, 1.0, v[10:11], 1.0
	v_mul_f64 v[74:75], v[8:9], v[6:7]
	v_fma_f64 v[4:5], -v[4:5], v[74:75], v[8:9]
                                        ; implicit-def: $vgpr8_vgpr9
	s_nop 1
	v_div_fmas_f64 v[4:5], v[4:5], v[6:7], v[74:75]
	v_div_fixup_f64 v[4:5], v[4:5], v[10:11], 1.0
	v_mul_f64 v[2:3], v[2:3], v[4:5]
	v_xor_b32_e32 v5, 0x80000000, v5
	v_xor_b32_e32 v7, 0x80000000, v3
	v_mov_b32_e32 v6, v2
.LBB123_4:
	s_or_saveexec_b64 s[0:1], s[0:1]
	v_add_u32_e32 v74, 0, v164
	s_xor_b64 exec, exec, s[0:1]
	s_cbranch_execz .LBB123_6
; %bb.5:
	v_div_scale_f64 v[2:3], s[2:3], v[8:9], v[8:9], v[10:11]
	v_rcp_f64_e32 v[4:5], v[2:3]
	v_div_scale_f64 v[6:7], vcc, v[10:11], v[8:9], v[10:11]
	v_fma_f64 v[76:77], -v[2:3], v[4:5], 1.0
	v_fmac_f64_e32 v[4:5], v[4:5], v[76:77]
	v_fma_f64 v[76:77], -v[2:3], v[4:5], 1.0
	v_fmac_f64_e32 v[4:5], v[4:5], v[76:77]
	v_mul_f64 v[76:77], v[6:7], v[4:5]
	v_fma_f64 v[2:3], -v[2:3], v[76:77], v[6:7]
	v_div_fmas_f64 v[2:3], v[2:3], v[4:5], v[76:77]
	v_div_fixup_f64 v[4:5], v[2:3], v[8:9], v[10:11]
	v_fmac_f64_e32 v[8:9], v[10:11], v[4:5]
	v_div_scale_f64 v[2:3], s[2:3], v[8:9], v[8:9], 1.0
	v_rcp_f64_e32 v[6:7], v[2:3]
	s_nop 0
	v_fma_f64 v[10:11], -v[2:3], v[6:7], 1.0
	v_fmac_f64_e32 v[6:7], v[6:7], v[10:11]
	v_fma_f64 v[10:11], -v[2:3], v[6:7], 1.0
	v_fmac_f64_e32 v[6:7], v[6:7], v[10:11]
	v_div_scale_f64 v[10:11], vcc, 1.0, v[8:9], 1.0
	v_mul_f64 v[76:77], v[10:11], v[6:7]
	v_fma_f64 v[2:3], -v[2:3], v[76:77], v[10:11]
	s_nop 1
	v_div_fmas_f64 v[2:3], v[2:3], v[6:7], v[76:77]
	v_div_fixup_f64 v[2:3], v[2:3], v[8:9], 1.0
	v_xor_b32_e32 v7, 0x80000000, v3
	v_mov_b32_e32 v6, v2
	v_mul_f64 v[4:5], v[4:5], -v[2:3]
.LBB123_6:
	s_or_b64 exec, exec, s[0:1]
	scratch_store_dwordx4 v74, v[2:5], off
	s_nop 1
	v_xor_b32_e32 v5, 0x80000000, v5
	s_branch .LBB123_8
.LBB123_7:
	v_mov_b64_e32 v[4:5], 0
	v_mov_b64_e32 v[6:7], -1.0
.LBB123_8:
	v_mov_b32_e32 v8, v4
	v_mov_b32_e32 v9, v5
	v_add_u32_e32 v188, 16, v1
	v_add_u32_e32 v187, 32, v1
	;; [unrolled: 1-line block ×59, first 2 shown]
	ds_write_b128 v164, v[6:9]
	s_cmpk_eq_i32 s4, 0x79
	v_add_u32_e32 v9, 0x3c0, v164
	v_add_u32_e32 v8, 0, v164
	s_cbranch_scc1 .LBB123_476
; %bb.9:
	scratch_load_dwordx4 v[2:5], v154, off
	v_cmp_eq_u32_e64 s[0:1], 59, v0
	s_waitcnt vmcnt(0)
	ds_write_b128 v9, v[2:5]
	s_waitcnt lgkmcnt(0)
	; wave barrier
	s_waitcnt lgkmcnt(0)
	s_and_saveexec_b64 s[2:3], s[0:1]
	s_cbranch_execz .LBB123_13
; %bb.10:
	ds_read_b128 v[2:5], v9
	s_andn2_b64 vcc, exec, s[6:7]
	s_cbranch_vccnz .LBB123_12
; %bb.11:
	scratch_load_dwordx4 v[190:193], v8, off
	s_waitcnt vmcnt(0) lgkmcnt(0)
	v_mul_f64 v[74:75], v[2:3], v[192:193]
	v_mul_f64 v[6:7], v[4:5], v[192:193]
	v_fmac_f64_e32 v[74:75], v[4:5], v[190:191]
	v_fma_f64 v[2:3], v[2:3], v[190:191], -v[6:7]
	v_mov_b64_e32 v[4:5], v[74:75]
.LBB123_12:
	v_mov_b32_e32 v6, 0
	ds_read_b128 v[190:193], v6 offset:928
	s_waitcnt lgkmcnt(0)
	v_mul_f64 v[6:7], v[4:5], v[192:193]
	v_mul_f64 v[194:195], v[2:3], v[192:193]
	v_fma_f64 v[192:193], v[2:3], v[190:191], -v[6:7]
	v_fmac_f64_e32 v[194:195], v[4:5], v[190:191]
	scratch_store_dwordx4 off, v[192:195], off offset:928
.LBB123_13:
	s_or_b64 exec, exec, s[2:3]
	scratch_load_dwordx4 v[2:5], v152, off
	v_cmp_lt_u32_e64 s[2:3], 57, v0
	s_waitcnt vmcnt(0)
	ds_write_b128 v9, v[2:5]
	s_waitcnt lgkmcnt(0)
	; wave barrier
	s_waitcnt lgkmcnt(0)
	s_and_saveexec_b64 s[4:5], s[2:3]
	s_cbranch_execz .LBB123_19
; %bb.14:
	ds_read_b128 v[2:5], v9
	s_andn2_b64 vcc, exec, s[6:7]
	s_cbranch_vccnz .LBB123_16
; %bb.15:
	scratch_load_dwordx4 v[190:193], v8, off
	s_waitcnt vmcnt(0) lgkmcnt(0)
	v_mul_f64 v[74:75], v[2:3], v[192:193]
	v_mul_f64 v[6:7], v[4:5], v[192:193]
	v_fmac_f64_e32 v[74:75], v[4:5], v[190:191]
	v_fma_f64 v[2:3], v[2:3], v[190:191], -v[6:7]
	v_mov_b64_e32 v[4:5], v[74:75]
.LBB123_16:
	s_and_saveexec_b64 s[8:9], s[0:1]
	s_cbranch_execz .LBB123_18
; %bb.17:
	scratch_load_dwordx4 v[190:193], off, off offset:928
	v_mov_b32_e32 v6, 0
	ds_read_b128 v[194:197], v6 offset:1888
	s_waitcnt vmcnt(0) lgkmcnt(0)
	v_mul_f64 v[6:7], v[194:195], v[192:193]
	v_mul_f64 v[74:75], v[196:197], v[192:193]
	v_fmac_f64_e32 v[6:7], v[196:197], v[190:191]
	v_fma_f64 v[74:75], v[194:195], v[190:191], -v[74:75]
	v_add_f64 v[4:5], v[4:5], v[6:7]
	v_add_f64 v[2:3], v[2:3], v[74:75]
.LBB123_18:
	s_or_b64 exec, exec, s[8:9]
	v_mov_b32_e32 v6, 0
	ds_read_b128 v[190:193], v6 offset:912
	s_waitcnt lgkmcnt(0)
	v_mul_f64 v[6:7], v[4:5], v[192:193]
	v_mul_f64 v[194:195], v[2:3], v[192:193]
	v_fma_f64 v[192:193], v[2:3], v[190:191], -v[6:7]
	v_fmac_f64_e32 v[194:195], v[4:5], v[190:191]
	scratch_store_dwordx4 off, v[192:195], off offset:912
.LBB123_19:
	s_or_b64 exec, exec, s[4:5]
	scratch_load_dwordx4 v[2:5], v10, off
	v_cmp_lt_u32_e64 s[0:1], 56, v0
	s_waitcnt vmcnt(0)
	ds_write_b128 v9, v[2:5]
	s_waitcnt lgkmcnt(0)
	; wave barrier
	s_waitcnt lgkmcnt(0)
	s_and_saveexec_b64 s[4:5], s[0:1]
	s_cbranch_execz .LBB123_27
; %bb.20:
	ds_read_b128 v[2:5], v9
	s_andn2_b64 vcc, exec, s[6:7]
	s_cbranch_vccnz .LBB123_22
; %bb.21:
	scratch_load_dwordx4 v[190:193], v8, off
	s_waitcnt vmcnt(0) lgkmcnt(0)
	v_mul_f64 v[74:75], v[2:3], v[192:193]
	v_mul_f64 v[6:7], v[4:5], v[192:193]
	v_fmac_f64_e32 v[74:75], v[4:5], v[190:191]
	v_fma_f64 v[2:3], v[2:3], v[190:191], -v[6:7]
	v_mov_b64_e32 v[4:5], v[74:75]
.LBB123_22:
	s_and_saveexec_b64 s[8:9], s[2:3]
	s_cbranch_execz .LBB123_26
; %bb.23:
	v_mov_b32_e32 v7, 0
	v_subrev_u32_e32 v6, 57, v0
	v_add_u32_e32 v7, 0x398, v7
	s_movk_i32 s10, 0x750
	s_mov_b64 s[2:3], 0
.LBB123_24:                             ; =>This Inner Loop Header: Depth=1
	v_add_u32_e32 v74, -8, v7
	scratch_load_dwordx4 v[190:193], v74, off
	v_mov_b32_e32 v74, s10
	ds_read_b128 v[194:197], v74
	v_add_u32_e32 v6, -1, v6
	s_add_i32 s10, s10, 16
	v_cmp_eq_u32_e32 vcc, 0, v6
	v_add_u32_e32 v7, 16, v7
	s_or_b64 s[2:3], vcc, s[2:3]
	s_waitcnt vmcnt(0) lgkmcnt(0)
	v_mul_f64 v[74:75], v[196:197], v[192:193]
	v_mul_f64 v[76:77], v[194:195], v[192:193]
	v_fma_f64 v[74:75], v[194:195], v[190:191], -v[74:75]
	v_fmac_f64_e32 v[76:77], v[196:197], v[190:191]
	v_add_f64 v[2:3], v[2:3], v[74:75]
	v_add_f64 v[4:5], v[4:5], v[76:77]
	s_andn2_b64 exec, exec, s[2:3]
	s_cbranch_execnz .LBB123_24
; %bb.25:
	s_or_b64 exec, exec, s[2:3]
.LBB123_26:
	s_or_b64 exec, exec, s[8:9]
	v_mov_b32_e32 v6, 0
	ds_read_b128 v[190:193], v6 offset:896
	s_waitcnt lgkmcnt(0)
	v_mul_f64 v[6:7], v[4:5], v[192:193]
	v_mul_f64 v[194:195], v[2:3], v[192:193]
	v_fma_f64 v[192:193], v[2:3], v[190:191], -v[6:7]
	v_fmac_f64_e32 v[194:195], v[4:5], v[190:191]
	scratch_store_dwordx4 off, v[192:195], off offset:896
.LBB123_27:
	s_or_b64 exec, exec, s[4:5]
	scratch_load_dwordx4 v[2:5], v11, off
	v_cmp_lt_u32_e64 s[2:3], 55, v0
	s_waitcnt vmcnt(0)
	ds_write_b128 v9, v[2:5]
	s_waitcnt lgkmcnt(0)
	; wave barrier
	s_waitcnt lgkmcnt(0)
	s_and_saveexec_b64 s[4:5], s[2:3]
	s_cbranch_execz .LBB123_35
; %bb.28:
	ds_read_b128 v[2:5], v9
	s_andn2_b64 vcc, exec, s[6:7]
	s_cbranch_vccnz .LBB123_30
; %bb.29:
	scratch_load_dwordx4 v[190:193], v8, off
	s_waitcnt vmcnt(0) lgkmcnt(0)
	v_mul_f64 v[74:75], v[2:3], v[192:193]
	v_mul_f64 v[6:7], v[4:5], v[192:193]
	v_fmac_f64_e32 v[74:75], v[4:5], v[190:191]
	v_fma_f64 v[2:3], v[2:3], v[190:191], -v[6:7]
	v_mov_b64_e32 v[4:5], v[74:75]
.LBB123_30:
	s_and_saveexec_b64 s[8:9], s[0:1]
	s_cbranch_execz .LBB123_34
; %bb.31:
	v_mov_b32_e32 v7, 0
	v_subrev_u32_e32 v6, 56, v0
	v_add_u32_e32 v7, 0x388, v7
	s_movk_i32 s10, 0x740
	s_mov_b64 s[0:1], 0
.LBB123_32:                             ; =>This Inner Loop Header: Depth=1
	v_add_u32_e32 v74, -8, v7
	scratch_load_dwordx4 v[190:193], v74, off
	v_mov_b32_e32 v74, s10
	ds_read_b128 v[194:197], v74
	v_add_u32_e32 v6, -1, v6
	s_add_i32 s10, s10, 16
	v_cmp_eq_u32_e32 vcc, 0, v6
	v_add_u32_e32 v7, 16, v7
	s_or_b64 s[0:1], vcc, s[0:1]
	s_waitcnt vmcnt(0) lgkmcnt(0)
	v_mul_f64 v[74:75], v[196:197], v[192:193]
	v_mul_f64 v[76:77], v[194:195], v[192:193]
	v_fma_f64 v[74:75], v[194:195], v[190:191], -v[74:75]
	v_fmac_f64_e32 v[76:77], v[196:197], v[190:191]
	v_add_f64 v[2:3], v[2:3], v[74:75]
	v_add_f64 v[4:5], v[4:5], v[76:77]
	s_andn2_b64 exec, exec, s[0:1]
	s_cbranch_execnz .LBB123_32
; %bb.33:
	s_or_b64 exec, exec, s[0:1]
.LBB123_34:
	s_or_b64 exec, exec, s[8:9]
	v_mov_b32_e32 v6, 0
	ds_read_b128 v[190:193], v6 offset:880
	s_waitcnt lgkmcnt(0)
	v_mul_f64 v[6:7], v[4:5], v[192:193]
	v_mul_f64 v[194:195], v[2:3], v[192:193]
	v_fma_f64 v[192:193], v[2:3], v[190:191], -v[6:7]
	v_fmac_f64_e32 v[194:195], v[4:5], v[190:191]
	scratch_store_dwordx4 off, v[192:195], off offset:880
.LBB123_35:
	;; [unrolled: 63-line block ×10, first 2 shown]
	s_or_b64 exec, exec, s[4:5]
	scratch_load_dwordx4 v[2:5], v84, off
	v_cmp_lt_u32_e64 s[0:1], 46, v0
	s_waitcnt vmcnt(0)
	ds_write_b128 v9, v[2:5]
	s_waitcnt lgkmcnt(0)
	; wave barrier
	s_waitcnt lgkmcnt(0)
	s_and_saveexec_b64 s[4:5], s[0:1]
	s_cbranch_execz .LBB123_107
; %bb.100:
	ds_read_b128 v[2:5], v9
	s_andn2_b64 vcc, exec, s[6:7]
	s_cbranch_vccnz .LBB123_102
; %bb.101:
	scratch_load_dwordx4 v[190:193], v8, off
	s_waitcnt vmcnt(0) lgkmcnt(0)
	v_mul_f64 v[74:75], v[2:3], v[192:193]
	v_mul_f64 v[6:7], v[4:5], v[192:193]
	v_fmac_f64_e32 v[74:75], v[4:5], v[190:191]
	v_fma_f64 v[2:3], v[2:3], v[190:191], -v[6:7]
	v_mov_b64_e32 v[4:5], v[74:75]
.LBB123_102:
	s_and_saveexec_b64 s[8:9], s[2:3]
	s_cbranch_execz .LBB123_106
; %bb.103:
	v_mov_b32_e32 v7, 0
	v_subrev_u32_e32 v6, 47, v0
	v_add_u32_e32 v7, 0x2f8, v7
	s_movk_i32 s10, 0x6b0
	s_mov_b64 s[2:3], 0
.LBB123_104:                            ; =>This Inner Loop Header: Depth=1
	v_add_u32_e32 v74, -8, v7
	scratch_load_dwordx4 v[190:193], v74, off
	v_mov_b32_e32 v74, s10
	ds_read_b128 v[194:197], v74
	v_add_u32_e32 v6, -1, v6
	s_add_i32 s10, s10, 16
	v_cmp_eq_u32_e32 vcc, 0, v6
	v_add_u32_e32 v7, 16, v7
	s_or_b64 s[2:3], vcc, s[2:3]
	s_waitcnt vmcnt(0) lgkmcnt(0)
	v_mul_f64 v[74:75], v[196:197], v[192:193]
	v_mul_f64 v[76:77], v[194:195], v[192:193]
	v_fma_f64 v[74:75], v[194:195], v[190:191], -v[74:75]
	v_fmac_f64_e32 v[76:77], v[196:197], v[190:191]
	v_add_f64 v[2:3], v[2:3], v[74:75]
	v_add_f64 v[4:5], v[4:5], v[76:77]
	s_andn2_b64 exec, exec, s[2:3]
	s_cbranch_execnz .LBB123_104
; %bb.105:
	s_or_b64 exec, exec, s[2:3]
.LBB123_106:
	s_or_b64 exec, exec, s[8:9]
	v_mov_b32_e32 v6, 0
	ds_read_b128 v[190:193], v6 offset:736
	s_waitcnt lgkmcnt(0)
	v_mul_f64 v[6:7], v[4:5], v[192:193]
	v_mul_f64 v[194:195], v[2:3], v[192:193]
	v_fma_f64 v[192:193], v[2:3], v[190:191], -v[6:7]
	v_fmac_f64_e32 v[194:195], v[4:5], v[190:191]
	scratch_store_dwordx4 off, v[192:195], off offset:736
.LBB123_107:
	s_or_b64 exec, exec, s[4:5]
	scratch_load_dwordx4 v[2:5], v85, off
	v_cmp_lt_u32_e64 s[2:3], 45, v0
	s_waitcnt vmcnt(0)
	ds_write_b128 v9, v[2:5]
	s_waitcnt lgkmcnt(0)
	; wave barrier
	s_waitcnt lgkmcnt(0)
	s_and_saveexec_b64 s[4:5], s[2:3]
	s_cbranch_execz .LBB123_115
; %bb.108:
	ds_read_b128 v[2:5], v9
	s_andn2_b64 vcc, exec, s[6:7]
	s_cbranch_vccnz .LBB123_110
; %bb.109:
	scratch_load_dwordx4 v[190:193], v8, off
	s_waitcnt vmcnt(0) lgkmcnt(0)
	v_mul_f64 v[74:75], v[2:3], v[192:193]
	v_mul_f64 v[6:7], v[4:5], v[192:193]
	v_fmac_f64_e32 v[74:75], v[4:5], v[190:191]
	v_fma_f64 v[2:3], v[2:3], v[190:191], -v[6:7]
	v_mov_b64_e32 v[4:5], v[74:75]
.LBB123_110:
	s_and_saveexec_b64 s[8:9], s[0:1]
	s_cbranch_execz .LBB123_114
; %bb.111:
	v_mov_b32_e32 v7, 0
	v_subrev_u32_e32 v6, 46, v0
	v_add_u32_e32 v7, 0x2e8, v7
	s_movk_i32 s10, 0x6a0
	s_mov_b64 s[0:1], 0
.LBB123_112:                            ; =>This Inner Loop Header: Depth=1
	v_add_u32_e32 v74, -8, v7
	scratch_load_dwordx4 v[190:193], v74, off
	v_mov_b32_e32 v74, s10
	ds_read_b128 v[194:197], v74
	v_add_u32_e32 v6, -1, v6
	s_add_i32 s10, s10, 16
	v_cmp_eq_u32_e32 vcc, 0, v6
	v_add_u32_e32 v7, 16, v7
	s_or_b64 s[0:1], vcc, s[0:1]
	s_waitcnt vmcnt(0) lgkmcnt(0)
	v_mul_f64 v[74:75], v[196:197], v[192:193]
	v_mul_f64 v[76:77], v[194:195], v[192:193]
	v_fma_f64 v[74:75], v[194:195], v[190:191], -v[74:75]
	v_fmac_f64_e32 v[76:77], v[196:197], v[190:191]
	v_add_f64 v[2:3], v[2:3], v[74:75]
	v_add_f64 v[4:5], v[4:5], v[76:77]
	s_andn2_b64 exec, exec, s[0:1]
	s_cbranch_execnz .LBB123_112
; %bb.113:
	s_or_b64 exec, exec, s[0:1]
.LBB123_114:
	s_or_b64 exec, exec, s[8:9]
	v_mov_b32_e32 v6, 0
	ds_read_b128 v[190:193], v6 offset:720
	s_waitcnt lgkmcnt(0)
	v_mul_f64 v[6:7], v[4:5], v[192:193]
	v_mul_f64 v[194:195], v[2:3], v[192:193]
	v_fma_f64 v[192:193], v[2:3], v[190:191], -v[6:7]
	v_fmac_f64_e32 v[194:195], v[4:5], v[190:191]
	scratch_store_dwordx4 off, v[192:195], off offset:720
.LBB123_115:
	;; [unrolled: 63-line block ×31, first 2 shown]
	s_or_b64 exec, exec, s[4:5]
	scratch_load_dwordx4 v[2:5], v115, off
	v_cmp_lt_u32_e64 s[2:3], 15, v0
	s_waitcnt vmcnt(0)
	ds_write_b128 v9, v[2:5]
	s_waitcnt lgkmcnt(0)
	; wave barrier
	s_waitcnt lgkmcnt(0)
	s_and_saveexec_b64 s[4:5], s[2:3]
	s_cbranch_execz .LBB123_355
; %bb.348:
	ds_read_b128 v[2:5], v9
	s_andn2_b64 vcc, exec, s[6:7]
	s_cbranch_vccnz .LBB123_350
; %bb.349:
	scratch_load_dwordx4 v[190:193], v8, off
	s_waitcnt vmcnt(0) lgkmcnt(0)
	v_mul_f64 v[74:75], v[2:3], v[192:193]
	v_mul_f64 v[6:7], v[4:5], v[192:193]
	v_fmac_f64_e32 v[74:75], v[4:5], v[190:191]
	v_fma_f64 v[2:3], v[2:3], v[190:191], -v[6:7]
	v_mov_b64_e32 v[4:5], v[74:75]
.LBB123_350:
	s_and_saveexec_b64 s[8:9], s[0:1]
	s_cbranch_execz .LBB123_354
; %bb.351:
	v_mov_b32_e32 v7, 0
	v_add_u32_e32 v6, -16, v0
	v_add_u32_e32 v7, 0x108, v7
	s_movk_i32 s10, 0x4c0
	s_mov_b64 s[0:1], 0
.LBB123_352:                            ; =>This Inner Loop Header: Depth=1
	v_add_u32_e32 v74, -8, v7
	scratch_load_dwordx4 v[190:193], v74, off
	v_mov_b32_e32 v74, s10
	ds_read_b128 v[194:197], v74
	v_add_u32_e32 v6, -1, v6
	s_add_i32 s10, s10, 16
	v_cmp_eq_u32_e32 vcc, 0, v6
	v_add_u32_e32 v7, 16, v7
	s_or_b64 s[0:1], vcc, s[0:1]
	s_waitcnt vmcnt(0) lgkmcnt(0)
	v_mul_f64 v[74:75], v[196:197], v[192:193]
	v_mul_f64 v[76:77], v[194:195], v[192:193]
	v_fma_f64 v[74:75], v[194:195], v[190:191], -v[74:75]
	v_fmac_f64_e32 v[76:77], v[196:197], v[190:191]
	v_add_f64 v[2:3], v[2:3], v[74:75]
	v_add_f64 v[4:5], v[4:5], v[76:77]
	s_andn2_b64 exec, exec, s[0:1]
	s_cbranch_execnz .LBB123_352
; %bb.353:
	s_or_b64 exec, exec, s[0:1]
.LBB123_354:
	s_or_b64 exec, exec, s[8:9]
	v_mov_b32_e32 v6, 0
	ds_read_b128 v[190:193], v6 offset:240
	s_waitcnt lgkmcnt(0)
	v_mul_f64 v[6:7], v[4:5], v[192:193]
	v_mul_f64 v[194:195], v[2:3], v[192:193]
	v_fma_f64 v[192:193], v[2:3], v[190:191], -v[6:7]
	v_fmac_f64_e32 v[194:195], v[4:5], v[190:191]
	scratch_store_dwordx4 off, v[192:195], off offset:240
.LBB123_355:
	s_or_b64 exec, exec, s[4:5]
	scratch_load_dwordx4 v[2:5], v116, off
	v_cmp_lt_u32_e64 s[0:1], 14, v0
	s_waitcnt vmcnt(0)
	ds_write_b128 v9, v[2:5]
	s_waitcnt lgkmcnt(0)
	; wave barrier
	s_waitcnt lgkmcnt(0)
	s_and_saveexec_b64 s[4:5], s[0:1]
	s_cbranch_execz .LBB123_363
; %bb.356:
	ds_read_b128 v[2:5], v9
	s_andn2_b64 vcc, exec, s[6:7]
	s_cbranch_vccnz .LBB123_358
; %bb.357:
	scratch_load_dwordx4 v[190:193], v8, off
	s_waitcnt vmcnt(0) lgkmcnt(0)
	v_mul_f64 v[74:75], v[2:3], v[192:193]
	v_mul_f64 v[6:7], v[4:5], v[192:193]
	v_fmac_f64_e32 v[74:75], v[4:5], v[190:191]
	v_fma_f64 v[2:3], v[2:3], v[190:191], -v[6:7]
	v_mov_b64_e32 v[4:5], v[74:75]
.LBB123_358:
	s_and_saveexec_b64 s[8:9], s[2:3]
	s_cbranch_execz .LBB123_362
; %bb.359:
	v_mov_b32_e32 v7, 0
	v_add_u32_e32 v6, -15, v0
	v_add_u32_e32 v7, 0xf8, v7
	s_movk_i32 s10, 0x4b0
	s_mov_b64 s[2:3], 0
.LBB123_360:                            ; =>This Inner Loop Header: Depth=1
	v_add_u32_e32 v74, -8, v7
	scratch_load_dwordx4 v[190:193], v74, off
	v_mov_b32_e32 v74, s10
	ds_read_b128 v[194:197], v74
	v_add_u32_e32 v6, -1, v6
	s_add_i32 s10, s10, 16
	v_cmp_eq_u32_e32 vcc, 0, v6
	v_add_u32_e32 v7, 16, v7
	s_or_b64 s[2:3], vcc, s[2:3]
	s_waitcnt vmcnt(0) lgkmcnt(0)
	v_mul_f64 v[74:75], v[196:197], v[192:193]
	v_mul_f64 v[76:77], v[194:195], v[192:193]
	v_fma_f64 v[74:75], v[194:195], v[190:191], -v[74:75]
	v_fmac_f64_e32 v[76:77], v[196:197], v[190:191]
	v_add_f64 v[2:3], v[2:3], v[74:75]
	v_add_f64 v[4:5], v[4:5], v[76:77]
	s_andn2_b64 exec, exec, s[2:3]
	s_cbranch_execnz .LBB123_360
; %bb.361:
	s_or_b64 exec, exec, s[2:3]
.LBB123_362:
	s_or_b64 exec, exec, s[8:9]
	v_mov_b32_e32 v6, 0
	ds_read_b128 v[190:193], v6 offset:224
	s_waitcnt lgkmcnt(0)
	v_mul_f64 v[6:7], v[4:5], v[192:193]
	v_mul_f64 v[194:195], v[2:3], v[192:193]
	v_fma_f64 v[192:193], v[2:3], v[190:191], -v[6:7]
	v_fmac_f64_e32 v[194:195], v[4:5], v[190:191]
	scratch_store_dwordx4 off, v[192:195], off offset:224
.LBB123_363:
	;; [unrolled: 63-line block ×15, first 2 shown]
	s_or_b64 exec, exec, s[2:3]
	scratch_load_dwordx4 v[2:5], off, off
	v_cmp_ne_u32_e32 vcc, 0, v0
	s_mov_b64 s[2:3], 0
	s_mov_b64 s[4:5], 0
                                        ; implicit-def: $vgpr6_vgpr7
                                        ; implicit-def: $vgpr189
	s_waitcnt vmcnt(0)
	ds_write_b128 v9, v[2:5]
	s_waitcnt lgkmcnt(0)
	; wave barrier
	s_waitcnt lgkmcnt(0)
	s_and_saveexec_b64 s[8:9], vcc
	s_cbranch_execz .LBB123_475
; %bb.468:
	ds_read_b128 v[2:5], v9
	s_andn2_b64 vcc, exec, s[6:7]
	s_cbranch_vccnz .LBB123_470
; %bb.469:
	scratch_load_dwordx4 v[190:193], v8, off
	s_waitcnt vmcnt(0) lgkmcnt(0)
	v_mul_f64 v[74:75], v[2:3], v[192:193]
	v_mul_f64 v[6:7], v[4:5], v[192:193]
	v_fmac_f64_e32 v[74:75], v[4:5], v[190:191]
	v_fma_f64 v[2:3], v[2:3], v[190:191], -v[6:7]
	v_mov_b64_e32 v[4:5], v[74:75]
.LBB123_470:
	s_and_saveexec_b64 s[4:5], s[0:1]
	s_cbranch_execz .LBB123_474
; %bb.471:
	v_mov_b32_e32 v7, 0
	v_add_u32_e32 v6, -1, v0
	v_add_u32_e32 v7, 24, v7
	s_movk_i32 s10, 0x3d0
	s_mov_b64 s[0:1], 0
.LBB123_472:                            ; =>This Inner Loop Header: Depth=1
	v_add_u32_e32 v74, -8, v7
	scratch_load_dwordx4 v[190:193], v74, off
	v_mov_b32_e32 v74, s10
	ds_read_b128 v[194:197], v74
	v_add_u32_e32 v6, -1, v6
	s_add_i32 s10, s10, 16
	v_cmp_eq_u32_e32 vcc, 0, v6
	v_add_u32_e32 v7, 16, v7
	s_or_b64 s[0:1], vcc, s[0:1]
	s_waitcnt vmcnt(0) lgkmcnt(0)
	v_mul_f64 v[74:75], v[196:197], v[192:193]
	v_mul_f64 v[76:77], v[194:195], v[192:193]
	v_fma_f64 v[74:75], v[194:195], v[190:191], -v[74:75]
	v_fmac_f64_e32 v[76:77], v[196:197], v[190:191]
	v_add_f64 v[2:3], v[2:3], v[74:75]
	v_add_f64 v[4:5], v[4:5], v[76:77]
	s_andn2_b64 exec, exec, s[0:1]
	s_cbranch_execnz .LBB123_472
; %bb.473:
	s_or_b64 exec, exec, s[0:1]
.LBB123_474:
	s_or_b64 exec, exec, s[4:5]
	v_mov_b32_e32 v6, 0
	ds_read_b128 v[190:193], v6
	v_mov_b32_e32 v6, 0
	v_or_b32_e32 v189, 8, v6
	s_mov_b64 s[4:5], exec
	s_waitcnt lgkmcnt(0)
	v_mul_f64 v[74:75], v[4:5], v[192:193]
	v_mul_f64 v[6:7], v[2:3], v[192:193]
	v_fma_f64 v[2:3], v[2:3], v[190:191], -v[74:75]
	v_fmac_f64_e32 v[6:7], v[4:5], v[190:191]
	scratch_store_dwordx2 off, v[2:3], off
.LBB123_475:
	s_or_b64 exec, exec, s[8:9]
	s_and_b64 vcc, exec, s[2:3]
	s_cbranch_vccnz .LBB123_477
	s_branch .LBB123_944
.LBB123_476:
	s_mov_b64 s[4:5], 0
                                        ; implicit-def: $vgpr6_vgpr7
                                        ; implicit-def: $vgpr189
	s_cbranch_execz .LBB123_944
.LBB123_477:
	scratch_load_dwordx4 v[2:5], v188, off
	v_cndmask_b32_e64 v6, 0, 1, s[6:7]
	v_cmp_eq_u32_e64 s[2:3], 0, v0
	v_cmp_ne_u32_e64 s[0:1], 1, v6
	s_waitcnt vmcnt(0)
	ds_write_b128 v9, v[2:5]
	s_waitcnt lgkmcnt(0)
	; wave barrier
	s_waitcnt lgkmcnt(0)
	s_and_saveexec_b64 s[6:7], s[2:3]
	s_cbranch_execz .LBB123_481
; %bb.478:
	ds_read_b128 v[2:5], v9
	s_and_b64 vcc, exec, s[0:1]
	s_cbranch_vccnz .LBB123_480
; %bb.479:
	scratch_load_dwordx4 v[190:193], v8, off
	s_waitcnt vmcnt(0) lgkmcnt(0)
	v_mul_f64 v[74:75], v[2:3], v[192:193]
	v_mul_f64 v[6:7], v[4:5], v[192:193]
	v_fmac_f64_e32 v[74:75], v[4:5], v[190:191]
	v_fma_f64 v[2:3], v[2:3], v[190:191], -v[6:7]
	v_mov_b64_e32 v[4:5], v[74:75]
.LBB123_480:
	v_mov_b32_e32 v6, 0
	ds_read_b128 v[190:193], v6 offset:16
	s_waitcnt lgkmcnt(0)
	v_mul_f64 v[6:7], v[4:5], v[192:193]
	v_mul_f64 v[194:195], v[2:3], v[192:193]
	v_fma_f64 v[192:193], v[2:3], v[190:191], -v[6:7]
	v_fmac_f64_e32 v[194:195], v[4:5], v[190:191]
	scratch_store_dwordx4 off, v[192:195], off offset:16
.LBB123_481:
	s_or_b64 exec, exec, s[6:7]
	scratch_load_dwordx4 v[2:5], v187, off
	v_cmp_gt_u32_e32 vcc, 2, v0
	s_waitcnt vmcnt(0)
	ds_write_b128 v9, v[2:5]
	s_waitcnt lgkmcnt(0)
	; wave barrier
	s_waitcnt lgkmcnt(0)
	s_and_saveexec_b64 s[6:7], vcc
	s_cbranch_execz .LBB123_487
; %bb.482:
	ds_read_b128 v[2:5], v9
	s_and_b64 vcc, exec, s[0:1]
	s_cbranch_vccnz .LBB123_484
; %bb.483:
	scratch_load_dwordx4 v[190:193], v8, off
	s_waitcnt vmcnt(0) lgkmcnt(0)
	v_mul_f64 v[74:75], v[2:3], v[192:193]
	v_mul_f64 v[6:7], v[4:5], v[192:193]
	v_fmac_f64_e32 v[74:75], v[4:5], v[190:191]
	v_fma_f64 v[2:3], v[2:3], v[190:191], -v[6:7]
	v_mov_b64_e32 v[4:5], v[74:75]
.LBB123_484:
	s_and_saveexec_b64 s[8:9], s[2:3]
	s_cbranch_execz .LBB123_486
; %bb.485:
	scratch_load_dwordx4 v[190:193], v8, off offset:16
	ds_read_b128 v[194:197], v9 offset:16
	s_waitcnt vmcnt(0) lgkmcnt(0)
	v_mul_f64 v[6:7], v[196:197], v[192:193]
	v_mul_f64 v[74:75], v[194:195], v[192:193]
	v_fma_f64 v[6:7], v[194:195], v[190:191], -v[6:7]
	v_fmac_f64_e32 v[74:75], v[196:197], v[190:191]
	v_add_f64 v[2:3], v[2:3], v[6:7]
	v_add_f64 v[4:5], v[4:5], v[74:75]
.LBB123_486:
	s_or_b64 exec, exec, s[8:9]
	v_mov_b32_e32 v6, 0
	ds_read_b128 v[190:193], v6 offset:32
	s_waitcnt lgkmcnt(0)
	v_mul_f64 v[6:7], v[4:5], v[192:193]
	v_mul_f64 v[194:195], v[2:3], v[192:193]
	v_fma_f64 v[192:193], v[2:3], v[190:191], -v[6:7]
	v_fmac_f64_e32 v[194:195], v[4:5], v[190:191]
	scratch_store_dwordx4 off, v[192:195], off offset:32
.LBB123_487:
	s_or_b64 exec, exec, s[6:7]
	scratch_load_dwordx4 v[2:5], v186, off
	v_cmp_gt_u32_e32 vcc, 3, v0
	s_waitcnt vmcnt(0)
	ds_write_b128 v9, v[2:5]
	s_waitcnt lgkmcnt(0)
	; wave barrier
	s_waitcnt lgkmcnt(0)
	s_and_saveexec_b64 s[6:7], vcc
	s_cbranch_execz .LBB123_495
; %bb.488:
	ds_read_b128 v[2:5], v9
	s_and_b64 vcc, exec, s[0:1]
	s_cbranch_vccnz .LBB123_490
; %bb.489:
	scratch_load_dwordx4 v[190:193], v8, off
	s_waitcnt vmcnt(0) lgkmcnt(0)
	v_mul_f64 v[74:75], v[2:3], v[192:193]
	v_mul_f64 v[6:7], v[4:5], v[192:193]
	v_fmac_f64_e32 v[74:75], v[4:5], v[190:191]
	v_fma_f64 v[2:3], v[2:3], v[190:191], -v[6:7]
	v_mov_b64_e32 v[4:5], v[74:75]
.LBB123_490:
	v_cmp_ne_u32_e32 vcc, 2, v0
	s_and_saveexec_b64 s[8:9], vcc
	s_cbranch_execz .LBB123_494
; %bb.491:
	scratch_load_dwordx4 v[190:193], v8, off offset:16
	ds_read_b128 v[194:197], v9 offset:16
	s_waitcnt vmcnt(0) lgkmcnt(0)
	v_mul_f64 v[6:7], v[196:197], v[192:193]
	v_mul_f64 v[74:75], v[194:195], v[192:193]
	v_fma_f64 v[6:7], v[194:195], v[190:191], -v[6:7]
	v_fmac_f64_e32 v[74:75], v[196:197], v[190:191]
	v_add_f64 v[2:3], v[2:3], v[6:7]
	v_add_f64 v[4:5], v[4:5], v[74:75]
	s_and_saveexec_b64 s[10:11], s[2:3]
	s_cbranch_execz .LBB123_493
; %bb.492:
	scratch_load_dwordx4 v[190:193], off, off offset:32
	v_mov_b32_e32 v6, 0
	ds_read_b128 v[194:197], v6 offset:992
	s_waitcnt vmcnt(0) lgkmcnt(0)
	v_mul_f64 v[6:7], v[194:195], v[192:193]
	v_mul_f64 v[74:75], v[196:197], v[192:193]
	v_fmac_f64_e32 v[6:7], v[196:197], v[190:191]
	v_fma_f64 v[74:75], v[194:195], v[190:191], -v[74:75]
	v_add_f64 v[4:5], v[4:5], v[6:7]
	v_add_f64 v[2:3], v[2:3], v[74:75]
.LBB123_493:
	s_or_b64 exec, exec, s[10:11]
.LBB123_494:
	s_or_b64 exec, exec, s[8:9]
	v_mov_b32_e32 v6, 0
	ds_read_b128 v[190:193], v6 offset:48
	s_waitcnt lgkmcnt(0)
	v_mul_f64 v[6:7], v[4:5], v[192:193]
	v_mul_f64 v[194:195], v[2:3], v[192:193]
	v_fma_f64 v[192:193], v[2:3], v[190:191], -v[6:7]
	v_fmac_f64_e32 v[194:195], v[4:5], v[190:191]
	scratch_store_dwordx4 off, v[192:195], off offset:48
.LBB123_495:
	s_or_b64 exec, exec, s[6:7]
	scratch_load_dwordx4 v[2:5], v185, off
	v_cmp_gt_u32_e32 vcc, 4, v0
	s_waitcnt vmcnt(0)
	ds_write_b128 v9, v[2:5]
	s_waitcnt lgkmcnt(0)
	; wave barrier
	s_waitcnt lgkmcnt(0)
	s_and_saveexec_b64 s[2:3], vcc
	s_cbranch_execz .LBB123_503
; %bb.496:
	ds_read_b128 v[2:5], v9
	s_and_b64 vcc, exec, s[0:1]
	s_cbranch_vccnz .LBB123_498
; %bb.497:
	scratch_load_dwordx4 v[190:193], v8, off
	s_waitcnt vmcnt(0) lgkmcnt(0)
	v_mul_f64 v[74:75], v[2:3], v[192:193]
	v_mul_f64 v[6:7], v[4:5], v[192:193]
	v_fmac_f64_e32 v[74:75], v[4:5], v[190:191]
	v_fma_f64 v[2:3], v[2:3], v[190:191], -v[6:7]
	v_mov_b64_e32 v[4:5], v[74:75]
.LBB123_498:
	v_cmp_ne_u32_e32 vcc, 3, v0
	s_and_saveexec_b64 s[6:7], vcc
	s_cbranch_execz .LBB123_502
; %bb.499:
	v_mov_b32_e32 v7, 0
	v_add_u32_e32 v6, 0x3d0, v164
	v_add3_u32 v7, v164, v7, 24
	s_mov_b64 s[8:9], 0
	v_mov_b32_e32 v189, v0
.LBB123_500:                            ; =>This Inner Loop Header: Depth=1
	v_add_u32_e32 v74, -8, v7
	scratch_load_dwordx4 v[190:193], v74, off
	ds_read_b128 v[194:197], v6
	v_add_u32_e32 v189, 1, v189
	v_cmp_lt_u32_e32 vcc, 2, v189
	v_add_u32_e32 v6, 16, v6
	v_add_u32_e32 v7, 16, v7
	s_or_b64 s[8:9], vcc, s[8:9]
	s_waitcnt vmcnt(0) lgkmcnt(0)
	v_mul_f64 v[74:75], v[196:197], v[192:193]
	v_mul_f64 v[76:77], v[194:195], v[192:193]
	v_fma_f64 v[74:75], v[194:195], v[190:191], -v[74:75]
	v_fmac_f64_e32 v[76:77], v[196:197], v[190:191]
	v_add_f64 v[2:3], v[2:3], v[74:75]
	v_add_f64 v[4:5], v[4:5], v[76:77]
	s_andn2_b64 exec, exec, s[8:9]
	s_cbranch_execnz .LBB123_500
; %bb.501:
	s_or_b64 exec, exec, s[8:9]
.LBB123_502:
	s_or_b64 exec, exec, s[6:7]
	v_mov_b32_e32 v6, 0
	ds_read_b128 v[190:193], v6 offset:64
	s_waitcnt lgkmcnt(0)
	v_mul_f64 v[6:7], v[4:5], v[192:193]
	v_mul_f64 v[194:195], v[2:3], v[192:193]
	v_fma_f64 v[192:193], v[2:3], v[190:191], -v[6:7]
	v_fmac_f64_e32 v[194:195], v[4:5], v[190:191]
	scratch_store_dwordx4 off, v[192:195], off offset:64
.LBB123_503:
	s_or_b64 exec, exec, s[2:3]
	scratch_load_dwordx4 v[2:5], v184, off
	v_cmp_gt_u32_e32 vcc, 5, v0
	s_waitcnt vmcnt(0)
	ds_write_b128 v9, v[2:5]
	s_waitcnt lgkmcnt(0)
	; wave barrier
	s_waitcnt lgkmcnt(0)
	s_and_saveexec_b64 s[2:3], vcc
	s_cbranch_execz .LBB123_511
; %bb.504:
	ds_read_b128 v[2:5], v9
	s_and_b64 vcc, exec, s[0:1]
	s_cbranch_vccnz .LBB123_506
; %bb.505:
	scratch_load_dwordx4 v[190:193], v8, off
	s_waitcnt vmcnt(0) lgkmcnt(0)
	v_mul_f64 v[74:75], v[2:3], v[192:193]
	v_mul_f64 v[6:7], v[4:5], v[192:193]
	v_fmac_f64_e32 v[74:75], v[4:5], v[190:191]
	v_fma_f64 v[2:3], v[2:3], v[190:191], -v[6:7]
	v_mov_b64_e32 v[4:5], v[74:75]
.LBB123_506:
	v_cmp_ne_u32_e32 vcc, 4, v0
	s_and_saveexec_b64 s[6:7], vcc
	s_cbranch_execz .LBB123_510
; %bb.507:
	v_mov_b32_e32 v7, 0
	v_add_u32_e32 v6, 0x3d0, v164
	v_add3_u32 v7, v164, v7, 24
	s_mov_b64 s[8:9], 0
	v_mov_b32_e32 v189, v0
.LBB123_508:                            ; =>This Inner Loop Header: Depth=1
	v_add_u32_e32 v74, -8, v7
	scratch_load_dwordx4 v[190:193], v74, off
	ds_read_b128 v[194:197], v6
	v_add_u32_e32 v189, 1, v189
	v_cmp_lt_u32_e32 vcc, 3, v189
	v_add_u32_e32 v6, 16, v6
	v_add_u32_e32 v7, 16, v7
	s_or_b64 s[8:9], vcc, s[8:9]
	s_waitcnt vmcnt(0) lgkmcnt(0)
	v_mul_f64 v[74:75], v[196:197], v[192:193]
	v_mul_f64 v[76:77], v[194:195], v[192:193]
	v_fma_f64 v[74:75], v[194:195], v[190:191], -v[74:75]
	v_fmac_f64_e32 v[76:77], v[196:197], v[190:191]
	v_add_f64 v[2:3], v[2:3], v[74:75]
	v_add_f64 v[4:5], v[4:5], v[76:77]
	s_andn2_b64 exec, exec, s[8:9]
	s_cbranch_execnz .LBB123_508
; %bb.509:
	s_or_b64 exec, exec, s[8:9]
.LBB123_510:
	s_or_b64 exec, exec, s[6:7]
	v_mov_b32_e32 v6, 0
	ds_read_b128 v[190:193], v6 offset:80
	s_waitcnt lgkmcnt(0)
	v_mul_f64 v[6:7], v[4:5], v[192:193]
	v_mul_f64 v[194:195], v[2:3], v[192:193]
	v_fma_f64 v[192:193], v[2:3], v[190:191], -v[6:7]
	v_fmac_f64_e32 v[194:195], v[4:5], v[190:191]
	scratch_store_dwordx4 off, v[192:195], off offset:80
.LBB123_511:
	;; [unrolled: 63-line block ×54, first 2 shown]
	s_or_b64 exec, exec, s[2:3]
	scratch_load_dwordx4 v[2:5], v154, off
	v_cmp_gt_u32_e64 s[2:3], 58, v0
	s_waitcnt vmcnt(0)
	ds_write_b128 v9, v[2:5]
	s_waitcnt lgkmcnt(0)
	; wave barrier
	s_waitcnt lgkmcnt(0)
	s_and_saveexec_b64 s[6:7], s[2:3]
	s_cbranch_execz .LBB123_935
; %bb.928:
	ds_read_b128 v[2:5], v9
	s_and_b64 vcc, exec, s[0:1]
	s_cbranch_vccnz .LBB123_930
; %bb.929:
	scratch_load_dwordx4 v[190:193], v8, off
	s_waitcnt vmcnt(0) lgkmcnt(0)
	v_mul_f64 v[74:75], v[2:3], v[192:193]
	v_mul_f64 v[6:7], v[4:5], v[192:193]
	v_fmac_f64_e32 v[74:75], v[4:5], v[190:191]
	v_fma_f64 v[2:3], v[2:3], v[190:191], -v[6:7]
	v_mov_b64_e32 v[4:5], v[74:75]
.LBB123_930:
	v_cmp_ne_u32_e32 vcc, 57, v0
	s_and_saveexec_b64 s[8:9], vcc
	s_cbranch_execz .LBB123_934
; %bb.931:
	v_mov_b32_e32 v7, 0
	v_add_u32_e32 v6, 0x3d0, v164
	v_add3_u32 v7, v164, v7, 24
	s_mov_b64 s[10:11], 0
	v_mov_b32_e32 v189, v0
.LBB123_932:                            ; =>This Inner Loop Header: Depth=1
	v_add_u32_e32 v74, -8, v7
	scratch_load_dwordx4 v[190:193], v74, off
	ds_read_b128 v[194:197], v6
	v_add_u32_e32 v189, 1, v189
	v_cmp_lt_u32_e32 vcc, 56, v189
	v_add_u32_e32 v6, 16, v6
	v_add_u32_e32 v7, 16, v7
	s_or_b64 s[10:11], vcc, s[10:11]
	s_waitcnt vmcnt(0) lgkmcnt(0)
	v_mul_f64 v[74:75], v[196:197], v[192:193]
	v_mul_f64 v[76:77], v[194:195], v[192:193]
	v_fma_f64 v[74:75], v[194:195], v[190:191], -v[74:75]
	v_fmac_f64_e32 v[76:77], v[196:197], v[190:191]
	v_add_f64 v[2:3], v[2:3], v[74:75]
	v_add_f64 v[4:5], v[4:5], v[76:77]
	s_andn2_b64 exec, exec, s[10:11]
	s_cbranch_execnz .LBB123_932
; %bb.933:
	s_or_b64 exec, exec, s[10:11]
.LBB123_934:
	s_or_b64 exec, exec, s[8:9]
	v_mov_b32_e32 v6, 0
	ds_read_b128 v[190:193], v6 offset:928
	s_waitcnt lgkmcnt(0)
	v_mul_f64 v[6:7], v[4:5], v[192:193]
	v_mul_f64 v[194:195], v[2:3], v[192:193]
	v_fma_f64 v[192:193], v[2:3], v[190:191], -v[6:7]
	v_fmac_f64_e32 v[194:195], v[4:5], v[190:191]
	scratch_store_dwordx4 off, v[192:195], off offset:928
.LBB123_935:
	s_or_b64 exec, exec, s[6:7]
	scratch_load_dwordx4 v[2:5], v1, off
	v_cmp_ne_u32_e32 vcc, 59, v0
                                        ; implicit-def: $vgpr6_vgpr7
                                        ; implicit-def: $vgpr189
	s_waitcnt vmcnt(0)
	ds_write_b128 v9, v[2:5]
	s_waitcnt lgkmcnt(0)
	; wave barrier
	s_waitcnt lgkmcnt(0)
	s_and_saveexec_b64 s[6:7], vcc
	s_cbranch_execz .LBB123_943
; %bb.936:
	ds_read_b128 v[2:5], v9
	s_and_b64 vcc, exec, s[0:1]
	s_cbranch_vccnz .LBB123_938
; %bb.937:
	scratch_load_dwordx4 v[6:9], v8, off
	s_waitcnt vmcnt(0) lgkmcnt(0)
	v_mul_f64 v[74:75], v[4:5], v[8:9]
	v_mul_f64 v[8:9], v[2:3], v[8:9]
	v_fmac_f64_e32 v[8:9], v[4:5], v[6:7]
	v_fma_f64 v[2:3], v[2:3], v[6:7], -v[74:75]
	v_mov_b64_e32 v[4:5], v[8:9]
.LBB123_938:
	s_and_saveexec_b64 s[0:1], s[2:3]
	s_cbranch_execz .LBB123_942
; %bb.939:
	v_mov_b32_e32 v7, 0
	v_add_u32_e32 v6, 0x3d0, v164
	v_add3_u32 v7, v164, v7, 24
	s_mov_b64 s[2:3], 0
.LBB123_940:                            ; =>This Inner Loop Header: Depth=1
	v_add_u32_e32 v8, -8, v7
	scratch_load_dwordx4 v[190:193], v8, off
	ds_read_b128 v[194:197], v6
	v_add_u32_e32 v0, 1, v0
	v_cmp_lt_u32_e32 vcc, 57, v0
	v_add_u32_e32 v6, 16, v6
	v_add_u32_e32 v7, 16, v7
	s_or_b64 s[2:3], vcc, s[2:3]
	s_waitcnt vmcnt(0) lgkmcnt(0)
	v_mul_f64 v[8:9], v[196:197], v[192:193]
	v_mul_f64 v[74:75], v[194:195], v[192:193]
	v_fma_f64 v[8:9], v[194:195], v[190:191], -v[8:9]
	v_fmac_f64_e32 v[74:75], v[196:197], v[190:191]
	v_add_f64 v[2:3], v[2:3], v[8:9]
	v_add_f64 v[4:5], v[4:5], v[74:75]
	s_andn2_b64 exec, exec, s[2:3]
	s_cbranch_execnz .LBB123_940
; %bb.941:
	s_or_b64 exec, exec, s[2:3]
.LBB123_942:
	s_or_b64 exec, exec, s[0:1]
	v_mov_b32_e32 v0, 0
	ds_read_b128 v[190:193], v0 offset:944
	v_mov_b32_e32 v0, 0
	v_add_u32_e32 v189, 0x3b8, v0
	s_or_b64 s[4:5], s[4:5], exec
	s_waitcnt lgkmcnt(0)
	v_mul_f64 v[8:9], v[4:5], v[192:193]
	v_mul_f64 v[6:7], v[2:3], v[192:193]
	v_fma_f64 v[2:3], v[2:3], v[190:191], -v[8:9]
	v_fmac_f64_e32 v[6:7], v[4:5], v[190:191]
	scratch_store_dwordx2 off, v[2:3], off offset:944
.LBB123_943:
	s_or_b64 exec, exec, s[6:7]
.LBB123_944:
	s_and_saveexec_b64 s[0:1], s[4:5]
	s_cbranch_execz .LBB123_946
; %bb.945:
	scratch_store_dwordx2 v189, v[6:7], off
.LBB123_946:
	s_or_b64 exec, exec, s[0:1]
	scratch_load_dwordx4 v[2:5], off, off
	scratch_load_dwordx4 v[6:9], v188, off
	s_nop 0
	scratch_load_dwordx4 v[188:191], v187, off
	scratch_load_dwordx4 v[192:195], v186, off
	scratch_load_dwordx4 v[196:199], v185, off
	s_nop 0
	scratch_load_dwordx4 v[184:187], v184, off
	s_nop 0
	scratch_load_dwordx4 v[200:203], v183, off
	scratch_load_dwordx4 v[204:207], v182, off
	;; [unrolled: 1-line block ×3, first 2 shown]
	s_nop 0
	scratch_load_dwordx4 v[180:183], v180, off
	s_nop 0
	scratch_load_dwordx4 v[212:215], v179, off
	scratch_load_dwordx4 v[216:219], v178, off
	;; [unrolled: 1-line block ×6, first 2 shown]
	s_nop 0
	scratch_load_dwordx4 v[114:117], v114, off
	s_nop 0
	scratch_load_dwordx4 v[236:239], v113, off
	scratch_load_dwordx4 v[240:243], v112, off
	scratch_load_dwordx4 v[244:247], v111, off
	s_nop 0
	scratch_load_dwordx4 v[110:113], v110, off
	s_nop 0
	scratch_load_dwordx4 v[248:251], v109, off
	scratch_load_dwordx4 v[252:255], v108, off
	;; [unrolled: 1-line block ×3, first 2 shown]
	s_waitcnt vmcnt(23)
	global_store_dwordx4 v[118:119], v[2:5], off
	scratch_load_dwordx4 v[2:5], v106, off
	s_nop 0
	scratch_load_dwordx4 v[106:109], v105, off
	s_waitcnt vmcnt(25)
	global_store_dwordx4 v[120:121], v[6:9], off
	scratch_load_dwordx4 v[6:9], v104, off
	s_nop 0
	scratch_load_dwordx4 v[118:121], v103, off
	;; [unrolled: 5-line block ×17, first 2 shown]
	v_accvgpr_read_b32 v11, a1
	v_accvgpr_read_b32 v10, a0
	s_waitcnt vmcnt(57)
	global_store_dwordx4 v[10:11], v[236:239], off
	scratch_load_dwordx4 v[236:239], v154, off
	s_nop 0
	scratch_load_dwordx4 v[154:157], v1, off
	v_accvgpr_read_b32 v0, a2
	v_accvgpr_read_b32 v1, a3
	s_waitcnt vmcnt(59)
	global_store_dwordx4 v[0:1], v[240:243], off
	v_accvgpr_read_b32 v0, a4
	v_accvgpr_read_b32 v1, a5
	s_waitcnt vmcnt(59)
	global_store_dwordx4 v[0:1], v[244:247], off
	s_waitcnt vmcnt(59)
	global_store_dwordx4 v[158:159], v[110:113], off
	;; [unrolled: 2-line block ×41, first 2 shown]
.LBB123_947:
	s_endpgm
	.section	.rodata,"a",@progbits
	.p2align	6, 0x0
	.amdhsa_kernel _ZN9rocsolver6v33100L18trti2_kernel_smallILi60E19rocblas_complex_numIdEPKPS3_EEv13rocblas_fill_17rocblas_diagonal_T1_iil
		.amdhsa_group_segment_fixed_size 1920
		.amdhsa_private_segment_fixed_size 976
		.amdhsa_kernarg_size 32
		.amdhsa_user_sgpr_count 2
		.amdhsa_user_sgpr_dispatch_ptr 0
		.amdhsa_user_sgpr_queue_ptr 0
		.amdhsa_user_sgpr_kernarg_segment_ptr 1
		.amdhsa_user_sgpr_dispatch_id 0
		.amdhsa_user_sgpr_kernarg_preload_length 0
		.amdhsa_user_sgpr_kernarg_preload_offset 0
		.amdhsa_user_sgpr_private_segment_size 0
		.amdhsa_uses_dynamic_stack 0
		.amdhsa_enable_private_segment 1
		.amdhsa_system_sgpr_workgroup_id_x 1
		.amdhsa_system_sgpr_workgroup_id_y 0
		.amdhsa_system_sgpr_workgroup_id_z 0
		.amdhsa_system_sgpr_workgroup_info 0
		.amdhsa_system_vgpr_workitem_id 0
		.amdhsa_next_free_vgpr 262
		.amdhsa_next_free_sgpr 12
		.amdhsa_accum_offset 256
		.amdhsa_reserve_vcc 1
		.amdhsa_float_round_mode_32 0
		.amdhsa_float_round_mode_16_64 0
		.amdhsa_float_denorm_mode_32 3
		.amdhsa_float_denorm_mode_16_64 3
		.amdhsa_dx10_clamp 1
		.amdhsa_ieee_mode 1
		.amdhsa_fp16_overflow 0
		.amdhsa_tg_split 0
		.amdhsa_exception_fp_ieee_invalid_op 0
		.amdhsa_exception_fp_denorm_src 0
		.amdhsa_exception_fp_ieee_div_zero 0
		.amdhsa_exception_fp_ieee_overflow 0
		.amdhsa_exception_fp_ieee_underflow 0
		.amdhsa_exception_fp_ieee_inexact 0
		.amdhsa_exception_int_div_zero 0
	.end_amdhsa_kernel
	.section	.text._ZN9rocsolver6v33100L18trti2_kernel_smallILi60E19rocblas_complex_numIdEPKPS3_EEv13rocblas_fill_17rocblas_diagonal_T1_iil,"axG",@progbits,_ZN9rocsolver6v33100L18trti2_kernel_smallILi60E19rocblas_complex_numIdEPKPS3_EEv13rocblas_fill_17rocblas_diagonal_T1_iil,comdat
.Lfunc_end123:
	.size	_ZN9rocsolver6v33100L18trti2_kernel_smallILi60E19rocblas_complex_numIdEPKPS3_EEv13rocblas_fill_17rocblas_diagonal_T1_iil, .Lfunc_end123-_ZN9rocsolver6v33100L18trti2_kernel_smallILi60E19rocblas_complex_numIdEPKPS3_EEv13rocblas_fill_17rocblas_diagonal_T1_iil
                                        ; -- End function
	.section	.AMDGPU.csdata,"",@progbits
; Kernel info:
; codeLenInByte = 39744
; NumSgprs: 18
; NumVgprs: 256
; NumAgprs: 6
; TotalNumVgprs: 262
; ScratchSize: 976
; MemoryBound: 0
; FloatMode: 240
; IeeeMode: 1
; LDSByteSize: 1920 bytes/workgroup (compile time only)
; SGPRBlocks: 2
; VGPRBlocks: 32
; NumSGPRsForWavesPerEU: 18
; NumVGPRsForWavesPerEU: 262
; AccumOffset: 256
; Occupancy: 1
; WaveLimiterHint : 1
; COMPUTE_PGM_RSRC2:SCRATCH_EN: 1
; COMPUTE_PGM_RSRC2:USER_SGPR: 2
; COMPUTE_PGM_RSRC2:TRAP_HANDLER: 0
; COMPUTE_PGM_RSRC2:TGID_X_EN: 1
; COMPUTE_PGM_RSRC2:TGID_Y_EN: 0
; COMPUTE_PGM_RSRC2:TGID_Z_EN: 0
; COMPUTE_PGM_RSRC2:TIDIG_COMP_CNT: 0
; COMPUTE_PGM_RSRC3_GFX90A:ACCUM_OFFSET: 63
; COMPUTE_PGM_RSRC3_GFX90A:TG_SPLIT: 0
	.section	.text._ZN9rocsolver6v33100L18trti2_kernel_smallILi61E19rocblas_complex_numIdEPKPS3_EEv13rocblas_fill_17rocblas_diagonal_T1_iil,"axG",@progbits,_ZN9rocsolver6v33100L18trti2_kernel_smallILi61E19rocblas_complex_numIdEPKPS3_EEv13rocblas_fill_17rocblas_diagonal_T1_iil,comdat
	.globl	_ZN9rocsolver6v33100L18trti2_kernel_smallILi61E19rocblas_complex_numIdEPKPS3_EEv13rocblas_fill_17rocblas_diagonal_T1_iil ; -- Begin function _ZN9rocsolver6v33100L18trti2_kernel_smallILi61E19rocblas_complex_numIdEPKPS3_EEv13rocblas_fill_17rocblas_diagonal_T1_iil
	.p2align	8
	.type	_ZN9rocsolver6v33100L18trti2_kernel_smallILi61E19rocblas_complex_numIdEPKPS3_EEv13rocblas_fill_17rocblas_diagonal_T1_iil,@function
_ZN9rocsolver6v33100L18trti2_kernel_smallILi61E19rocblas_complex_numIdEPKPS3_EEv13rocblas_fill_17rocblas_diagonal_T1_iil: ; @_ZN9rocsolver6v33100L18trti2_kernel_smallILi61E19rocblas_complex_numIdEPKPS3_EEv13rocblas_fill_17rocblas_diagonal_T1_iil
; %bb.0:
	v_cmp_gt_u32_e32 vcc, 61, v0
	s_and_saveexec_b64 s[4:5], vcc
	s_cbranch_execz .LBB124_1323
; %bb.1:
	s_load_dwordx2 s[8:9], s[0:1], 0x10
	s_load_dwordx4 s[4:7], s[0:1], 0x0
	s_ashr_i32 s3, s2, 31
	s_lshl_b64 s[0:1], s[2:3], 3
	v_lshlrev_b32_e32 v72, 4, v0
	s_waitcnt lgkmcnt(0)
	s_ashr_i32 s3, s8, 31
	s_add_u32 s0, s6, s0
	s_addc_u32 s1, s7, s1
	s_load_dwordx2 s[0:1], s[0:1], 0x0
	s_mov_b32 s2, s8
	s_lshl_b64 s[2:3], s[2:3], 4
	v_mov_b32_e32 v73, 0
	v_mov_b32_e32 v1, 0
	s_waitcnt lgkmcnt(0)
	s_add_u32 s0, s0, s2
	s_addc_u32 s1, s1, s3
	v_lshl_add_u64 v[12:13], s[0:1], 0, v[72:73]
	s_ashr_i32 s3, s9, 31
	s_mov_b32 s2, s9
	v_lshl_add_u64 v[14:15], s[2:3], 4, v[12:13]
	s_add_i32 s2, s9, s9
	v_add_u32_e32 v10, s2, v0
	v_ashrrev_i32_e32 v11, 31, v10
	v_lshl_add_u64 v[16:17], v[10:11], 4, s[0:1]
	v_add_u32_e32 v10, s9, v10
	v_ashrrev_i32_e32 v11, 31, v10
	v_lshl_add_u64 v[18:19], v[10:11], 4, s[0:1]
	;; [unrolled: 3-line block ×6, first 2 shown]
	v_add_u32_e32 v10, s9, v10
	v_ashrrev_i32_e32 v11, 31, v10
	v_add_u32_e32 v30, s9, v10
	v_lshl_add_u64 v[28:29], v[10:11], 4, s[0:1]
	v_add_u32_e32 v10, s9, v30
	v_ashrrev_i32_e32 v11, 31, v10
	v_add_u32_e32 v34, s9, v10
	v_lshl_add_u64 v[32:33], v[10:11], 4, s[0:1]
	;; [unrolled: 4-line block ×3, first 2 shown]
	v_add_u32_e32 v10, s9, v40
	v_ashrrev_i32_e32 v41, 31, v40
	v_ashrrev_i32_e32 v11, 31, v10
	v_add_u32_e32 v42, s9, v10
	v_lshl_add_u64 v[38:39], v[40:41], 4, s[0:1]
	v_lshl_add_u64 v[40:41], v[10:11], 4, s[0:1]
	v_add_u32_e32 v10, s9, v42
	v_ashrrev_i32_e32 v11, 31, v10
	v_add_u32_e32 v48, s9, v10
	v_lshl_add_u64 v[44:45], v[10:11], 4, s[0:1]
	v_ashrrev_i32_e32 v49, 31, v48
	v_add_u32_e32 v10, s9, v48
	v_lshl_add_u64 v[46:47], v[48:49], 4, s[0:1]
	;; [unrolled: 3-line block ×3, first 2 shown]
	v_add_u32_e32 v10, s9, v48
	v_ashrrev_i32_e32 v49, 31, v48
	v_ashrrev_i32_e32 v11, 31, v10
	v_lshl_add_u64 v[254:255], v[48:49], 4, s[0:1]
	v_lshl_add_u64 v[48:49], v[10:11], 4, s[0:1]
	v_add_u32_e32 v10, s9, v10
	v_ashrrev_i32_e32 v11, 31, v10
	v_lshl_add_u64 v[54:55], v[10:11], 4, s[0:1]
	v_add_u32_e32 v10, s9, v10
	v_ashrrev_i32_e32 v11, 31, v10
	;; [unrolled: 3-line block ×7, first 2 shown]
	v_ashrrev_i32_e32 v31, 31, v30
	v_ashrrev_i32_e32 v35, 31, v34
	;; [unrolled: 1-line block ×3, first 2 shown]
	v_lshl_add_u64 v[66:67], v[10:11], 4, s[0:1]
	v_add_u32_e32 v10, s9, v10
	v_lshl_add_u64 v[30:31], v[30:31], 4, s[0:1]
	v_lshl_add_u64 v[34:35], v[34:35], 4, s[0:1]
	;; [unrolled: 1-line block ×3, first 2 shown]
	v_ashrrev_i32_e32 v11, 31, v10
	global_load_dwordx4 v[2:5], v72, s[0:1]
	global_load_dwordx4 v[6:9], v[14:15], off
	global_load_dwordx4 v[74:77], v[16:17], off
	;; [unrolled: 1-line block ×26, first 2 shown]
	v_lshl_add_u64 v[68:69], v[10:11], 4, s[0:1]
	global_load_dwordx4 v[174:177], v[66:67], off
	global_load_dwordx4 v[178:181], v[68:69], off
	v_add_u32_e32 v10, s9, v10
	v_ashrrev_i32_e32 v11, 31, v10
	v_lshl_add_u64 v[70:71], v[10:11], 4, s[0:1]
	global_load_dwordx4 v[182:185], v[70:71], off
	v_accvgpr_write_b32 a0, v48
	s_cmpk_lg_i32 s5, 0x84
	v_accvgpr_write_b32 a1, v49
	s_cselect_b64 s[6:7], -1, 0
	s_cmpk_eq_i32 s5, 0x84
	s_waitcnt vmcnt(29)
	scratch_store_dwordx4 off, v[2:5], off
	s_waitcnt vmcnt(29)
	scratch_store_dwordx4 off, v[6:9], off offset:16
	s_waitcnt vmcnt(29)
	scratch_store_dwordx4 off, v[74:77], off offset:32
	;; [unrolled: 2-line block ×28, first 2 shown]
	v_add_u32_e32 v6, s9, v10
	v_ashrrev_i32_e32 v7, 31, v6
	v_lshl_add_u64 v[74:75], v[6:7], 4, s[0:1]
	v_add_u32_e32 v6, s9, v6
	v_add_u32_e32 v10, s9, v6
	v_ashrrev_i32_e32 v11, 31, v10
	v_lshl_add_u64 v[78:79], v[10:11], 4, s[0:1]
	v_add_u32_e32 v10, s9, v10
	v_ashrrev_i32_e32 v11, 31, v10
	v_lshl_add_u64 v[80:81], v[10:11], 4, s[0:1]
	;; [unrolled: 3-line block ×27, first 2 shown]
	v_add_u32_e32 v10, s9, v10
	v_ashrrev_i32_e32 v11, 31, v10
	v_ashrrev_i32_e32 v7, 31, v6
	v_lshl_add_u64 v[132:133], v[10:11], 4, s[0:1]
	v_add_u32_e32 v10, s9, v10
	s_waitcnt vmcnt(29)
	scratch_store_dwordx4 off, v[182:185], off offset:464
	v_lshl_add_u64 v[76:77], v[6:7], 4, s[0:1]
	v_ashrrev_i32_e32 v11, 31, v10
	global_load_dwordx4 v[2:5], v[74:75], off
	global_load_dwordx4 v[6:9], v[76:77], off
	;; [unrolled: 1-line block ×29, first 2 shown]
	v_lshl_add_u64 v[134:135], v[10:11], 4, s[0:1]
	global_load_dwordx4 v[244:247], v[132:133], off
	global_load_dwordx4 v[248:251], v[134:135], off
	s_waitcnt vmcnt(30)
	scratch_store_dwordx4 off, v[2:5], off offset:480
	s_waitcnt vmcnt(30)
	scratch_store_dwordx4 off, v[6:9], off offset:496
	;; [unrolled: 2-line block ×31, first 2 shown]
	s_cbranch_scc1 .LBB124_7
; %bb.2:
	scratch_load_dwordx4 v[8:11], v72, off
                                        ; implicit-def: $vgpr6_vgpr7
	s_waitcnt vmcnt(0)
	v_xor_b32_e32 v3, 0x80000000, v9
	v_cmp_gt_f64_e32 vcc, 0, v[8:9]
	v_xor_b32_e32 v4, 0x80000000, v11
	v_mov_b32_e32 v2, v8
	v_cndmask_b32_e32 v3, v9, v3, vcc
	v_cmp_gt_f64_e32 vcc, 0, v[10:11]
	s_nop 1
	v_cndmask_b32_e32 v5, v11, v4, vcc
	v_mov_b32_e32 v4, v10
	v_cmp_ngt_f64_e32 vcc, v[2:3], v[4:5]
                                        ; implicit-def: $vgpr2_vgpr3
	s_and_saveexec_b64 s[0:1], vcc
	s_xor_b64 s[0:1], exec, s[0:1]
	s_cbranch_execz .LBB124_4
; %bb.3:
	v_div_scale_f64 v[2:3], s[2:3], v[10:11], v[10:11], v[8:9]
	v_rcp_f64_e32 v[4:5], v[2:3]
	v_div_scale_f64 v[6:7], vcc, v[8:9], v[10:11], v[8:9]
	v_fma_f64 v[48:49], -v[2:3], v[4:5], 1.0
	v_fmac_f64_e32 v[4:5], v[4:5], v[48:49]
	v_fma_f64 v[48:49], -v[2:3], v[4:5], 1.0
	v_fmac_f64_e32 v[4:5], v[4:5], v[48:49]
	v_mul_f64 v[48:49], v[6:7], v[4:5]
	v_fma_f64 v[2:3], -v[2:3], v[48:49], v[6:7]
	v_div_fmas_f64 v[2:3], v[2:3], v[4:5], v[48:49]
	v_div_fixup_f64 v[2:3], v[2:3], v[10:11], v[8:9]
	v_fmac_f64_e32 v[10:11], v[8:9], v[2:3]
	v_div_scale_f64 v[4:5], s[2:3], v[10:11], v[10:11], 1.0
	v_rcp_f64_e32 v[6:7], v[4:5]
	s_nop 0
	v_fma_f64 v[8:9], -v[4:5], v[6:7], 1.0
	v_fmac_f64_e32 v[6:7], v[6:7], v[8:9]
	v_fma_f64 v[8:9], -v[4:5], v[6:7], 1.0
	v_fmac_f64_e32 v[6:7], v[6:7], v[8:9]
	v_div_scale_f64 v[8:9], vcc, 1.0, v[10:11], 1.0
	v_mul_f64 v[48:49], v[8:9], v[6:7]
	v_fma_f64 v[4:5], -v[4:5], v[48:49], v[8:9]
                                        ; implicit-def: $vgpr8_vgpr9
	s_nop 1
	v_div_fmas_f64 v[4:5], v[4:5], v[6:7], v[48:49]
	v_div_fixup_f64 v[4:5], v[4:5], v[10:11], 1.0
	v_mul_f64 v[2:3], v[2:3], v[4:5]
	v_xor_b32_e32 v5, 0x80000000, v5
	v_xor_b32_e32 v7, 0x80000000, v3
	v_mov_b32_e32 v6, v2
.LBB124_4:
	s_or_saveexec_b64 s[0:1], s[0:1]
	v_add_u32_e32 v73, 0, v72
	s_xor_b64 exec, exec, s[0:1]
	s_cbranch_execz .LBB124_6
; %bb.5:
	v_div_scale_f64 v[2:3], s[2:3], v[8:9], v[8:9], v[10:11]
	v_rcp_f64_e32 v[4:5], v[2:3]
	v_div_scale_f64 v[6:7], vcc, v[10:11], v[8:9], v[10:11]
	v_fma_f64 v[48:49], -v[2:3], v[4:5], 1.0
	v_fmac_f64_e32 v[4:5], v[4:5], v[48:49]
	v_fma_f64 v[48:49], -v[2:3], v[4:5], 1.0
	v_fmac_f64_e32 v[4:5], v[4:5], v[48:49]
	v_mul_f64 v[48:49], v[6:7], v[4:5]
	v_fma_f64 v[2:3], -v[2:3], v[48:49], v[6:7]
	v_div_fmas_f64 v[2:3], v[2:3], v[4:5], v[48:49]
	v_div_fixup_f64 v[4:5], v[2:3], v[8:9], v[10:11]
	v_fmac_f64_e32 v[8:9], v[10:11], v[4:5]
	v_div_scale_f64 v[2:3], s[2:3], v[8:9], v[8:9], 1.0
	v_rcp_f64_e32 v[6:7], v[2:3]
	s_nop 0
	v_fma_f64 v[10:11], -v[2:3], v[6:7], 1.0
	v_fmac_f64_e32 v[6:7], v[6:7], v[10:11]
	v_fma_f64 v[10:11], -v[2:3], v[6:7], 1.0
	v_fmac_f64_e32 v[6:7], v[6:7], v[10:11]
	v_div_scale_f64 v[10:11], vcc, 1.0, v[8:9], 1.0
	v_mul_f64 v[48:49], v[10:11], v[6:7]
	v_fma_f64 v[2:3], -v[2:3], v[48:49], v[10:11]
	s_nop 1
	v_div_fmas_f64 v[2:3], v[2:3], v[6:7], v[48:49]
	v_div_fixup_f64 v[2:3], v[2:3], v[8:9], 1.0
	v_xor_b32_e32 v7, 0x80000000, v3
	v_mov_b32_e32 v6, v2
	v_mul_f64 v[4:5], v[4:5], -v[2:3]
.LBB124_6:
	s_or_b64 exec, exec, s[0:1]
	scratch_store_dwordx4 v73, v[2:5], off
	s_nop 1
	v_xor_b32_e32 v5, 0x80000000, v5
	s_branch .LBB124_8
.LBB124_7:
	v_mov_b64_e32 v[4:5], 0
	v_mov_b64_e32 v[6:7], -1.0
.LBB124_8:
	v_mov_b32_e32 v8, v4
	v_mov_b32_e32 v9, v5
	v_add_u32_e32 v191, 16, v1
	v_add_u32_e32 v190, 32, v1
	v_add_u32_e32 v189, 48, v1
	v_add_u32_e32 v188, 64, v1
	v_add_u32_e32 v187, 0x50, v1
	v_add_u32_e32 v186, 0x60, v1
	v_add_u32_e32 v185, 0x70, v1
	v_add_u32_e32 v184, 0x80, v1
	v_add_u32_e32 v183, 0x90, v1
	v_add_u32_e32 v182, 0xa0, v1
	v_add_u32_e32 v181, 0xb0, v1
	v_add_u32_e32 v180, 0xc0, v1
	v_add_u32_e32 v179, 0xd0, v1
	v_add_u32_e32 v178, 0xe0, v1
	v_add_u32_e32 v177, 0xf0, v1
	v_add_u32_e32 v176, 0x100, v1
	v_add_u32_e32 v175, 0x110, v1
	v_add_u32_e32 v174, 0x120, v1
	v_add_u32_e32 v173, 0x130, v1
	v_add_u32_e32 v172, 0x140, v1
	v_add_u32_e32 v171, 0x150, v1
	v_add_u32_e32 v170, 0x160, v1
	v_add_u32_e32 v169, 0x170, v1
	v_add_u32_e32 v168, 0x180, v1
	v_add_u32_e32 v167, 0x190, v1
	v_add_u32_e32 v166, 0x1a0, v1
	v_add_u32_e32 v165, 0x1b0, v1
	v_add_u32_e32 v164, 0x1c0, v1
	v_add_u32_e32 v163, 0x1d0, v1
	v_add_u32_e32 v162, 0x1e0, v1
	v_add_u32_e32 v161, 0x1f0, v1
	v_add_u32_e32 v160, 0x200, v1
	v_add_u32_e32 v159, 0x210, v1
	v_add_u32_e32 v158, 0x220, v1
	v_add_u32_e32 v157, 0x230, v1
	v_add_u32_e32 v156, 0x240, v1
	v_add_u32_e32 v155, 0x250, v1
	v_add_u32_e32 v154, 0x260, v1
	v_add_u32_e32 v153, 0x270, v1
	v_add_u32_e32 v152, 0x280, v1
	v_add_u32_e32 v151, 0x290, v1
	v_add_u32_e32 v150, 0x2a0, v1
	v_add_u32_e32 v149, 0x2b0, v1
	v_add_u32_e32 v148, 0x2c0, v1
	v_add_u32_e32 v147, 0x2d0, v1
	v_add_u32_e32 v146, 0x2e0, v1
	v_add_u32_e32 v145, 0x2f0, v1
	v_add_u32_e32 v144, 0x300, v1
	v_add_u32_e32 v143, 0x310, v1
	v_add_u32_e32 v142, 0x320, v1
	v_add_u32_e32 v141, 0x330, v1
	v_add_u32_e32 v140, 0x340, v1
	v_add_u32_e32 v139, 0x350, v1
	v_add_u32_e32 v138, 0x360, v1
	v_add_u32_e32 v137, 0x370, v1
	v_add_u32_e32 v136, 0x380, v1
	v_add_u32_e32 v73, 0x390, v1
	v_add_u32_e32 v48, 0x3a0, v1
	v_add_u32_e32 v214, 0x3b0, v1
	v_add_u32_e32 v1, 0x3c0, v1
	ds_write_b128 v72, v[6:9]
	s_cmpk_eq_i32 s4, 0x79
	v_add_u32_e32 v9, 0x3d0, v72
	v_add_u32_e32 v8, 0, v72
	s_cbranch_scc1 .LBB124_832
; %bb.9:
	scratch_load_dwordx4 v[2:5], v214, off
	v_cmp_eq_u32_e64 s[0:1], 60, v0
	s_waitcnt vmcnt(0)
	ds_write_b128 v9, v[2:5]
	s_waitcnt lgkmcnt(0)
	; wave barrier
	s_waitcnt lgkmcnt(0)
	s_and_saveexec_b64 s[2:3], s[0:1]
	s_cbranch_execz .LBB124_13
; %bb.10:
	ds_read_b128 v[2:5], v9
	s_andn2_b64 vcc, exec, s[6:7]
	s_cbranch_vccnz .LBB124_12
; %bb.11:
	scratch_load_dwordx4 v[192:195], v8, off
	s_waitcnt vmcnt(0) lgkmcnt(0)
	v_mul_f64 v[10:11], v[2:3], v[194:195]
	v_mul_f64 v[6:7], v[4:5], v[194:195]
	v_fmac_f64_e32 v[10:11], v[4:5], v[192:193]
	v_fma_f64 v[2:3], v[2:3], v[192:193], -v[6:7]
	v_mov_b64_e32 v[4:5], v[10:11]
.LBB124_12:
	v_mov_b32_e32 v6, 0
	ds_read_b128 v[192:195], v6 offset:944
	s_waitcnt lgkmcnt(0)
	v_mul_f64 v[6:7], v[4:5], v[194:195]
	v_mul_f64 v[196:197], v[2:3], v[194:195]
	v_fma_f64 v[194:195], v[2:3], v[192:193], -v[6:7]
	v_fmac_f64_e32 v[196:197], v[4:5], v[192:193]
	scratch_store_dwordx4 off, v[194:197], off offset:944
.LBB124_13:
	s_or_b64 exec, exec, s[2:3]
	scratch_load_dwordx4 v[2:5], v48, off
	v_cmp_lt_u32_e64 s[2:3], 58, v0
	s_waitcnt vmcnt(0)
	ds_write_b128 v9, v[2:5]
	s_waitcnt lgkmcnt(0)
	; wave barrier
	s_waitcnt lgkmcnt(0)
	s_and_saveexec_b64 s[4:5], s[2:3]
	s_cbranch_execz .LBB124_19
; %bb.14:
	ds_read_b128 v[2:5], v9
	s_andn2_b64 vcc, exec, s[6:7]
	s_cbranch_vccnz .LBB124_16
; %bb.15:
	scratch_load_dwordx4 v[192:195], v8, off
	s_waitcnt vmcnt(0) lgkmcnt(0)
	v_mul_f64 v[10:11], v[2:3], v[194:195]
	v_mul_f64 v[6:7], v[4:5], v[194:195]
	v_fmac_f64_e32 v[10:11], v[4:5], v[192:193]
	v_fma_f64 v[2:3], v[2:3], v[192:193], -v[6:7]
	v_mov_b64_e32 v[4:5], v[10:11]
.LBB124_16:
	s_and_saveexec_b64 s[8:9], s[0:1]
	s_cbranch_execz .LBB124_18
; %bb.17:
	scratch_load_dwordx4 v[192:195], off, off offset:944
	v_mov_b32_e32 v6, 0
	ds_read_b128 v[196:199], v6 offset:1920
	s_waitcnt vmcnt(0) lgkmcnt(0)
	v_mul_f64 v[6:7], v[196:197], v[194:195]
	v_mul_f64 v[10:11], v[198:199], v[194:195]
	v_fmac_f64_e32 v[6:7], v[198:199], v[192:193]
	v_fma_f64 v[10:11], v[196:197], v[192:193], -v[10:11]
	v_add_f64 v[4:5], v[4:5], v[6:7]
	v_add_f64 v[2:3], v[2:3], v[10:11]
.LBB124_18:
	s_or_b64 exec, exec, s[8:9]
	v_mov_b32_e32 v6, 0
	ds_read_b128 v[192:195], v6 offset:928
	s_waitcnt lgkmcnt(0)
	v_mul_f64 v[6:7], v[4:5], v[194:195]
	v_mul_f64 v[196:197], v[2:3], v[194:195]
	v_fma_f64 v[194:195], v[2:3], v[192:193], -v[6:7]
	v_fmac_f64_e32 v[196:197], v[4:5], v[192:193]
	scratch_store_dwordx4 off, v[194:197], off offset:928
.LBB124_19:
	s_or_b64 exec, exec, s[4:5]
	scratch_load_dwordx4 v[2:5], v73, off
	v_cmp_lt_u32_e64 s[0:1], 57, v0
	s_waitcnt vmcnt(0)
	ds_write_b128 v9, v[2:5]
	s_waitcnt lgkmcnt(0)
	; wave barrier
	s_waitcnt lgkmcnt(0)
	s_and_saveexec_b64 s[4:5], s[0:1]
	s_cbranch_execz .LBB124_33
; %bb.20:
	ds_read_b128 v[2:5], v9
	s_andn2_b64 vcc, exec, s[6:7]
	s_cbranch_vccnz .LBB124_22
; %bb.21:
	scratch_load_dwordx4 v[192:195], v8, off
	s_waitcnt vmcnt(0) lgkmcnt(0)
	v_mul_f64 v[10:11], v[2:3], v[194:195]
	v_mul_f64 v[6:7], v[4:5], v[194:195]
	v_fmac_f64_e32 v[10:11], v[4:5], v[192:193]
	v_fma_f64 v[2:3], v[2:3], v[192:193], -v[6:7]
	v_mov_b64_e32 v[4:5], v[10:11]
.LBB124_22:
	s_and_saveexec_b64 s[8:9], s[2:3]
	s_cbranch_execz .LBB124_32
; %bb.23:
	v_subrev_u32_e32 v7, 59, v0
	v_subrev_u32_e32 v6, 58, v0
	v_cmp_lt_u32_e32 vcc, 6, v7
	v_mov_b32_e32 v193, 58
	s_and_saveexec_b64 s[2:3], vcc
	s_cbranch_execz .LBB124_27
; %bb.24:
	v_and_b32_e32 v7, -8, v6
	s_mov_b32 s12, 0
	s_mov_b64 s[10:11], 0
	v_mov_b32_e32 v192, 0
	s_mov_b32 s13, 0
.LBB124_25:                             ; =>This Inner Loop Header: Depth=1
	v_readfirstlane_b32 s14, v192
	s_add_i32 s14, s14, s12
	s_add_i32 s15, s14, 0x3a0
	v_mov_b32_e32 v49, s12
	ds_read_b128 v[194:197], v49 offset:1904
	ds_read_b128 v[198:201], v49 offset:1920
	ds_read_b128 v[202:205], v49 offset:1936
	ds_read_b128 v[206:209], v49 offset:1952
	scratch_load_dwordx4 v[210:213], off, s15
	s_add_i32 s15, s14, 0x3b0
	s_addk_i32 s12, 0x80
	s_waitcnt vmcnt(0) lgkmcnt(3)
	v_mul_f64 v[10:11], v[196:197], v[212:213]
	v_mul_f64 v[52:53], v[194:195], v[212:213]
	v_fma_f64 v[10:11], v[194:195], v[210:211], -v[10:11]
	v_fmac_f64_e32 v[52:53], v[196:197], v[210:211]
	v_add_f64 v[10:11], v[2:3], v[10:11]
	v_add_f64 v[52:53], v[4:5], v[52:53]
	scratch_load_dwordx4 v[2:5], off, s15
	s_add_i32 s15, s14, 0x3c0
	s_waitcnt vmcnt(0) lgkmcnt(2)
	v_mul_f64 v[194:195], v[200:201], v[4:5]
	v_mul_f64 v[4:5], v[198:199], v[4:5]
	v_fmac_f64_e32 v[4:5], v[200:201], v[2:3]
	v_fma_f64 v[194:195], v[198:199], v[2:3], -v[194:195]
	v_add_f64 v[52:53], v[52:53], v[4:5]
	scratch_load_dwordx4 v[2:5], off, s15
	v_add_f64 v[10:11], v[10:11], v[194:195]
	s_add_i32 s15, s14, 0x3d0
	s_waitcnt vmcnt(0) lgkmcnt(1)
	v_mul_f64 v[194:195], v[204:205], v[4:5]
	v_mul_f64 v[4:5], v[202:203], v[4:5]
	v_fmac_f64_e32 v[4:5], v[204:205], v[2:3]
	v_fma_f64 v[194:195], v[202:203], v[2:3], -v[194:195]
	v_add_f64 v[52:53], v[52:53], v[4:5]
	scratch_load_dwordx4 v[2:5], off, s15
	v_add_f64 v[10:11], v[10:11], v[194:195]
	s_add_i32 s15, s14, 0x3e0
	s_waitcnt vmcnt(0) lgkmcnt(0)
	v_mul_f64 v[194:195], v[208:209], v[4:5]
	v_fma_f64 v[194:195], v[206:207], v[2:3], -v[194:195]
	v_add_f64 v[10:11], v[10:11], v[194:195]
	scratch_load_dwordx4 v[194:197], off, s15
	v_mul_f64 v[4:5], v[206:207], v[4:5]
	v_fmac_f64_e32 v[4:5], v[208:209], v[2:3]
	v_add_f64 v[52:53], v[52:53], v[4:5]
	ds_read_b128 v[2:5], v49 offset:1968
	s_add_i32 s15, s14, 0x3f0
	s_waitcnt vmcnt(0) lgkmcnt(0)
	v_mul_f64 v[198:199], v[4:5], v[196:197]
	v_fma_f64 v[198:199], v[2:3], v[194:195], -v[198:199]
	v_mul_f64 v[2:3], v[2:3], v[196:197]
	v_fmac_f64_e32 v[2:3], v[4:5], v[194:195]
	scratch_load_dwordx4 v[194:197], off, s15
	v_add_f64 v[52:53], v[52:53], v[2:3]
	ds_read_b128 v[2:5], v49 offset:1984
	v_add_f64 v[10:11], v[10:11], v[198:199]
	s_add_i32 s15, s14, 0x400
	s_addk_i32 s14, 0x410
	s_waitcnt vmcnt(0) lgkmcnt(0)
	v_mul_f64 v[198:199], v[4:5], v[196:197]
	v_fma_f64 v[198:199], v[2:3], v[194:195], -v[198:199]
	v_mul_f64 v[2:3], v[2:3], v[196:197]
	v_fmac_f64_e32 v[2:3], v[4:5], v[194:195]
	scratch_load_dwordx4 v[194:197], off, s15
	v_add_f64 v[52:53], v[52:53], v[2:3]
	ds_read_b128 v[2:5], v49 offset:2000
	v_add_f64 v[10:11], v[10:11], v[198:199]
	s_waitcnt vmcnt(0) lgkmcnt(0)
	v_mul_f64 v[198:199], v[4:5], v[196:197]
	v_fma_f64 v[198:199], v[2:3], v[194:195], -v[198:199]
	v_mul_f64 v[2:3], v[2:3], v[196:197]
	v_fmac_f64_e32 v[2:3], v[4:5], v[194:195]
	scratch_load_dwordx4 v[194:197], off, s14
	v_add_f64 v[52:53], v[52:53], v[2:3]
	ds_read_b128 v[2:5], v49 offset:2016
	v_add_f64 v[10:11], v[10:11], v[198:199]
	s_add_i32 s14, s13, 8
	v_cmp_eq_u32_e32 vcc, s14, v7
	s_addk_i32 s13, 0x42
	s_or_b64 s[10:11], vcc, s[10:11]
	v_mov_b32_e32 v193, s13
	s_mov_b32 s13, s14
	s_waitcnt vmcnt(0) lgkmcnt(0)
	v_mul_f64 v[198:199], v[4:5], v[196:197]
	v_mul_f64 v[196:197], v[2:3], v[196:197]
	v_fma_f64 v[198:199], v[2:3], v[194:195], -v[198:199]
	v_fmac_f64_e32 v[196:197], v[4:5], v[194:195]
	v_add_f64 v[2:3], v[10:11], v[198:199]
	v_add_f64 v[4:5], v[52:53], v[196:197]
	s_andn2_b64 exec, exec, s[10:11]
	s_cbranch_execnz .LBB124_25
; %bb.26:
	s_or_b64 exec, exec, s[10:11]
.LBB124_27:
	s_or_b64 exec, exec, s[2:3]
	v_and_b32_e32 v6, 7, v6
	v_cmp_ne_u32_e32 vcc, 0, v6
	s_and_saveexec_b64 s[2:3], vcc
	s_cbranch_execz .LBB124_31
; %bb.28:
	v_lshlrev_b32_e32 v10, 4, v193
	v_add_u32_e32 v7, 0x3d0, v10
	v_add_u32_e32 v192, 0, v10
	s_mov_b64 s[10:11], 0
.LBB124_29:                             ; =>This Inner Loop Header: Depth=1
	scratch_load_dwordx4 v[194:197], v192, off
	ds_read_b128 v[198:201], v7
	v_add_u32_e32 v6, -1, v6
	v_cmp_eq_u32_e32 vcc, 0, v6
	v_add_u32_e32 v7, 16, v7
	v_add_u32_e32 v192, 16, v192
	s_or_b64 s[10:11], vcc, s[10:11]
	s_waitcnt vmcnt(0) lgkmcnt(0)
	v_mul_f64 v[10:11], v[200:201], v[196:197]
	v_mul_f64 v[52:53], v[198:199], v[196:197]
	v_fma_f64 v[10:11], v[198:199], v[194:195], -v[10:11]
	v_fmac_f64_e32 v[52:53], v[200:201], v[194:195]
	v_add_f64 v[2:3], v[2:3], v[10:11]
	v_add_f64 v[4:5], v[4:5], v[52:53]
	s_andn2_b64 exec, exec, s[10:11]
	s_cbranch_execnz .LBB124_29
; %bb.30:
	s_or_b64 exec, exec, s[10:11]
.LBB124_31:
	s_or_b64 exec, exec, s[2:3]
.LBB124_32:
	s_or_b64 exec, exec, s[8:9]
	v_mov_b32_e32 v6, 0
	ds_read_b128 v[192:195], v6 offset:912
	s_waitcnt lgkmcnt(0)
	v_mul_f64 v[6:7], v[4:5], v[194:195]
	v_mul_f64 v[196:197], v[2:3], v[194:195]
	v_fma_f64 v[194:195], v[2:3], v[192:193], -v[6:7]
	v_fmac_f64_e32 v[196:197], v[4:5], v[192:193]
	scratch_store_dwordx4 off, v[194:197], off offset:912
.LBB124_33:
	s_or_b64 exec, exec, s[4:5]
	scratch_load_dwordx4 v[2:5], v136, off
	v_cmp_lt_u32_e64 s[2:3], 56, v0
	s_waitcnt vmcnt(0)
	ds_write_b128 v9, v[2:5]
	s_waitcnt lgkmcnt(0)
	; wave barrier
	s_waitcnt lgkmcnt(0)
	s_and_saveexec_b64 s[4:5], s[2:3]
	s_cbranch_execz .LBB124_47
; %bb.34:
	ds_read_b128 v[2:5], v9
	s_andn2_b64 vcc, exec, s[6:7]
	s_cbranch_vccnz .LBB124_36
; %bb.35:
	scratch_load_dwordx4 v[192:195], v8, off
	s_waitcnt vmcnt(0) lgkmcnt(0)
	v_mul_f64 v[10:11], v[2:3], v[194:195]
	v_mul_f64 v[6:7], v[4:5], v[194:195]
	v_fmac_f64_e32 v[10:11], v[4:5], v[192:193]
	v_fma_f64 v[2:3], v[2:3], v[192:193], -v[6:7]
	v_mov_b64_e32 v[4:5], v[10:11]
.LBB124_36:
	s_and_saveexec_b64 s[8:9], s[0:1]
	s_cbranch_execz .LBB124_46
; %bb.37:
	v_subrev_u32_e32 v7, 58, v0
	v_subrev_u32_e32 v6, 57, v0
	v_cmp_lt_u32_e32 vcc, 6, v7
	v_mov_b32_e32 v193, 57
	s_and_saveexec_b64 s[0:1], vcc
	s_cbranch_execz .LBB124_41
; %bb.38:
	v_and_b32_e32 v7, -8, v6
	s_mov_b32 s12, 0
	s_mov_b64 s[10:11], 0
	v_mov_b32_e32 v192, 0
	s_mov_b32 s13, 0
.LBB124_39:                             ; =>This Inner Loop Header: Depth=1
	v_readfirstlane_b32 s14, v192
	s_add_i32 s14, s14, s12
	s_add_i32 s15, s14, 0x390
	v_mov_b32_e32 v49, s12
	ds_read_b128 v[194:197], v49 offset:1888
	ds_read_b128 v[198:201], v49 offset:1904
	;; [unrolled: 1-line block ×4, first 2 shown]
	scratch_load_dwordx4 v[210:213], off, s15
	s_add_i32 s15, s14, 0x3a0
	s_addk_i32 s12, 0x80
	s_waitcnt vmcnt(0) lgkmcnt(3)
	v_mul_f64 v[10:11], v[196:197], v[212:213]
	v_mul_f64 v[52:53], v[194:195], v[212:213]
	v_fma_f64 v[10:11], v[194:195], v[210:211], -v[10:11]
	v_fmac_f64_e32 v[52:53], v[196:197], v[210:211]
	v_add_f64 v[10:11], v[2:3], v[10:11]
	v_add_f64 v[52:53], v[4:5], v[52:53]
	scratch_load_dwordx4 v[2:5], off, s15
	s_add_i32 s15, s14, 0x3b0
	s_waitcnt vmcnt(0) lgkmcnt(2)
	v_mul_f64 v[194:195], v[200:201], v[4:5]
	v_mul_f64 v[4:5], v[198:199], v[4:5]
	v_fmac_f64_e32 v[4:5], v[200:201], v[2:3]
	v_fma_f64 v[194:195], v[198:199], v[2:3], -v[194:195]
	v_add_f64 v[52:53], v[52:53], v[4:5]
	scratch_load_dwordx4 v[2:5], off, s15
	v_add_f64 v[10:11], v[10:11], v[194:195]
	s_add_i32 s15, s14, 0x3c0
	s_waitcnt vmcnt(0) lgkmcnt(1)
	v_mul_f64 v[194:195], v[204:205], v[4:5]
	v_mul_f64 v[4:5], v[202:203], v[4:5]
	v_fmac_f64_e32 v[4:5], v[204:205], v[2:3]
	v_fma_f64 v[194:195], v[202:203], v[2:3], -v[194:195]
	v_add_f64 v[52:53], v[52:53], v[4:5]
	scratch_load_dwordx4 v[2:5], off, s15
	v_add_f64 v[10:11], v[10:11], v[194:195]
	s_add_i32 s15, s14, 0x3d0
	s_waitcnt vmcnt(0) lgkmcnt(0)
	v_mul_f64 v[194:195], v[208:209], v[4:5]
	v_fma_f64 v[194:195], v[206:207], v[2:3], -v[194:195]
	v_add_f64 v[10:11], v[10:11], v[194:195]
	scratch_load_dwordx4 v[194:197], off, s15
	v_mul_f64 v[4:5], v[206:207], v[4:5]
	v_fmac_f64_e32 v[4:5], v[208:209], v[2:3]
	v_add_f64 v[52:53], v[52:53], v[4:5]
	ds_read_b128 v[2:5], v49 offset:1952
	s_add_i32 s15, s14, 0x3e0
	s_waitcnt vmcnt(0) lgkmcnt(0)
	v_mul_f64 v[198:199], v[4:5], v[196:197]
	v_fma_f64 v[198:199], v[2:3], v[194:195], -v[198:199]
	v_mul_f64 v[2:3], v[2:3], v[196:197]
	v_fmac_f64_e32 v[2:3], v[4:5], v[194:195]
	scratch_load_dwordx4 v[194:197], off, s15
	v_add_f64 v[52:53], v[52:53], v[2:3]
	ds_read_b128 v[2:5], v49 offset:1968
	v_add_f64 v[10:11], v[10:11], v[198:199]
	s_add_i32 s15, s14, 0x3f0
	s_addk_i32 s14, 0x400
	s_waitcnt vmcnt(0) lgkmcnt(0)
	v_mul_f64 v[198:199], v[4:5], v[196:197]
	v_fma_f64 v[198:199], v[2:3], v[194:195], -v[198:199]
	v_mul_f64 v[2:3], v[2:3], v[196:197]
	v_fmac_f64_e32 v[2:3], v[4:5], v[194:195]
	scratch_load_dwordx4 v[194:197], off, s15
	v_add_f64 v[52:53], v[52:53], v[2:3]
	ds_read_b128 v[2:5], v49 offset:1984
	v_add_f64 v[10:11], v[10:11], v[198:199]
	s_waitcnt vmcnt(0) lgkmcnt(0)
	v_mul_f64 v[198:199], v[4:5], v[196:197]
	v_fma_f64 v[198:199], v[2:3], v[194:195], -v[198:199]
	v_mul_f64 v[2:3], v[2:3], v[196:197]
	v_fmac_f64_e32 v[2:3], v[4:5], v[194:195]
	scratch_load_dwordx4 v[194:197], off, s14
	v_add_f64 v[52:53], v[52:53], v[2:3]
	ds_read_b128 v[2:5], v49 offset:2000
	v_add_f64 v[10:11], v[10:11], v[198:199]
	s_add_i32 s14, s13, 8
	v_cmp_eq_u32_e32 vcc, s14, v7
	s_addk_i32 s13, 0x41
	s_or_b64 s[10:11], vcc, s[10:11]
	v_mov_b32_e32 v193, s13
	s_mov_b32 s13, s14
	s_waitcnt vmcnt(0) lgkmcnt(0)
	v_mul_f64 v[198:199], v[4:5], v[196:197]
	v_mul_f64 v[196:197], v[2:3], v[196:197]
	v_fma_f64 v[198:199], v[2:3], v[194:195], -v[198:199]
	v_fmac_f64_e32 v[196:197], v[4:5], v[194:195]
	v_add_f64 v[2:3], v[10:11], v[198:199]
	v_add_f64 v[4:5], v[52:53], v[196:197]
	s_andn2_b64 exec, exec, s[10:11]
	s_cbranch_execnz .LBB124_39
; %bb.40:
	s_or_b64 exec, exec, s[10:11]
.LBB124_41:
	s_or_b64 exec, exec, s[0:1]
	v_and_b32_e32 v6, 7, v6
	v_cmp_ne_u32_e32 vcc, 0, v6
	s_and_saveexec_b64 s[0:1], vcc
	s_cbranch_execz .LBB124_45
; %bb.42:
	v_lshlrev_b32_e32 v10, 4, v193
	v_add_u32_e32 v7, 0x3d0, v10
	v_add_u32_e32 v192, 0, v10
	s_mov_b64 s[10:11], 0
.LBB124_43:                             ; =>This Inner Loop Header: Depth=1
	scratch_load_dwordx4 v[194:197], v192, off
	ds_read_b128 v[198:201], v7
	v_add_u32_e32 v6, -1, v6
	v_cmp_eq_u32_e32 vcc, 0, v6
	v_add_u32_e32 v7, 16, v7
	v_add_u32_e32 v192, 16, v192
	s_or_b64 s[10:11], vcc, s[10:11]
	s_waitcnt vmcnt(0) lgkmcnt(0)
	v_mul_f64 v[10:11], v[200:201], v[196:197]
	v_mul_f64 v[52:53], v[198:199], v[196:197]
	v_fma_f64 v[10:11], v[198:199], v[194:195], -v[10:11]
	v_fmac_f64_e32 v[52:53], v[200:201], v[194:195]
	v_add_f64 v[2:3], v[2:3], v[10:11]
	v_add_f64 v[4:5], v[4:5], v[52:53]
	s_andn2_b64 exec, exec, s[10:11]
	s_cbranch_execnz .LBB124_43
; %bb.44:
	s_or_b64 exec, exec, s[10:11]
.LBB124_45:
	s_or_b64 exec, exec, s[0:1]
.LBB124_46:
	s_or_b64 exec, exec, s[8:9]
	v_mov_b32_e32 v6, 0
	ds_read_b128 v[192:195], v6 offset:896
	s_waitcnt lgkmcnt(0)
	v_mul_f64 v[6:7], v[4:5], v[194:195]
	v_mul_f64 v[196:197], v[2:3], v[194:195]
	v_fma_f64 v[194:195], v[2:3], v[192:193], -v[6:7]
	v_fmac_f64_e32 v[196:197], v[4:5], v[192:193]
	scratch_store_dwordx4 off, v[194:197], off offset:896
.LBB124_47:
	s_or_b64 exec, exec, s[4:5]
	scratch_load_dwordx4 v[2:5], v137, off
	v_cmp_lt_u32_e64 s[4:5], 55, v0
	s_waitcnt vmcnt(0)
	ds_write_b128 v9, v[2:5]
	s_waitcnt lgkmcnt(0)
	; wave barrier
	s_waitcnt lgkmcnt(0)
	s_and_saveexec_b64 s[0:1], s[4:5]
	s_cbranch_execz .LBB124_61
; %bb.48:
	ds_read_b128 v[2:5], v9
	s_andn2_b64 vcc, exec, s[6:7]
	s_cbranch_vccnz .LBB124_50
; %bb.49:
	scratch_load_dwordx4 v[192:195], v8, off
	s_waitcnt vmcnt(0) lgkmcnt(0)
	v_mul_f64 v[10:11], v[2:3], v[194:195]
	v_mul_f64 v[6:7], v[4:5], v[194:195]
	v_fmac_f64_e32 v[10:11], v[4:5], v[192:193]
	v_fma_f64 v[2:3], v[2:3], v[192:193], -v[6:7]
	v_mov_b64_e32 v[4:5], v[10:11]
.LBB124_50:
	s_and_saveexec_b64 s[8:9], s[2:3]
	s_cbranch_execz .LBB124_60
; %bb.51:
	v_subrev_u32_e32 v6, 57, v0
	v_cmp_lt_u32_e32 vcc, 6, v6
	v_mov_b32_e32 v6, 56
	s_and_saveexec_b64 s[2:3], vcc
	s_cbranch_execz .LBB124_55
; %bb.52:
	s_mov_b32 s12, 56
	v_and_b32_e32 v6, 56, v0
	s_mov_b32 s13, 0
	s_mov_b64 s[10:11], 0
	v_mov_b32_e32 v7, 0
.LBB124_53:                             ; =>This Inner Loop Header: Depth=1
	s_nop 0
	v_readfirstlane_b32 s14, v7
	s_add_i32 s14, s14, s13
	s_add_i32 s15, s14, 0x380
	v_mov_b32_e32 v49, s13
	ds_read_b128 v[192:195], v49 offset:1872
	ds_read_b128 v[196:199], v49 offset:1888
	;; [unrolled: 1-line block ×4, first 2 shown]
	scratch_load_dwordx4 v[208:211], off, s15
	s_add_i32 s15, s14, 0x390
	s_add_i32 s12, s12, 8
	s_addk_i32 s13, 0x80
	v_cmp_eq_u32_e32 vcc, s12, v6
	s_waitcnt vmcnt(0) lgkmcnt(3)
	v_mul_f64 v[10:11], v[194:195], v[210:211]
	v_mul_f64 v[52:53], v[192:193], v[210:211]
	v_fma_f64 v[10:11], v[192:193], v[208:209], -v[10:11]
	v_fmac_f64_e32 v[52:53], v[194:195], v[208:209]
	v_add_f64 v[10:11], v[2:3], v[10:11]
	v_add_f64 v[52:53], v[4:5], v[52:53]
	scratch_load_dwordx4 v[2:5], off, s15
	s_add_i32 s15, s14, 0x3a0
	s_waitcnt vmcnt(0) lgkmcnt(2)
	v_mul_f64 v[192:193], v[198:199], v[4:5]
	v_mul_f64 v[4:5], v[196:197], v[4:5]
	v_fmac_f64_e32 v[4:5], v[198:199], v[2:3]
	v_fma_f64 v[192:193], v[196:197], v[2:3], -v[192:193]
	v_add_f64 v[52:53], v[52:53], v[4:5]
	scratch_load_dwordx4 v[2:5], off, s15
	v_add_f64 v[10:11], v[10:11], v[192:193]
	s_add_i32 s15, s14, 0x3b0
	s_waitcnt vmcnt(0) lgkmcnt(1)
	v_mul_f64 v[192:193], v[202:203], v[4:5]
	v_mul_f64 v[4:5], v[200:201], v[4:5]
	v_fmac_f64_e32 v[4:5], v[202:203], v[2:3]
	v_fma_f64 v[192:193], v[200:201], v[2:3], -v[192:193]
	v_add_f64 v[52:53], v[52:53], v[4:5]
	scratch_load_dwordx4 v[2:5], off, s15
	v_add_f64 v[10:11], v[10:11], v[192:193]
	s_add_i32 s15, s14, 0x3c0
	s_waitcnt vmcnt(0) lgkmcnt(0)
	v_mul_f64 v[192:193], v[206:207], v[4:5]
	v_fma_f64 v[192:193], v[204:205], v[2:3], -v[192:193]
	v_add_f64 v[10:11], v[10:11], v[192:193]
	scratch_load_dwordx4 v[192:195], off, s15
	v_mul_f64 v[4:5], v[204:205], v[4:5]
	v_fmac_f64_e32 v[4:5], v[206:207], v[2:3]
	v_add_f64 v[52:53], v[52:53], v[4:5]
	ds_read_b128 v[2:5], v49 offset:1936
	s_add_i32 s15, s14, 0x3d0
	s_waitcnt vmcnt(0) lgkmcnt(0)
	v_mul_f64 v[196:197], v[4:5], v[194:195]
	v_fma_f64 v[196:197], v[2:3], v[192:193], -v[196:197]
	v_mul_f64 v[2:3], v[2:3], v[194:195]
	v_fmac_f64_e32 v[2:3], v[4:5], v[192:193]
	scratch_load_dwordx4 v[192:195], off, s15
	v_add_f64 v[52:53], v[52:53], v[2:3]
	ds_read_b128 v[2:5], v49 offset:1952
	v_add_f64 v[10:11], v[10:11], v[196:197]
	s_add_i32 s15, s14, 0x3e0
	s_addk_i32 s14, 0x3f0
	s_or_b64 s[10:11], vcc, s[10:11]
	s_waitcnt vmcnt(0) lgkmcnt(0)
	v_mul_f64 v[196:197], v[4:5], v[194:195]
	v_fma_f64 v[196:197], v[2:3], v[192:193], -v[196:197]
	v_mul_f64 v[2:3], v[2:3], v[194:195]
	v_fmac_f64_e32 v[2:3], v[4:5], v[192:193]
	scratch_load_dwordx4 v[192:195], off, s15
	v_add_f64 v[52:53], v[52:53], v[2:3]
	ds_read_b128 v[2:5], v49 offset:1968
	v_add_f64 v[10:11], v[10:11], v[196:197]
	s_waitcnt vmcnt(0) lgkmcnt(0)
	v_mul_f64 v[196:197], v[4:5], v[194:195]
	v_fma_f64 v[196:197], v[2:3], v[192:193], -v[196:197]
	v_mul_f64 v[2:3], v[2:3], v[194:195]
	v_fmac_f64_e32 v[2:3], v[4:5], v[192:193]
	scratch_load_dwordx4 v[192:195], off, s14
	v_add_f64 v[52:53], v[52:53], v[2:3]
	ds_read_b128 v[2:5], v49 offset:1984
	v_add_f64 v[10:11], v[10:11], v[196:197]
	s_waitcnt vmcnt(0) lgkmcnt(0)
	v_mul_f64 v[196:197], v[4:5], v[194:195]
	v_mul_f64 v[194:195], v[2:3], v[194:195]
	v_fma_f64 v[196:197], v[2:3], v[192:193], -v[196:197]
	v_fmac_f64_e32 v[194:195], v[4:5], v[192:193]
	v_add_f64 v[2:3], v[10:11], v[196:197]
	v_add_f64 v[4:5], v[52:53], v[194:195]
	s_andn2_b64 exec, exec, s[10:11]
	s_cbranch_execnz .LBB124_53
; %bb.54:
	s_or_b64 exec, exec, s[10:11]
.LBB124_55:
	s_or_b64 exec, exec, s[2:3]
	v_and_b32_e32 v7, 7, v0
	v_cmp_ne_u32_e32 vcc, 0, v7
	s_and_saveexec_b64 s[2:3], vcc
	s_cbranch_execz .LBB124_59
; %bb.56:
	v_lshlrev_b32_e32 v10, 4, v6
	v_add_u32_e32 v6, 0x3d0, v10
	v_add_u32_e32 v192, 0, v10
	s_mov_b64 s[10:11], 0
.LBB124_57:                             ; =>This Inner Loop Header: Depth=1
	scratch_load_dwordx4 v[194:197], v192, off
	ds_read_b128 v[198:201], v6
	v_add_u32_e32 v7, -1, v7
	v_cmp_eq_u32_e32 vcc, 0, v7
	v_add_u32_e32 v6, 16, v6
	v_add_u32_e32 v192, 16, v192
	s_or_b64 s[10:11], vcc, s[10:11]
	s_waitcnt vmcnt(0) lgkmcnt(0)
	v_mul_f64 v[10:11], v[200:201], v[196:197]
	v_mul_f64 v[52:53], v[198:199], v[196:197]
	v_fma_f64 v[10:11], v[198:199], v[194:195], -v[10:11]
	v_fmac_f64_e32 v[52:53], v[200:201], v[194:195]
	v_add_f64 v[2:3], v[2:3], v[10:11]
	v_add_f64 v[4:5], v[4:5], v[52:53]
	s_andn2_b64 exec, exec, s[10:11]
	s_cbranch_execnz .LBB124_57
; %bb.58:
	s_or_b64 exec, exec, s[10:11]
.LBB124_59:
	s_or_b64 exec, exec, s[2:3]
.LBB124_60:
	s_or_b64 exec, exec, s[8:9]
	v_mov_b32_e32 v6, 0
	ds_read_b128 v[192:195], v6 offset:880
	s_waitcnt lgkmcnt(0)
	v_mul_f64 v[6:7], v[4:5], v[194:195]
	v_mul_f64 v[196:197], v[2:3], v[194:195]
	v_fma_f64 v[194:195], v[2:3], v[192:193], -v[6:7]
	v_fmac_f64_e32 v[196:197], v[4:5], v[192:193]
	scratch_store_dwordx4 off, v[194:197], off offset:880
.LBB124_61:
	s_or_b64 exec, exec, s[0:1]
	scratch_load_dwordx4 v[2:5], v138, off
	v_cmp_lt_u32_e64 s[0:1], 54, v0
	s_waitcnt vmcnt(0)
	ds_write_b128 v9, v[2:5]
	s_waitcnt lgkmcnt(0)
	; wave barrier
	s_waitcnt lgkmcnt(0)
	s_and_saveexec_b64 s[2:3], s[0:1]
	s_cbranch_execz .LBB124_75
; %bb.62:
	ds_read_b128 v[2:5], v9
	s_andn2_b64 vcc, exec, s[6:7]
	s_cbranch_vccnz .LBB124_64
; %bb.63:
	scratch_load_dwordx4 v[192:195], v8, off
	s_waitcnt vmcnt(0) lgkmcnt(0)
	v_mul_f64 v[10:11], v[2:3], v[194:195]
	v_mul_f64 v[6:7], v[4:5], v[194:195]
	v_fmac_f64_e32 v[10:11], v[4:5], v[192:193]
	v_fma_f64 v[2:3], v[2:3], v[192:193], -v[6:7]
	v_mov_b64_e32 v[4:5], v[10:11]
.LBB124_64:
	s_and_saveexec_b64 s[8:9], s[4:5]
	s_cbranch_execz .LBB124_74
; %bb.65:
	v_subrev_u32_e32 v7, 56, v0
	v_subrev_u32_e32 v6, 55, v0
	v_cmp_lt_u32_e32 vcc, 6, v7
	v_mov_b32_e32 v193, 55
	s_and_saveexec_b64 s[4:5], vcc
	s_cbranch_execz .LBB124_69
; %bb.66:
	v_and_b32_e32 v7, -8, v6
	s_mov_b32 s12, 0
	s_mov_b64 s[10:11], 0
	v_mov_b32_e32 v192, 0
	s_mov_b32 s13, 0
.LBB124_67:                             ; =>This Inner Loop Header: Depth=1
	v_readfirstlane_b32 s14, v192
	s_add_i32 s14, s14, s12
	s_add_i32 s15, s14, 0x370
	v_mov_b32_e32 v49, s12
	ds_read_b128 v[194:197], v49 offset:1856
	ds_read_b128 v[198:201], v49 offset:1872
	;; [unrolled: 1-line block ×4, first 2 shown]
	scratch_load_dwordx4 v[210:213], off, s15
	s_add_i32 s15, s14, 0x380
	s_addk_i32 s12, 0x80
	s_waitcnt vmcnt(0) lgkmcnt(3)
	v_mul_f64 v[10:11], v[196:197], v[212:213]
	v_mul_f64 v[52:53], v[194:195], v[212:213]
	v_fma_f64 v[10:11], v[194:195], v[210:211], -v[10:11]
	v_fmac_f64_e32 v[52:53], v[196:197], v[210:211]
	v_add_f64 v[10:11], v[2:3], v[10:11]
	v_add_f64 v[52:53], v[4:5], v[52:53]
	scratch_load_dwordx4 v[2:5], off, s15
	s_add_i32 s15, s14, 0x390
	s_waitcnt vmcnt(0) lgkmcnt(2)
	v_mul_f64 v[194:195], v[200:201], v[4:5]
	v_mul_f64 v[4:5], v[198:199], v[4:5]
	v_fmac_f64_e32 v[4:5], v[200:201], v[2:3]
	v_fma_f64 v[194:195], v[198:199], v[2:3], -v[194:195]
	v_add_f64 v[52:53], v[52:53], v[4:5]
	scratch_load_dwordx4 v[2:5], off, s15
	v_add_f64 v[10:11], v[10:11], v[194:195]
	s_add_i32 s15, s14, 0x3a0
	s_waitcnt vmcnt(0) lgkmcnt(1)
	v_mul_f64 v[194:195], v[204:205], v[4:5]
	v_mul_f64 v[4:5], v[202:203], v[4:5]
	v_fmac_f64_e32 v[4:5], v[204:205], v[2:3]
	v_fma_f64 v[194:195], v[202:203], v[2:3], -v[194:195]
	v_add_f64 v[52:53], v[52:53], v[4:5]
	scratch_load_dwordx4 v[2:5], off, s15
	v_add_f64 v[10:11], v[10:11], v[194:195]
	s_add_i32 s15, s14, 0x3b0
	s_waitcnt vmcnt(0) lgkmcnt(0)
	v_mul_f64 v[194:195], v[208:209], v[4:5]
	v_fma_f64 v[194:195], v[206:207], v[2:3], -v[194:195]
	v_add_f64 v[10:11], v[10:11], v[194:195]
	scratch_load_dwordx4 v[194:197], off, s15
	v_mul_f64 v[4:5], v[206:207], v[4:5]
	v_fmac_f64_e32 v[4:5], v[208:209], v[2:3]
	v_add_f64 v[52:53], v[52:53], v[4:5]
	ds_read_b128 v[2:5], v49 offset:1920
	s_add_i32 s15, s14, 0x3c0
	s_waitcnt vmcnt(0) lgkmcnt(0)
	v_mul_f64 v[198:199], v[4:5], v[196:197]
	v_fma_f64 v[198:199], v[2:3], v[194:195], -v[198:199]
	v_mul_f64 v[2:3], v[2:3], v[196:197]
	v_fmac_f64_e32 v[2:3], v[4:5], v[194:195]
	scratch_load_dwordx4 v[194:197], off, s15
	v_add_f64 v[52:53], v[52:53], v[2:3]
	ds_read_b128 v[2:5], v49 offset:1936
	v_add_f64 v[10:11], v[10:11], v[198:199]
	s_add_i32 s15, s14, 0x3d0
	s_addk_i32 s14, 0x3e0
	s_waitcnt vmcnt(0) lgkmcnt(0)
	v_mul_f64 v[198:199], v[4:5], v[196:197]
	v_fma_f64 v[198:199], v[2:3], v[194:195], -v[198:199]
	v_mul_f64 v[2:3], v[2:3], v[196:197]
	v_fmac_f64_e32 v[2:3], v[4:5], v[194:195]
	scratch_load_dwordx4 v[194:197], off, s15
	v_add_f64 v[52:53], v[52:53], v[2:3]
	ds_read_b128 v[2:5], v49 offset:1952
	v_add_f64 v[10:11], v[10:11], v[198:199]
	s_waitcnt vmcnt(0) lgkmcnt(0)
	v_mul_f64 v[198:199], v[4:5], v[196:197]
	v_fma_f64 v[198:199], v[2:3], v[194:195], -v[198:199]
	v_mul_f64 v[2:3], v[2:3], v[196:197]
	v_fmac_f64_e32 v[2:3], v[4:5], v[194:195]
	scratch_load_dwordx4 v[194:197], off, s14
	v_add_f64 v[52:53], v[52:53], v[2:3]
	ds_read_b128 v[2:5], v49 offset:1968
	v_add_f64 v[10:11], v[10:11], v[198:199]
	s_add_i32 s14, s13, 8
	v_cmp_eq_u32_e32 vcc, s14, v7
	s_add_i32 s13, s13, 63
	s_or_b64 s[10:11], vcc, s[10:11]
	v_mov_b32_e32 v193, s13
	s_mov_b32 s13, s14
	s_waitcnt vmcnt(0) lgkmcnt(0)
	v_mul_f64 v[198:199], v[4:5], v[196:197]
	v_mul_f64 v[196:197], v[2:3], v[196:197]
	v_fma_f64 v[198:199], v[2:3], v[194:195], -v[198:199]
	v_fmac_f64_e32 v[196:197], v[4:5], v[194:195]
	v_add_f64 v[2:3], v[10:11], v[198:199]
	v_add_f64 v[4:5], v[52:53], v[196:197]
	s_andn2_b64 exec, exec, s[10:11]
	s_cbranch_execnz .LBB124_67
; %bb.68:
	s_or_b64 exec, exec, s[10:11]
.LBB124_69:
	s_or_b64 exec, exec, s[4:5]
	v_and_b32_e32 v6, 7, v6
	v_cmp_ne_u32_e32 vcc, 0, v6
	s_and_saveexec_b64 s[4:5], vcc
	s_cbranch_execz .LBB124_73
; %bb.70:
	v_lshlrev_b32_e32 v10, 4, v193
	v_add_u32_e32 v7, 0x3d0, v10
	v_add_u32_e32 v192, 0, v10
	s_mov_b64 s[10:11], 0
.LBB124_71:                             ; =>This Inner Loop Header: Depth=1
	scratch_load_dwordx4 v[194:197], v192, off
	ds_read_b128 v[198:201], v7
	v_add_u32_e32 v6, -1, v6
	v_cmp_eq_u32_e32 vcc, 0, v6
	v_add_u32_e32 v7, 16, v7
	v_add_u32_e32 v192, 16, v192
	s_or_b64 s[10:11], vcc, s[10:11]
	s_waitcnt vmcnt(0) lgkmcnt(0)
	v_mul_f64 v[10:11], v[200:201], v[196:197]
	v_mul_f64 v[52:53], v[198:199], v[196:197]
	v_fma_f64 v[10:11], v[198:199], v[194:195], -v[10:11]
	v_fmac_f64_e32 v[52:53], v[200:201], v[194:195]
	v_add_f64 v[2:3], v[2:3], v[10:11]
	v_add_f64 v[4:5], v[4:5], v[52:53]
	s_andn2_b64 exec, exec, s[10:11]
	s_cbranch_execnz .LBB124_71
; %bb.72:
	s_or_b64 exec, exec, s[10:11]
.LBB124_73:
	s_or_b64 exec, exec, s[4:5]
.LBB124_74:
	s_or_b64 exec, exec, s[8:9]
	v_mov_b32_e32 v6, 0
	ds_read_b128 v[192:195], v6 offset:864
	s_waitcnt lgkmcnt(0)
	v_mul_f64 v[6:7], v[4:5], v[194:195]
	v_mul_f64 v[196:197], v[2:3], v[194:195]
	v_fma_f64 v[194:195], v[2:3], v[192:193], -v[6:7]
	v_fmac_f64_e32 v[196:197], v[4:5], v[192:193]
	scratch_store_dwordx4 off, v[194:197], off offset:864
.LBB124_75:
	s_or_b64 exec, exec, s[2:3]
	scratch_load_dwordx4 v[2:5], v139, off
	v_cmp_lt_u32_e64 s[2:3], 53, v0
	s_waitcnt vmcnt(0)
	ds_write_b128 v9, v[2:5]
	s_waitcnt lgkmcnt(0)
	; wave barrier
	s_waitcnt lgkmcnt(0)
	s_and_saveexec_b64 s[4:5], s[2:3]
	s_cbranch_execz .LBB124_89
; %bb.76:
	ds_read_b128 v[2:5], v9
	s_andn2_b64 vcc, exec, s[6:7]
	s_cbranch_vccnz .LBB124_78
; %bb.77:
	scratch_load_dwordx4 v[192:195], v8, off
	s_waitcnt vmcnt(0) lgkmcnt(0)
	v_mul_f64 v[10:11], v[2:3], v[194:195]
	v_mul_f64 v[6:7], v[4:5], v[194:195]
	v_fmac_f64_e32 v[10:11], v[4:5], v[192:193]
	v_fma_f64 v[2:3], v[2:3], v[192:193], -v[6:7]
	v_mov_b64_e32 v[4:5], v[10:11]
.LBB124_78:
	s_and_saveexec_b64 s[8:9], s[0:1]
	s_cbranch_execz .LBB124_88
; %bb.79:
	v_subrev_u32_e32 v7, 55, v0
	v_subrev_u32_e32 v6, 54, v0
	v_cmp_lt_u32_e32 vcc, 6, v7
	v_mov_b32_e32 v193, 54
	s_and_saveexec_b64 s[0:1], vcc
	s_cbranch_execz .LBB124_83
; %bb.80:
	v_and_b32_e32 v7, -8, v6
	s_mov_b32 s12, 0
	s_mov_b64 s[10:11], 0
	v_mov_b32_e32 v192, 0
	s_mov_b32 s13, 0
.LBB124_81:                             ; =>This Inner Loop Header: Depth=1
	v_readfirstlane_b32 s14, v192
	s_add_i32 s14, s14, s12
	s_add_i32 s15, s14, 0x360
	v_mov_b32_e32 v49, s12
	ds_read_b128 v[194:197], v49 offset:1840
	ds_read_b128 v[198:201], v49 offset:1856
	;; [unrolled: 1-line block ×4, first 2 shown]
	scratch_load_dwordx4 v[210:213], off, s15
	s_add_i32 s15, s14, 0x370
	s_addk_i32 s12, 0x80
	s_waitcnt vmcnt(0) lgkmcnt(3)
	v_mul_f64 v[10:11], v[196:197], v[212:213]
	v_mul_f64 v[52:53], v[194:195], v[212:213]
	v_fma_f64 v[10:11], v[194:195], v[210:211], -v[10:11]
	v_fmac_f64_e32 v[52:53], v[196:197], v[210:211]
	v_add_f64 v[10:11], v[2:3], v[10:11]
	v_add_f64 v[52:53], v[4:5], v[52:53]
	scratch_load_dwordx4 v[2:5], off, s15
	s_add_i32 s15, s14, 0x380
	s_waitcnt vmcnt(0) lgkmcnt(2)
	v_mul_f64 v[194:195], v[200:201], v[4:5]
	v_mul_f64 v[4:5], v[198:199], v[4:5]
	v_fmac_f64_e32 v[4:5], v[200:201], v[2:3]
	v_fma_f64 v[194:195], v[198:199], v[2:3], -v[194:195]
	v_add_f64 v[52:53], v[52:53], v[4:5]
	scratch_load_dwordx4 v[2:5], off, s15
	v_add_f64 v[10:11], v[10:11], v[194:195]
	s_add_i32 s15, s14, 0x390
	s_waitcnt vmcnt(0) lgkmcnt(1)
	v_mul_f64 v[194:195], v[204:205], v[4:5]
	v_mul_f64 v[4:5], v[202:203], v[4:5]
	v_fmac_f64_e32 v[4:5], v[204:205], v[2:3]
	v_fma_f64 v[194:195], v[202:203], v[2:3], -v[194:195]
	v_add_f64 v[52:53], v[52:53], v[4:5]
	scratch_load_dwordx4 v[2:5], off, s15
	v_add_f64 v[10:11], v[10:11], v[194:195]
	s_add_i32 s15, s14, 0x3a0
	s_waitcnt vmcnt(0) lgkmcnt(0)
	v_mul_f64 v[194:195], v[208:209], v[4:5]
	v_fma_f64 v[194:195], v[206:207], v[2:3], -v[194:195]
	v_add_f64 v[10:11], v[10:11], v[194:195]
	scratch_load_dwordx4 v[194:197], off, s15
	v_mul_f64 v[4:5], v[206:207], v[4:5]
	v_fmac_f64_e32 v[4:5], v[208:209], v[2:3]
	v_add_f64 v[52:53], v[52:53], v[4:5]
	ds_read_b128 v[2:5], v49 offset:1904
	s_add_i32 s15, s14, 0x3b0
	s_waitcnt vmcnt(0) lgkmcnt(0)
	v_mul_f64 v[198:199], v[4:5], v[196:197]
	v_fma_f64 v[198:199], v[2:3], v[194:195], -v[198:199]
	v_mul_f64 v[2:3], v[2:3], v[196:197]
	v_fmac_f64_e32 v[2:3], v[4:5], v[194:195]
	scratch_load_dwordx4 v[194:197], off, s15
	v_add_f64 v[52:53], v[52:53], v[2:3]
	ds_read_b128 v[2:5], v49 offset:1920
	v_add_f64 v[10:11], v[10:11], v[198:199]
	s_add_i32 s15, s14, 0x3c0
	s_addk_i32 s14, 0x3d0
	s_waitcnt vmcnt(0) lgkmcnt(0)
	v_mul_f64 v[198:199], v[4:5], v[196:197]
	v_fma_f64 v[198:199], v[2:3], v[194:195], -v[198:199]
	v_mul_f64 v[2:3], v[2:3], v[196:197]
	v_fmac_f64_e32 v[2:3], v[4:5], v[194:195]
	scratch_load_dwordx4 v[194:197], off, s15
	v_add_f64 v[52:53], v[52:53], v[2:3]
	ds_read_b128 v[2:5], v49 offset:1936
	v_add_f64 v[10:11], v[10:11], v[198:199]
	s_waitcnt vmcnt(0) lgkmcnt(0)
	v_mul_f64 v[198:199], v[4:5], v[196:197]
	v_fma_f64 v[198:199], v[2:3], v[194:195], -v[198:199]
	v_mul_f64 v[2:3], v[2:3], v[196:197]
	v_fmac_f64_e32 v[2:3], v[4:5], v[194:195]
	scratch_load_dwordx4 v[194:197], off, s14
	v_add_f64 v[52:53], v[52:53], v[2:3]
	ds_read_b128 v[2:5], v49 offset:1952
	v_add_f64 v[10:11], v[10:11], v[198:199]
	s_add_i32 s14, s13, 8
	v_cmp_eq_u32_e32 vcc, s14, v7
	s_add_i32 s13, s13, 62
	s_or_b64 s[10:11], vcc, s[10:11]
	v_mov_b32_e32 v193, s13
	s_mov_b32 s13, s14
	s_waitcnt vmcnt(0) lgkmcnt(0)
	v_mul_f64 v[198:199], v[4:5], v[196:197]
	v_mul_f64 v[196:197], v[2:3], v[196:197]
	v_fma_f64 v[198:199], v[2:3], v[194:195], -v[198:199]
	v_fmac_f64_e32 v[196:197], v[4:5], v[194:195]
	v_add_f64 v[2:3], v[10:11], v[198:199]
	v_add_f64 v[4:5], v[52:53], v[196:197]
	s_andn2_b64 exec, exec, s[10:11]
	s_cbranch_execnz .LBB124_81
; %bb.82:
	s_or_b64 exec, exec, s[10:11]
.LBB124_83:
	s_or_b64 exec, exec, s[0:1]
	v_and_b32_e32 v6, 7, v6
	v_cmp_ne_u32_e32 vcc, 0, v6
	s_and_saveexec_b64 s[0:1], vcc
	s_cbranch_execz .LBB124_87
; %bb.84:
	v_lshlrev_b32_e32 v10, 4, v193
	v_add_u32_e32 v7, 0x3d0, v10
	v_add_u32_e32 v192, 0, v10
	s_mov_b64 s[10:11], 0
.LBB124_85:                             ; =>This Inner Loop Header: Depth=1
	scratch_load_dwordx4 v[194:197], v192, off
	ds_read_b128 v[198:201], v7
	v_add_u32_e32 v6, -1, v6
	v_cmp_eq_u32_e32 vcc, 0, v6
	v_add_u32_e32 v7, 16, v7
	v_add_u32_e32 v192, 16, v192
	s_or_b64 s[10:11], vcc, s[10:11]
	s_waitcnt vmcnt(0) lgkmcnt(0)
	v_mul_f64 v[10:11], v[200:201], v[196:197]
	v_mul_f64 v[52:53], v[198:199], v[196:197]
	v_fma_f64 v[10:11], v[198:199], v[194:195], -v[10:11]
	v_fmac_f64_e32 v[52:53], v[200:201], v[194:195]
	v_add_f64 v[2:3], v[2:3], v[10:11]
	v_add_f64 v[4:5], v[4:5], v[52:53]
	s_andn2_b64 exec, exec, s[10:11]
	s_cbranch_execnz .LBB124_85
; %bb.86:
	s_or_b64 exec, exec, s[10:11]
.LBB124_87:
	s_or_b64 exec, exec, s[0:1]
.LBB124_88:
	s_or_b64 exec, exec, s[8:9]
	v_mov_b32_e32 v6, 0
	ds_read_b128 v[192:195], v6 offset:848
	s_waitcnt lgkmcnt(0)
	v_mul_f64 v[6:7], v[4:5], v[194:195]
	v_mul_f64 v[196:197], v[2:3], v[194:195]
	v_fma_f64 v[194:195], v[2:3], v[192:193], -v[6:7]
	v_fmac_f64_e32 v[196:197], v[4:5], v[192:193]
	scratch_store_dwordx4 off, v[194:197], off offset:848
.LBB124_89:
	s_or_b64 exec, exec, s[4:5]
	scratch_load_dwordx4 v[2:5], v140, off
	v_cmp_lt_u32_e64 s[0:1], 52, v0
	s_waitcnt vmcnt(0)
	ds_write_b128 v9, v[2:5]
	s_waitcnt lgkmcnt(0)
	; wave barrier
	s_waitcnt lgkmcnt(0)
	s_and_saveexec_b64 s[4:5], s[0:1]
	s_cbranch_execz .LBB124_103
; %bb.90:
	ds_read_b128 v[2:5], v9
	s_andn2_b64 vcc, exec, s[6:7]
	s_cbranch_vccnz .LBB124_92
; %bb.91:
	scratch_load_dwordx4 v[192:195], v8, off
	s_waitcnt vmcnt(0) lgkmcnt(0)
	v_mul_f64 v[10:11], v[2:3], v[194:195]
	v_mul_f64 v[6:7], v[4:5], v[194:195]
	v_fmac_f64_e32 v[10:11], v[4:5], v[192:193]
	v_fma_f64 v[2:3], v[2:3], v[192:193], -v[6:7]
	v_mov_b64_e32 v[4:5], v[10:11]
.LBB124_92:
	s_and_saveexec_b64 s[8:9], s[2:3]
	s_cbranch_execz .LBB124_102
; %bb.93:
	v_subrev_u32_e32 v7, 54, v0
	v_subrev_u32_e32 v6, 53, v0
	v_cmp_lt_u32_e32 vcc, 6, v7
	v_mov_b32_e32 v193, 53
	s_and_saveexec_b64 s[2:3], vcc
	s_cbranch_execz .LBB124_97
; %bb.94:
	v_and_b32_e32 v7, -8, v6
	s_mov_b32 s12, 0
	s_mov_b64 s[10:11], 0
	v_mov_b32_e32 v192, 0
	s_mov_b32 s13, 0
.LBB124_95:                             ; =>This Inner Loop Header: Depth=1
	v_readfirstlane_b32 s14, v192
	s_add_i32 s14, s14, s12
	s_add_i32 s15, s14, 0x350
	v_mov_b32_e32 v49, s12
	ds_read_b128 v[194:197], v49 offset:1824
	ds_read_b128 v[198:201], v49 offset:1840
	ds_read_b128 v[202:205], v49 offset:1856
	ds_read_b128 v[206:209], v49 offset:1872
	scratch_load_dwordx4 v[210:213], off, s15
	s_add_i32 s15, s14, 0x360
	s_addk_i32 s12, 0x80
	s_waitcnt vmcnt(0) lgkmcnt(3)
	v_mul_f64 v[10:11], v[196:197], v[212:213]
	v_mul_f64 v[52:53], v[194:195], v[212:213]
	v_fma_f64 v[10:11], v[194:195], v[210:211], -v[10:11]
	v_fmac_f64_e32 v[52:53], v[196:197], v[210:211]
	v_add_f64 v[10:11], v[2:3], v[10:11]
	v_add_f64 v[52:53], v[4:5], v[52:53]
	scratch_load_dwordx4 v[2:5], off, s15
	s_add_i32 s15, s14, 0x370
	s_waitcnt vmcnt(0) lgkmcnt(2)
	v_mul_f64 v[194:195], v[200:201], v[4:5]
	v_mul_f64 v[4:5], v[198:199], v[4:5]
	v_fmac_f64_e32 v[4:5], v[200:201], v[2:3]
	v_fma_f64 v[194:195], v[198:199], v[2:3], -v[194:195]
	v_add_f64 v[52:53], v[52:53], v[4:5]
	scratch_load_dwordx4 v[2:5], off, s15
	v_add_f64 v[10:11], v[10:11], v[194:195]
	s_add_i32 s15, s14, 0x380
	s_waitcnt vmcnt(0) lgkmcnt(1)
	v_mul_f64 v[194:195], v[204:205], v[4:5]
	v_mul_f64 v[4:5], v[202:203], v[4:5]
	v_fmac_f64_e32 v[4:5], v[204:205], v[2:3]
	v_fma_f64 v[194:195], v[202:203], v[2:3], -v[194:195]
	v_add_f64 v[52:53], v[52:53], v[4:5]
	scratch_load_dwordx4 v[2:5], off, s15
	v_add_f64 v[10:11], v[10:11], v[194:195]
	s_add_i32 s15, s14, 0x390
	s_waitcnt vmcnt(0) lgkmcnt(0)
	v_mul_f64 v[194:195], v[208:209], v[4:5]
	v_fma_f64 v[194:195], v[206:207], v[2:3], -v[194:195]
	v_add_f64 v[10:11], v[10:11], v[194:195]
	scratch_load_dwordx4 v[194:197], off, s15
	v_mul_f64 v[4:5], v[206:207], v[4:5]
	v_fmac_f64_e32 v[4:5], v[208:209], v[2:3]
	v_add_f64 v[52:53], v[52:53], v[4:5]
	ds_read_b128 v[2:5], v49 offset:1888
	s_add_i32 s15, s14, 0x3a0
	s_waitcnt vmcnt(0) lgkmcnt(0)
	v_mul_f64 v[198:199], v[4:5], v[196:197]
	v_fma_f64 v[198:199], v[2:3], v[194:195], -v[198:199]
	v_mul_f64 v[2:3], v[2:3], v[196:197]
	v_fmac_f64_e32 v[2:3], v[4:5], v[194:195]
	scratch_load_dwordx4 v[194:197], off, s15
	v_add_f64 v[52:53], v[52:53], v[2:3]
	ds_read_b128 v[2:5], v49 offset:1904
	v_add_f64 v[10:11], v[10:11], v[198:199]
	s_add_i32 s15, s14, 0x3b0
	s_addk_i32 s14, 0x3c0
	s_waitcnt vmcnt(0) lgkmcnt(0)
	v_mul_f64 v[198:199], v[4:5], v[196:197]
	v_fma_f64 v[198:199], v[2:3], v[194:195], -v[198:199]
	v_mul_f64 v[2:3], v[2:3], v[196:197]
	v_fmac_f64_e32 v[2:3], v[4:5], v[194:195]
	scratch_load_dwordx4 v[194:197], off, s15
	v_add_f64 v[52:53], v[52:53], v[2:3]
	ds_read_b128 v[2:5], v49 offset:1920
	v_add_f64 v[10:11], v[10:11], v[198:199]
	s_waitcnt vmcnt(0) lgkmcnt(0)
	v_mul_f64 v[198:199], v[4:5], v[196:197]
	v_fma_f64 v[198:199], v[2:3], v[194:195], -v[198:199]
	v_mul_f64 v[2:3], v[2:3], v[196:197]
	v_fmac_f64_e32 v[2:3], v[4:5], v[194:195]
	scratch_load_dwordx4 v[194:197], off, s14
	v_add_f64 v[52:53], v[52:53], v[2:3]
	ds_read_b128 v[2:5], v49 offset:1936
	v_add_f64 v[10:11], v[10:11], v[198:199]
	s_add_i32 s14, s13, 8
	v_cmp_eq_u32_e32 vcc, s14, v7
	s_add_i32 s13, s13, 61
	s_or_b64 s[10:11], vcc, s[10:11]
	v_mov_b32_e32 v193, s13
	s_mov_b32 s13, s14
	s_waitcnt vmcnt(0) lgkmcnt(0)
	v_mul_f64 v[198:199], v[4:5], v[196:197]
	v_mul_f64 v[196:197], v[2:3], v[196:197]
	v_fma_f64 v[198:199], v[2:3], v[194:195], -v[198:199]
	v_fmac_f64_e32 v[196:197], v[4:5], v[194:195]
	v_add_f64 v[2:3], v[10:11], v[198:199]
	v_add_f64 v[4:5], v[52:53], v[196:197]
	s_andn2_b64 exec, exec, s[10:11]
	s_cbranch_execnz .LBB124_95
; %bb.96:
	s_or_b64 exec, exec, s[10:11]
.LBB124_97:
	s_or_b64 exec, exec, s[2:3]
	v_and_b32_e32 v6, 7, v6
	v_cmp_ne_u32_e32 vcc, 0, v6
	s_and_saveexec_b64 s[2:3], vcc
	s_cbranch_execz .LBB124_101
; %bb.98:
	v_lshlrev_b32_e32 v10, 4, v193
	v_add_u32_e32 v7, 0x3d0, v10
	v_add_u32_e32 v192, 0, v10
	s_mov_b64 s[10:11], 0
.LBB124_99:                             ; =>This Inner Loop Header: Depth=1
	scratch_load_dwordx4 v[194:197], v192, off
	ds_read_b128 v[198:201], v7
	v_add_u32_e32 v6, -1, v6
	v_cmp_eq_u32_e32 vcc, 0, v6
	v_add_u32_e32 v7, 16, v7
	v_add_u32_e32 v192, 16, v192
	s_or_b64 s[10:11], vcc, s[10:11]
	s_waitcnt vmcnt(0) lgkmcnt(0)
	v_mul_f64 v[10:11], v[200:201], v[196:197]
	v_mul_f64 v[52:53], v[198:199], v[196:197]
	v_fma_f64 v[10:11], v[198:199], v[194:195], -v[10:11]
	v_fmac_f64_e32 v[52:53], v[200:201], v[194:195]
	v_add_f64 v[2:3], v[2:3], v[10:11]
	v_add_f64 v[4:5], v[4:5], v[52:53]
	s_andn2_b64 exec, exec, s[10:11]
	s_cbranch_execnz .LBB124_99
; %bb.100:
	s_or_b64 exec, exec, s[10:11]
.LBB124_101:
	s_or_b64 exec, exec, s[2:3]
.LBB124_102:
	s_or_b64 exec, exec, s[8:9]
	v_mov_b32_e32 v6, 0
	ds_read_b128 v[192:195], v6 offset:832
	s_waitcnt lgkmcnt(0)
	v_mul_f64 v[6:7], v[4:5], v[194:195]
	v_mul_f64 v[196:197], v[2:3], v[194:195]
	v_fma_f64 v[194:195], v[2:3], v[192:193], -v[6:7]
	v_fmac_f64_e32 v[196:197], v[4:5], v[192:193]
	scratch_store_dwordx4 off, v[194:197], off offset:832
.LBB124_103:
	s_or_b64 exec, exec, s[4:5]
	scratch_load_dwordx4 v[2:5], v141, off
	v_cmp_lt_u32_e64 s[2:3], 51, v0
	s_waitcnt vmcnt(0)
	ds_write_b128 v9, v[2:5]
	s_waitcnt lgkmcnt(0)
	; wave barrier
	s_waitcnt lgkmcnt(0)
	s_and_saveexec_b64 s[4:5], s[2:3]
	s_cbranch_execz .LBB124_117
; %bb.104:
	ds_read_b128 v[2:5], v9
	s_andn2_b64 vcc, exec, s[6:7]
	s_cbranch_vccnz .LBB124_106
; %bb.105:
	scratch_load_dwordx4 v[192:195], v8, off
	s_waitcnt vmcnt(0) lgkmcnt(0)
	v_mul_f64 v[10:11], v[2:3], v[194:195]
	v_mul_f64 v[6:7], v[4:5], v[194:195]
	v_fmac_f64_e32 v[10:11], v[4:5], v[192:193]
	v_fma_f64 v[2:3], v[2:3], v[192:193], -v[6:7]
	v_mov_b64_e32 v[4:5], v[10:11]
.LBB124_106:
	s_and_saveexec_b64 s[8:9], s[0:1]
	s_cbranch_execz .LBB124_116
; %bb.107:
	v_subrev_u32_e32 v7, 53, v0
	v_subrev_u32_e32 v6, 52, v0
	v_cmp_lt_u32_e32 vcc, 6, v7
	v_mov_b32_e32 v193, 52
	s_and_saveexec_b64 s[0:1], vcc
	s_cbranch_execz .LBB124_111
; %bb.108:
	v_and_b32_e32 v7, -8, v6
	s_mov_b32 s12, 0
	s_mov_b64 s[10:11], 0
	v_mov_b32_e32 v192, 0
	s_mov_b32 s13, 0
.LBB124_109:                            ; =>This Inner Loop Header: Depth=1
	v_readfirstlane_b32 s14, v192
	s_add_i32 s14, s14, s12
	s_add_i32 s15, s14, 0x340
	v_mov_b32_e32 v49, s12
	ds_read_b128 v[194:197], v49 offset:1808
	ds_read_b128 v[198:201], v49 offset:1824
	;; [unrolled: 1-line block ×4, first 2 shown]
	scratch_load_dwordx4 v[210:213], off, s15
	s_add_i32 s15, s14, 0x350
	s_addk_i32 s12, 0x80
	s_waitcnt vmcnt(0) lgkmcnt(3)
	v_mul_f64 v[10:11], v[196:197], v[212:213]
	v_mul_f64 v[52:53], v[194:195], v[212:213]
	v_fma_f64 v[10:11], v[194:195], v[210:211], -v[10:11]
	v_fmac_f64_e32 v[52:53], v[196:197], v[210:211]
	v_add_f64 v[10:11], v[2:3], v[10:11]
	v_add_f64 v[52:53], v[4:5], v[52:53]
	scratch_load_dwordx4 v[2:5], off, s15
	s_add_i32 s15, s14, 0x360
	s_waitcnt vmcnt(0) lgkmcnt(2)
	v_mul_f64 v[194:195], v[200:201], v[4:5]
	v_mul_f64 v[4:5], v[198:199], v[4:5]
	v_fmac_f64_e32 v[4:5], v[200:201], v[2:3]
	v_fma_f64 v[194:195], v[198:199], v[2:3], -v[194:195]
	v_add_f64 v[52:53], v[52:53], v[4:5]
	scratch_load_dwordx4 v[2:5], off, s15
	v_add_f64 v[10:11], v[10:11], v[194:195]
	s_add_i32 s15, s14, 0x370
	s_waitcnt vmcnt(0) lgkmcnt(1)
	v_mul_f64 v[194:195], v[204:205], v[4:5]
	v_mul_f64 v[4:5], v[202:203], v[4:5]
	v_fmac_f64_e32 v[4:5], v[204:205], v[2:3]
	v_fma_f64 v[194:195], v[202:203], v[2:3], -v[194:195]
	v_add_f64 v[52:53], v[52:53], v[4:5]
	scratch_load_dwordx4 v[2:5], off, s15
	v_add_f64 v[10:11], v[10:11], v[194:195]
	s_add_i32 s15, s14, 0x380
	s_waitcnt vmcnt(0) lgkmcnt(0)
	v_mul_f64 v[194:195], v[208:209], v[4:5]
	v_fma_f64 v[194:195], v[206:207], v[2:3], -v[194:195]
	v_add_f64 v[10:11], v[10:11], v[194:195]
	scratch_load_dwordx4 v[194:197], off, s15
	v_mul_f64 v[4:5], v[206:207], v[4:5]
	v_fmac_f64_e32 v[4:5], v[208:209], v[2:3]
	v_add_f64 v[52:53], v[52:53], v[4:5]
	ds_read_b128 v[2:5], v49 offset:1872
	s_add_i32 s15, s14, 0x390
	s_waitcnt vmcnt(0) lgkmcnt(0)
	v_mul_f64 v[198:199], v[4:5], v[196:197]
	v_fma_f64 v[198:199], v[2:3], v[194:195], -v[198:199]
	v_mul_f64 v[2:3], v[2:3], v[196:197]
	v_fmac_f64_e32 v[2:3], v[4:5], v[194:195]
	scratch_load_dwordx4 v[194:197], off, s15
	v_add_f64 v[52:53], v[52:53], v[2:3]
	ds_read_b128 v[2:5], v49 offset:1888
	v_add_f64 v[10:11], v[10:11], v[198:199]
	s_add_i32 s15, s14, 0x3a0
	s_addk_i32 s14, 0x3b0
	s_waitcnt vmcnt(0) lgkmcnt(0)
	v_mul_f64 v[198:199], v[4:5], v[196:197]
	v_fma_f64 v[198:199], v[2:3], v[194:195], -v[198:199]
	v_mul_f64 v[2:3], v[2:3], v[196:197]
	v_fmac_f64_e32 v[2:3], v[4:5], v[194:195]
	scratch_load_dwordx4 v[194:197], off, s15
	v_add_f64 v[52:53], v[52:53], v[2:3]
	ds_read_b128 v[2:5], v49 offset:1904
	v_add_f64 v[10:11], v[10:11], v[198:199]
	s_waitcnt vmcnt(0) lgkmcnt(0)
	v_mul_f64 v[198:199], v[4:5], v[196:197]
	v_fma_f64 v[198:199], v[2:3], v[194:195], -v[198:199]
	v_mul_f64 v[2:3], v[2:3], v[196:197]
	v_fmac_f64_e32 v[2:3], v[4:5], v[194:195]
	scratch_load_dwordx4 v[194:197], off, s14
	v_add_f64 v[52:53], v[52:53], v[2:3]
	ds_read_b128 v[2:5], v49 offset:1920
	v_add_f64 v[10:11], v[10:11], v[198:199]
	s_add_i32 s14, s13, 8
	v_cmp_eq_u32_e32 vcc, s14, v7
	s_add_i32 s13, s13, 60
	s_or_b64 s[10:11], vcc, s[10:11]
	v_mov_b32_e32 v193, s13
	s_mov_b32 s13, s14
	s_waitcnt vmcnt(0) lgkmcnt(0)
	v_mul_f64 v[198:199], v[4:5], v[196:197]
	v_mul_f64 v[196:197], v[2:3], v[196:197]
	v_fma_f64 v[198:199], v[2:3], v[194:195], -v[198:199]
	v_fmac_f64_e32 v[196:197], v[4:5], v[194:195]
	v_add_f64 v[2:3], v[10:11], v[198:199]
	v_add_f64 v[4:5], v[52:53], v[196:197]
	s_andn2_b64 exec, exec, s[10:11]
	s_cbranch_execnz .LBB124_109
; %bb.110:
	s_or_b64 exec, exec, s[10:11]
.LBB124_111:
	s_or_b64 exec, exec, s[0:1]
	v_and_b32_e32 v6, 7, v6
	v_cmp_ne_u32_e32 vcc, 0, v6
	s_and_saveexec_b64 s[0:1], vcc
	s_cbranch_execz .LBB124_115
; %bb.112:
	v_lshlrev_b32_e32 v10, 4, v193
	v_add_u32_e32 v7, 0x3d0, v10
	v_add_u32_e32 v192, 0, v10
	s_mov_b64 s[10:11], 0
.LBB124_113:                            ; =>This Inner Loop Header: Depth=1
	scratch_load_dwordx4 v[194:197], v192, off
	ds_read_b128 v[198:201], v7
	v_add_u32_e32 v6, -1, v6
	v_cmp_eq_u32_e32 vcc, 0, v6
	v_add_u32_e32 v7, 16, v7
	v_add_u32_e32 v192, 16, v192
	s_or_b64 s[10:11], vcc, s[10:11]
	s_waitcnt vmcnt(0) lgkmcnt(0)
	v_mul_f64 v[10:11], v[200:201], v[196:197]
	v_mul_f64 v[52:53], v[198:199], v[196:197]
	v_fma_f64 v[10:11], v[198:199], v[194:195], -v[10:11]
	v_fmac_f64_e32 v[52:53], v[200:201], v[194:195]
	v_add_f64 v[2:3], v[2:3], v[10:11]
	v_add_f64 v[4:5], v[4:5], v[52:53]
	s_andn2_b64 exec, exec, s[10:11]
	s_cbranch_execnz .LBB124_113
; %bb.114:
	s_or_b64 exec, exec, s[10:11]
.LBB124_115:
	s_or_b64 exec, exec, s[0:1]
.LBB124_116:
	s_or_b64 exec, exec, s[8:9]
	v_mov_b32_e32 v6, 0
	ds_read_b128 v[192:195], v6 offset:816
	s_waitcnt lgkmcnt(0)
	v_mul_f64 v[6:7], v[4:5], v[194:195]
	v_mul_f64 v[196:197], v[2:3], v[194:195]
	v_fma_f64 v[194:195], v[2:3], v[192:193], -v[6:7]
	v_fmac_f64_e32 v[196:197], v[4:5], v[192:193]
	scratch_store_dwordx4 off, v[194:197], off offset:816
.LBB124_117:
	s_or_b64 exec, exec, s[4:5]
	scratch_load_dwordx4 v[2:5], v142, off
	v_cmp_lt_u32_e64 s[0:1], 50, v0
	s_waitcnt vmcnt(0)
	ds_write_b128 v9, v[2:5]
	s_waitcnt lgkmcnt(0)
	; wave barrier
	s_waitcnt lgkmcnt(0)
	s_and_saveexec_b64 s[4:5], s[0:1]
	s_cbranch_execz .LBB124_131
; %bb.118:
	ds_read_b128 v[2:5], v9
	s_andn2_b64 vcc, exec, s[6:7]
	s_cbranch_vccnz .LBB124_120
; %bb.119:
	scratch_load_dwordx4 v[192:195], v8, off
	s_waitcnt vmcnt(0) lgkmcnt(0)
	v_mul_f64 v[10:11], v[2:3], v[194:195]
	v_mul_f64 v[6:7], v[4:5], v[194:195]
	v_fmac_f64_e32 v[10:11], v[4:5], v[192:193]
	v_fma_f64 v[2:3], v[2:3], v[192:193], -v[6:7]
	v_mov_b64_e32 v[4:5], v[10:11]
.LBB124_120:
	s_and_saveexec_b64 s[8:9], s[2:3]
	s_cbranch_execz .LBB124_130
; %bb.121:
	v_subrev_u32_e32 v7, 52, v0
	v_subrev_u32_e32 v6, 51, v0
	v_cmp_lt_u32_e32 vcc, 6, v7
	v_mov_b32_e32 v193, 51
	s_and_saveexec_b64 s[2:3], vcc
	s_cbranch_execz .LBB124_125
; %bb.122:
	v_and_b32_e32 v7, -8, v6
	s_mov_b32 s12, 0
	s_mov_b64 s[10:11], 0
	v_mov_b32_e32 v192, 0
	s_mov_b32 s13, 0
.LBB124_123:                            ; =>This Inner Loop Header: Depth=1
	v_readfirstlane_b32 s14, v192
	s_add_i32 s14, s14, s12
	s_add_i32 s15, s14, 0x330
	v_mov_b32_e32 v49, s12
	ds_read_b128 v[194:197], v49 offset:1792
	ds_read_b128 v[198:201], v49 offset:1808
	;; [unrolled: 1-line block ×4, first 2 shown]
	scratch_load_dwordx4 v[210:213], off, s15
	s_add_i32 s15, s14, 0x340
	s_addk_i32 s12, 0x80
	s_waitcnt vmcnt(0) lgkmcnt(3)
	v_mul_f64 v[10:11], v[196:197], v[212:213]
	v_mul_f64 v[52:53], v[194:195], v[212:213]
	v_fma_f64 v[10:11], v[194:195], v[210:211], -v[10:11]
	v_fmac_f64_e32 v[52:53], v[196:197], v[210:211]
	v_add_f64 v[10:11], v[2:3], v[10:11]
	v_add_f64 v[52:53], v[4:5], v[52:53]
	scratch_load_dwordx4 v[2:5], off, s15
	s_add_i32 s15, s14, 0x350
	s_waitcnt vmcnt(0) lgkmcnt(2)
	v_mul_f64 v[194:195], v[200:201], v[4:5]
	v_mul_f64 v[4:5], v[198:199], v[4:5]
	v_fmac_f64_e32 v[4:5], v[200:201], v[2:3]
	v_fma_f64 v[194:195], v[198:199], v[2:3], -v[194:195]
	v_add_f64 v[52:53], v[52:53], v[4:5]
	scratch_load_dwordx4 v[2:5], off, s15
	v_add_f64 v[10:11], v[10:11], v[194:195]
	s_add_i32 s15, s14, 0x360
	s_waitcnt vmcnt(0) lgkmcnt(1)
	v_mul_f64 v[194:195], v[204:205], v[4:5]
	v_mul_f64 v[4:5], v[202:203], v[4:5]
	v_fmac_f64_e32 v[4:5], v[204:205], v[2:3]
	v_fma_f64 v[194:195], v[202:203], v[2:3], -v[194:195]
	v_add_f64 v[52:53], v[52:53], v[4:5]
	scratch_load_dwordx4 v[2:5], off, s15
	v_add_f64 v[10:11], v[10:11], v[194:195]
	s_add_i32 s15, s14, 0x370
	s_waitcnt vmcnt(0) lgkmcnt(0)
	v_mul_f64 v[194:195], v[208:209], v[4:5]
	v_fma_f64 v[194:195], v[206:207], v[2:3], -v[194:195]
	v_add_f64 v[10:11], v[10:11], v[194:195]
	scratch_load_dwordx4 v[194:197], off, s15
	v_mul_f64 v[4:5], v[206:207], v[4:5]
	v_fmac_f64_e32 v[4:5], v[208:209], v[2:3]
	v_add_f64 v[52:53], v[52:53], v[4:5]
	ds_read_b128 v[2:5], v49 offset:1856
	s_add_i32 s15, s14, 0x380
	s_waitcnt vmcnt(0) lgkmcnt(0)
	v_mul_f64 v[198:199], v[4:5], v[196:197]
	v_fma_f64 v[198:199], v[2:3], v[194:195], -v[198:199]
	v_mul_f64 v[2:3], v[2:3], v[196:197]
	v_fmac_f64_e32 v[2:3], v[4:5], v[194:195]
	scratch_load_dwordx4 v[194:197], off, s15
	v_add_f64 v[52:53], v[52:53], v[2:3]
	ds_read_b128 v[2:5], v49 offset:1872
	v_add_f64 v[10:11], v[10:11], v[198:199]
	s_add_i32 s15, s14, 0x390
	s_addk_i32 s14, 0x3a0
	s_waitcnt vmcnt(0) lgkmcnt(0)
	v_mul_f64 v[198:199], v[4:5], v[196:197]
	v_fma_f64 v[198:199], v[2:3], v[194:195], -v[198:199]
	v_mul_f64 v[2:3], v[2:3], v[196:197]
	v_fmac_f64_e32 v[2:3], v[4:5], v[194:195]
	scratch_load_dwordx4 v[194:197], off, s15
	v_add_f64 v[52:53], v[52:53], v[2:3]
	ds_read_b128 v[2:5], v49 offset:1888
	v_add_f64 v[10:11], v[10:11], v[198:199]
	s_waitcnt vmcnt(0) lgkmcnt(0)
	v_mul_f64 v[198:199], v[4:5], v[196:197]
	v_fma_f64 v[198:199], v[2:3], v[194:195], -v[198:199]
	v_mul_f64 v[2:3], v[2:3], v[196:197]
	v_fmac_f64_e32 v[2:3], v[4:5], v[194:195]
	scratch_load_dwordx4 v[194:197], off, s14
	v_add_f64 v[52:53], v[52:53], v[2:3]
	ds_read_b128 v[2:5], v49 offset:1904
	v_add_f64 v[10:11], v[10:11], v[198:199]
	s_add_i32 s14, s13, 8
	v_cmp_eq_u32_e32 vcc, s14, v7
	s_add_i32 s13, s13, 59
	s_or_b64 s[10:11], vcc, s[10:11]
	v_mov_b32_e32 v193, s13
	s_mov_b32 s13, s14
	s_waitcnt vmcnt(0) lgkmcnt(0)
	v_mul_f64 v[198:199], v[4:5], v[196:197]
	v_mul_f64 v[196:197], v[2:3], v[196:197]
	v_fma_f64 v[198:199], v[2:3], v[194:195], -v[198:199]
	v_fmac_f64_e32 v[196:197], v[4:5], v[194:195]
	v_add_f64 v[2:3], v[10:11], v[198:199]
	v_add_f64 v[4:5], v[52:53], v[196:197]
	s_andn2_b64 exec, exec, s[10:11]
	s_cbranch_execnz .LBB124_123
; %bb.124:
	s_or_b64 exec, exec, s[10:11]
.LBB124_125:
	s_or_b64 exec, exec, s[2:3]
	v_and_b32_e32 v6, 7, v6
	v_cmp_ne_u32_e32 vcc, 0, v6
	s_and_saveexec_b64 s[2:3], vcc
	s_cbranch_execz .LBB124_129
; %bb.126:
	v_lshlrev_b32_e32 v10, 4, v193
	v_add_u32_e32 v7, 0x3d0, v10
	v_add_u32_e32 v192, 0, v10
	s_mov_b64 s[10:11], 0
.LBB124_127:                            ; =>This Inner Loop Header: Depth=1
	scratch_load_dwordx4 v[194:197], v192, off
	ds_read_b128 v[198:201], v7
	v_add_u32_e32 v6, -1, v6
	v_cmp_eq_u32_e32 vcc, 0, v6
	v_add_u32_e32 v7, 16, v7
	v_add_u32_e32 v192, 16, v192
	s_or_b64 s[10:11], vcc, s[10:11]
	s_waitcnt vmcnt(0) lgkmcnt(0)
	v_mul_f64 v[10:11], v[200:201], v[196:197]
	v_mul_f64 v[52:53], v[198:199], v[196:197]
	v_fma_f64 v[10:11], v[198:199], v[194:195], -v[10:11]
	v_fmac_f64_e32 v[52:53], v[200:201], v[194:195]
	v_add_f64 v[2:3], v[2:3], v[10:11]
	v_add_f64 v[4:5], v[4:5], v[52:53]
	s_andn2_b64 exec, exec, s[10:11]
	s_cbranch_execnz .LBB124_127
; %bb.128:
	s_or_b64 exec, exec, s[10:11]
.LBB124_129:
	s_or_b64 exec, exec, s[2:3]
.LBB124_130:
	s_or_b64 exec, exec, s[8:9]
	v_mov_b32_e32 v6, 0
	ds_read_b128 v[192:195], v6 offset:800
	s_waitcnt lgkmcnt(0)
	v_mul_f64 v[6:7], v[4:5], v[194:195]
	v_mul_f64 v[196:197], v[2:3], v[194:195]
	v_fma_f64 v[194:195], v[2:3], v[192:193], -v[6:7]
	v_fmac_f64_e32 v[196:197], v[4:5], v[192:193]
	scratch_store_dwordx4 off, v[194:197], off offset:800
.LBB124_131:
	s_or_b64 exec, exec, s[4:5]
	scratch_load_dwordx4 v[2:5], v143, off
	v_cmp_lt_u32_e64 s[2:3], 49, v0
	s_waitcnt vmcnt(0)
	ds_write_b128 v9, v[2:5]
	s_waitcnt lgkmcnt(0)
	; wave barrier
	s_waitcnt lgkmcnt(0)
	s_and_saveexec_b64 s[4:5], s[2:3]
	s_cbranch_execz .LBB124_145
; %bb.132:
	ds_read_b128 v[2:5], v9
	s_andn2_b64 vcc, exec, s[6:7]
	s_cbranch_vccnz .LBB124_134
; %bb.133:
	scratch_load_dwordx4 v[192:195], v8, off
	s_waitcnt vmcnt(0) lgkmcnt(0)
	v_mul_f64 v[10:11], v[2:3], v[194:195]
	v_mul_f64 v[6:7], v[4:5], v[194:195]
	v_fmac_f64_e32 v[10:11], v[4:5], v[192:193]
	v_fma_f64 v[2:3], v[2:3], v[192:193], -v[6:7]
	v_mov_b64_e32 v[4:5], v[10:11]
.LBB124_134:
	s_and_saveexec_b64 s[8:9], s[0:1]
	s_cbranch_execz .LBB124_144
; %bb.135:
	v_subrev_u32_e32 v7, 51, v0
	v_subrev_u32_e32 v6, 50, v0
	v_cmp_lt_u32_e32 vcc, 6, v7
	v_mov_b32_e32 v193, 50
	s_and_saveexec_b64 s[0:1], vcc
	s_cbranch_execz .LBB124_139
; %bb.136:
	v_and_b32_e32 v7, -8, v6
	s_mov_b32 s12, 0
	s_mov_b64 s[10:11], 0
	v_mov_b32_e32 v192, 0
	s_mov_b32 s13, 0
.LBB124_137:                            ; =>This Inner Loop Header: Depth=1
	v_readfirstlane_b32 s14, v192
	s_add_i32 s14, s14, s12
	s_add_i32 s15, s14, 0x320
	v_mov_b32_e32 v49, s12
	ds_read_b128 v[194:197], v49 offset:1776
	ds_read_b128 v[198:201], v49 offset:1792
	;; [unrolled: 1-line block ×4, first 2 shown]
	scratch_load_dwordx4 v[210:213], off, s15
	s_add_i32 s15, s14, 0x330
	s_addk_i32 s12, 0x80
	s_waitcnt vmcnt(0) lgkmcnt(3)
	v_mul_f64 v[10:11], v[196:197], v[212:213]
	v_mul_f64 v[52:53], v[194:195], v[212:213]
	v_fma_f64 v[10:11], v[194:195], v[210:211], -v[10:11]
	v_fmac_f64_e32 v[52:53], v[196:197], v[210:211]
	v_add_f64 v[10:11], v[2:3], v[10:11]
	v_add_f64 v[52:53], v[4:5], v[52:53]
	scratch_load_dwordx4 v[2:5], off, s15
	s_add_i32 s15, s14, 0x340
	s_waitcnt vmcnt(0) lgkmcnt(2)
	v_mul_f64 v[194:195], v[200:201], v[4:5]
	v_mul_f64 v[4:5], v[198:199], v[4:5]
	v_fmac_f64_e32 v[4:5], v[200:201], v[2:3]
	v_fma_f64 v[194:195], v[198:199], v[2:3], -v[194:195]
	v_add_f64 v[52:53], v[52:53], v[4:5]
	scratch_load_dwordx4 v[2:5], off, s15
	v_add_f64 v[10:11], v[10:11], v[194:195]
	s_add_i32 s15, s14, 0x350
	s_waitcnt vmcnt(0) lgkmcnt(1)
	v_mul_f64 v[194:195], v[204:205], v[4:5]
	v_mul_f64 v[4:5], v[202:203], v[4:5]
	v_fmac_f64_e32 v[4:5], v[204:205], v[2:3]
	v_fma_f64 v[194:195], v[202:203], v[2:3], -v[194:195]
	v_add_f64 v[52:53], v[52:53], v[4:5]
	scratch_load_dwordx4 v[2:5], off, s15
	v_add_f64 v[10:11], v[10:11], v[194:195]
	s_add_i32 s15, s14, 0x360
	s_waitcnt vmcnt(0) lgkmcnt(0)
	v_mul_f64 v[194:195], v[208:209], v[4:5]
	v_fma_f64 v[194:195], v[206:207], v[2:3], -v[194:195]
	v_add_f64 v[10:11], v[10:11], v[194:195]
	scratch_load_dwordx4 v[194:197], off, s15
	v_mul_f64 v[4:5], v[206:207], v[4:5]
	v_fmac_f64_e32 v[4:5], v[208:209], v[2:3]
	v_add_f64 v[52:53], v[52:53], v[4:5]
	ds_read_b128 v[2:5], v49 offset:1840
	s_add_i32 s15, s14, 0x370
	s_waitcnt vmcnt(0) lgkmcnt(0)
	v_mul_f64 v[198:199], v[4:5], v[196:197]
	v_fma_f64 v[198:199], v[2:3], v[194:195], -v[198:199]
	v_mul_f64 v[2:3], v[2:3], v[196:197]
	v_fmac_f64_e32 v[2:3], v[4:5], v[194:195]
	scratch_load_dwordx4 v[194:197], off, s15
	v_add_f64 v[52:53], v[52:53], v[2:3]
	ds_read_b128 v[2:5], v49 offset:1856
	v_add_f64 v[10:11], v[10:11], v[198:199]
	s_add_i32 s15, s14, 0x380
	s_addk_i32 s14, 0x390
	s_waitcnt vmcnt(0) lgkmcnt(0)
	v_mul_f64 v[198:199], v[4:5], v[196:197]
	v_fma_f64 v[198:199], v[2:3], v[194:195], -v[198:199]
	v_mul_f64 v[2:3], v[2:3], v[196:197]
	v_fmac_f64_e32 v[2:3], v[4:5], v[194:195]
	scratch_load_dwordx4 v[194:197], off, s15
	v_add_f64 v[52:53], v[52:53], v[2:3]
	ds_read_b128 v[2:5], v49 offset:1872
	v_add_f64 v[10:11], v[10:11], v[198:199]
	s_waitcnt vmcnt(0) lgkmcnt(0)
	v_mul_f64 v[198:199], v[4:5], v[196:197]
	v_fma_f64 v[198:199], v[2:3], v[194:195], -v[198:199]
	v_mul_f64 v[2:3], v[2:3], v[196:197]
	v_fmac_f64_e32 v[2:3], v[4:5], v[194:195]
	scratch_load_dwordx4 v[194:197], off, s14
	v_add_f64 v[52:53], v[52:53], v[2:3]
	ds_read_b128 v[2:5], v49 offset:1888
	v_add_f64 v[10:11], v[10:11], v[198:199]
	s_add_i32 s14, s13, 8
	v_cmp_eq_u32_e32 vcc, s14, v7
	s_add_i32 s13, s13, 58
	s_or_b64 s[10:11], vcc, s[10:11]
	v_mov_b32_e32 v193, s13
	s_mov_b32 s13, s14
	s_waitcnt vmcnt(0) lgkmcnt(0)
	v_mul_f64 v[198:199], v[4:5], v[196:197]
	v_mul_f64 v[196:197], v[2:3], v[196:197]
	v_fma_f64 v[198:199], v[2:3], v[194:195], -v[198:199]
	v_fmac_f64_e32 v[196:197], v[4:5], v[194:195]
	v_add_f64 v[2:3], v[10:11], v[198:199]
	v_add_f64 v[4:5], v[52:53], v[196:197]
	s_andn2_b64 exec, exec, s[10:11]
	s_cbranch_execnz .LBB124_137
; %bb.138:
	s_or_b64 exec, exec, s[10:11]
.LBB124_139:
	s_or_b64 exec, exec, s[0:1]
	v_and_b32_e32 v6, 7, v6
	v_cmp_ne_u32_e32 vcc, 0, v6
	s_and_saveexec_b64 s[0:1], vcc
	s_cbranch_execz .LBB124_143
; %bb.140:
	v_lshlrev_b32_e32 v10, 4, v193
	v_add_u32_e32 v7, 0x3d0, v10
	v_add_u32_e32 v192, 0, v10
	s_mov_b64 s[10:11], 0
.LBB124_141:                            ; =>This Inner Loop Header: Depth=1
	scratch_load_dwordx4 v[194:197], v192, off
	ds_read_b128 v[198:201], v7
	v_add_u32_e32 v6, -1, v6
	v_cmp_eq_u32_e32 vcc, 0, v6
	v_add_u32_e32 v7, 16, v7
	v_add_u32_e32 v192, 16, v192
	s_or_b64 s[10:11], vcc, s[10:11]
	s_waitcnt vmcnt(0) lgkmcnt(0)
	v_mul_f64 v[10:11], v[200:201], v[196:197]
	v_mul_f64 v[52:53], v[198:199], v[196:197]
	v_fma_f64 v[10:11], v[198:199], v[194:195], -v[10:11]
	v_fmac_f64_e32 v[52:53], v[200:201], v[194:195]
	v_add_f64 v[2:3], v[2:3], v[10:11]
	v_add_f64 v[4:5], v[4:5], v[52:53]
	s_andn2_b64 exec, exec, s[10:11]
	s_cbranch_execnz .LBB124_141
; %bb.142:
	s_or_b64 exec, exec, s[10:11]
.LBB124_143:
	s_or_b64 exec, exec, s[0:1]
.LBB124_144:
	s_or_b64 exec, exec, s[8:9]
	v_mov_b32_e32 v6, 0
	ds_read_b128 v[192:195], v6 offset:784
	s_waitcnt lgkmcnt(0)
	v_mul_f64 v[6:7], v[4:5], v[194:195]
	v_mul_f64 v[196:197], v[2:3], v[194:195]
	v_fma_f64 v[194:195], v[2:3], v[192:193], -v[6:7]
	v_fmac_f64_e32 v[196:197], v[4:5], v[192:193]
	scratch_store_dwordx4 off, v[194:197], off offset:784
.LBB124_145:
	s_or_b64 exec, exec, s[4:5]
	scratch_load_dwordx4 v[2:5], v144, off
	v_cmp_lt_u32_e64 s[0:1], 48, v0
	s_waitcnt vmcnt(0)
	ds_write_b128 v9, v[2:5]
	s_waitcnt lgkmcnt(0)
	; wave barrier
	s_waitcnt lgkmcnt(0)
	s_and_saveexec_b64 s[4:5], s[0:1]
	s_cbranch_execz .LBB124_159
; %bb.146:
	ds_read_b128 v[2:5], v9
	s_andn2_b64 vcc, exec, s[6:7]
	s_cbranch_vccnz .LBB124_148
; %bb.147:
	scratch_load_dwordx4 v[192:195], v8, off
	s_waitcnt vmcnt(0) lgkmcnt(0)
	v_mul_f64 v[10:11], v[2:3], v[194:195]
	v_mul_f64 v[6:7], v[4:5], v[194:195]
	v_fmac_f64_e32 v[10:11], v[4:5], v[192:193]
	v_fma_f64 v[2:3], v[2:3], v[192:193], -v[6:7]
	v_mov_b64_e32 v[4:5], v[10:11]
.LBB124_148:
	s_and_saveexec_b64 s[8:9], s[2:3]
	s_cbranch_execz .LBB124_158
; %bb.149:
	v_subrev_u32_e32 v7, 50, v0
	v_subrev_u32_e32 v6, 49, v0
	v_cmp_lt_u32_e32 vcc, 6, v7
	v_mov_b32_e32 v193, 49
	s_and_saveexec_b64 s[2:3], vcc
	s_cbranch_execz .LBB124_153
; %bb.150:
	v_and_b32_e32 v7, -8, v6
	s_mov_b32 s12, 0
	s_mov_b64 s[10:11], 0
	v_mov_b32_e32 v192, 0
	s_mov_b32 s13, 0
.LBB124_151:                            ; =>This Inner Loop Header: Depth=1
	v_readfirstlane_b32 s14, v192
	s_add_i32 s14, s14, s12
	s_add_i32 s15, s14, 0x310
	v_mov_b32_e32 v49, s12
	ds_read_b128 v[194:197], v49 offset:1760
	ds_read_b128 v[198:201], v49 offset:1776
	ds_read_b128 v[202:205], v49 offset:1792
	ds_read_b128 v[206:209], v49 offset:1808
	scratch_load_dwordx4 v[210:213], off, s15
	s_add_i32 s15, s14, 0x320
	s_addk_i32 s12, 0x80
	s_waitcnt vmcnt(0) lgkmcnt(3)
	v_mul_f64 v[10:11], v[196:197], v[212:213]
	v_mul_f64 v[52:53], v[194:195], v[212:213]
	v_fma_f64 v[10:11], v[194:195], v[210:211], -v[10:11]
	v_fmac_f64_e32 v[52:53], v[196:197], v[210:211]
	v_add_f64 v[10:11], v[2:3], v[10:11]
	v_add_f64 v[52:53], v[4:5], v[52:53]
	scratch_load_dwordx4 v[2:5], off, s15
	s_add_i32 s15, s14, 0x330
	s_waitcnt vmcnt(0) lgkmcnt(2)
	v_mul_f64 v[194:195], v[200:201], v[4:5]
	v_mul_f64 v[4:5], v[198:199], v[4:5]
	v_fmac_f64_e32 v[4:5], v[200:201], v[2:3]
	v_fma_f64 v[194:195], v[198:199], v[2:3], -v[194:195]
	v_add_f64 v[52:53], v[52:53], v[4:5]
	scratch_load_dwordx4 v[2:5], off, s15
	v_add_f64 v[10:11], v[10:11], v[194:195]
	s_add_i32 s15, s14, 0x340
	s_waitcnt vmcnt(0) lgkmcnt(1)
	v_mul_f64 v[194:195], v[204:205], v[4:5]
	v_mul_f64 v[4:5], v[202:203], v[4:5]
	v_fmac_f64_e32 v[4:5], v[204:205], v[2:3]
	v_fma_f64 v[194:195], v[202:203], v[2:3], -v[194:195]
	v_add_f64 v[52:53], v[52:53], v[4:5]
	scratch_load_dwordx4 v[2:5], off, s15
	v_add_f64 v[10:11], v[10:11], v[194:195]
	s_add_i32 s15, s14, 0x350
	s_waitcnt vmcnt(0) lgkmcnt(0)
	v_mul_f64 v[194:195], v[208:209], v[4:5]
	v_fma_f64 v[194:195], v[206:207], v[2:3], -v[194:195]
	v_add_f64 v[10:11], v[10:11], v[194:195]
	scratch_load_dwordx4 v[194:197], off, s15
	v_mul_f64 v[4:5], v[206:207], v[4:5]
	v_fmac_f64_e32 v[4:5], v[208:209], v[2:3]
	v_add_f64 v[52:53], v[52:53], v[4:5]
	ds_read_b128 v[2:5], v49 offset:1824
	s_add_i32 s15, s14, 0x360
	s_waitcnt vmcnt(0) lgkmcnt(0)
	v_mul_f64 v[198:199], v[4:5], v[196:197]
	v_fma_f64 v[198:199], v[2:3], v[194:195], -v[198:199]
	v_mul_f64 v[2:3], v[2:3], v[196:197]
	v_fmac_f64_e32 v[2:3], v[4:5], v[194:195]
	scratch_load_dwordx4 v[194:197], off, s15
	v_add_f64 v[52:53], v[52:53], v[2:3]
	ds_read_b128 v[2:5], v49 offset:1840
	v_add_f64 v[10:11], v[10:11], v[198:199]
	s_add_i32 s15, s14, 0x370
	s_addk_i32 s14, 0x380
	s_waitcnt vmcnt(0) lgkmcnt(0)
	v_mul_f64 v[198:199], v[4:5], v[196:197]
	v_fma_f64 v[198:199], v[2:3], v[194:195], -v[198:199]
	v_mul_f64 v[2:3], v[2:3], v[196:197]
	v_fmac_f64_e32 v[2:3], v[4:5], v[194:195]
	scratch_load_dwordx4 v[194:197], off, s15
	v_add_f64 v[52:53], v[52:53], v[2:3]
	ds_read_b128 v[2:5], v49 offset:1856
	v_add_f64 v[10:11], v[10:11], v[198:199]
	s_waitcnt vmcnt(0) lgkmcnt(0)
	v_mul_f64 v[198:199], v[4:5], v[196:197]
	v_fma_f64 v[198:199], v[2:3], v[194:195], -v[198:199]
	v_mul_f64 v[2:3], v[2:3], v[196:197]
	v_fmac_f64_e32 v[2:3], v[4:5], v[194:195]
	scratch_load_dwordx4 v[194:197], off, s14
	v_add_f64 v[52:53], v[52:53], v[2:3]
	ds_read_b128 v[2:5], v49 offset:1872
	v_add_f64 v[10:11], v[10:11], v[198:199]
	s_add_i32 s14, s13, 8
	v_cmp_eq_u32_e32 vcc, s14, v7
	s_add_i32 s13, s13, 57
	s_or_b64 s[10:11], vcc, s[10:11]
	v_mov_b32_e32 v193, s13
	s_mov_b32 s13, s14
	s_waitcnt vmcnt(0) lgkmcnt(0)
	v_mul_f64 v[198:199], v[4:5], v[196:197]
	v_mul_f64 v[196:197], v[2:3], v[196:197]
	v_fma_f64 v[198:199], v[2:3], v[194:195], -v[198:199]
	v_fmac_f64_e32 v[196:197], v[4:5], v[194:195]
	v_add_f64 v[2:3], v[10:11], v[198:199]
	v_add_f64 v[4:5], v[52:53], v[196:197]
	s_andn2_b64 exec, exec, s[10:11]
	s_cbranch_execnz .LBB124_151
; %bb.152:
	s_or_b64 exec, exec, s[10:11]
.LBB124_153:
	s_or_b64 exec, exec, s[2:3]
	v_and_b32_e32 v6, 7, v6
	v_cmp_ne_u32_e32 vcc, 0, v6
	s_and_saveexec_b64 s[2:3], vcc
	s_cbranch_execz .LBB124_157
; %bb.154:
	v_lshlrev_b32_e32 v10, 4, v193
	v_add_u32_e32 v7, 0x3d0, v10
	v_add_u32_e32 v192, 0, v10
	s_mov_b64 s[10:11], 0
.LBB124_155:                            ; =>This Inner Loop Header: Depth=1
	scratch_load_dwordx4 v[194:197], v192, off
	ds_read_b128 v[198:201], v7
	v_add_u32_e32 v6, -1, v6
	v_cmp_eq_u32_e32 vcc, 0, v6
	v_add_u32_e32 v7, 16, v7
	v_add_u32_e32 v192, 16, v192
	s_or_b64 s[10:11], vcc, s[10:11]
	s_waitcnt vmcnt(0) lgkmcnt(0)
	v_mul_f64 v[10:11], v[200:201], v[196:197]
	v_mul_f64 v[52:53], v[198:199], v[196:197]
	v_fma_f64 v[10:11], v[198:199], v[194:195], -v[10:11]
	v_fmac_f64_e32 v[52:53], v[200:201], v[194:195]
	v_add_f64 v[2:3], v[2:3], v[10:11]
	v_add_f64 v[4:5], v[4:5], v[52:53]
	s_andn2_b64 exec, exec, s[10:11]
	s_cbranch_execnz .LBB124_155
; %bb.156:
	s_or_b64 exec, exec, s[10:11]
.LBB124_157:
	s_or_b64 exec, exec, s[2:3]
.LBB124_158:
	s_or_b64 exec, exec, s[8:9]
	v_mov_b32_e32 v6, 0
	ds_read_b128 v[192:195], v6 offset:768
	s_waitcnt lgkmcnt(0)
	v_mul_f64 v[6:7], v[4:5], v[194:195]
	v_mul_f64 v[196:197], v[2:3], v[194:195]
	v_fma_f64 v[194:195], v[2:3], v[192:193], -v[6:7]
	v_fmac_f64_e32 v[196:197], v[4:5], v[192:193]
	scratch_store_dwordx4 off, v[194:197], off offset:768
.LBB124_159:
	s_or_b64 exec, exec, s[4:5]
	scratch_load_dwordx4 v[2:5], v145, off
	v_cmp_lt_u32_e64 s[2:3], 47, v0
	s_waitcnt vmcnt(0)
	ds_write_b128 v9, v[2:5]
	s_waitcnt lgkmcnt(0)
	; wave barrier
	s_waitcnt lgkmcnt(0)
	s_and_saveexec_b64 s[4:5], s[2:3]
	s_cbranch_execz .LBB124_173
; %bb.160:
	ds_read_b128 v[2:5], v9
	s_andn2_b64 vcc, exec, s[6:7]
	s_cbranch_vccnz .LBB124_162
; %bb.161:
	scratch_load_dwordx4 v[192:195], v8, off
	s_waitcnt vmcnt(0) lgkmcnt(0)
	v_mul_f64 v[10:11], v[2:3], v[194:195]
	v_mul_f64 v[6:7], v[4:5], v[194:195]
	v_fmac_f64_e32 v[10:11], v[4:5], v[192:193]
	v_fma_f64 v[2:3], v[2:3], v[192:193], -v[6:7]
	v_mov_b64_e32 v[4:5], v[10:11]
.LBB124_162:
	s_and_saveexec_b64 s[8:9], s[0:1]
	s_cbranch_execz .LBB124_172
; %bb.163:
	v_subrev_u32_e32 v6, 49, v0
	v_cmp_lt_u32_e32 vcc, 6, v6
	v_mov_b32_e32 v6, 48
	s_and_saveexec_b64 s[0:1], vcc
	s_cbranch_execz .LBB124_167
; %bb.164:
	v_and_b32_e32 v6, 56, v0
	s_mov_b32 s12, 48
	s_mov_b32 s13, 0
	s_mov_b64 s[10:11], 0
	v_mov_b32_e32 v7, 0
.LBB124_165:                            ; =>This Inner Loop Header: Depth=1
	s_nop 0
	v_readfirstlane_b32 s14, v7
	s_add_i32 s14, s14, s13
	s_add_i32 s15, s14, 0x300
	v_mov_b32_e32 v49, s13
	ds_read_b128 v[192:195], v49 offset:1744
	ds_read_b128 v[196:199], v49 offset:1760
	;; [unrolled: 1-line block ×4, first 2 shown]
	scratch_load_dwordx4 v[208:211], off, s15
	s_add_i32 s15, s14, 0x310
	s_add_i32 s12, s12, 8
	s_addk_i32 s13, 0x80
	v_cmp_eq_u32_e32 vcc, s12, v6
	s_waitcnt vmcnt(0) lgkmcnt(3)
	v_mul_f64 v[10:11], v[194:195], v[210:211]
	v_mul_f64 v[52:53], v[192:193], v[210:211]
	v_fma_f64 v[10:11], v[192:193], v[208:209], -v[10:11]
	v_fmac_f64_e32 v[52:53], v[194:195], v[208:209]
	v_add_f64 v[10:11], v[2:3], v[10:11]
	v_add_f64 v[52:53], v[4:5], v[52:53]
	scratch_load_dwordx4 v[2:5], off, s15
	s_add_i32 s15, s14, 0x320
	s_waitcnt vmcnt(0) lgkmcnt(2)
	v_mul_f64 v[192:193], v[198:199], v[4:5]
	v_mul_f64 v[4:5], v[196:197], v[4:5]
	v_fmac_f64_e32 v[4:5], v[198:199], v[2:3]
	v_fma_f64 v[192:193], v[196:197], v[2:3], -v[192:193]
	v_add_f64 v[52:53], v[52:53], v[4:5]
	scratch_load_dwordx4 v[2:5], off, s15
	v_add_f64 v[10:11], v[10:11], v[192:193]
	s_add_i32 s15, s14, 0x330
	s_waitcnt vmcnt(0) lgkmcnt(1)
	v_mul_f64 v[192:193], v[202:203], v[4:5]
	v_mul_f64 v[4:5], v[200:201], v[4:5]
	v_fmac_f64_e32 v[4:5], v[202:203], v[2:3]
	v_fma_f64 v[192:193], v[200:201], v[2:3], -v[192:193]
	v_add_f64 v[52:53], v[52:53], v[4:5]
	scratch_load_dwordx4 v[2:5], off, s15
	v_add_f64 v[10:11], v[10:11], v[192:193]
	s_add_i32 s15, s14, 0x340
	s_waitcnt vmcnt(0) lgkmcnt(0)
	v_mul_f64 v[192:193], v[206:207], v[4:5]
	v_fma_f64 v[192:193], v[204:205], v[2:3], -v[192:193]
	v_add_f64 v[10:11], v[10:11], v[192:193]
	scratch_load_dwordx4 v[192:195], off, s15
	v_mul_f64 v[4:5], v[204:205], v[4:5]
	v_fmac_f64_e32 v[4:5], v[206:207], v[2:3]
	v_add_f64 v[52:53], v[52:53], v[4:5]
	ds_read_b128 v[2:5], v49 offset:1808
	s_add_i32 s15, s14, 0x350
	s_waitcnt vmcnt(0) lgkmcnt(0)
	v_mul_f64 v[196:197], v[4:5], v[194:195]
	v_fma_f64 v[196:197], v[2:3], v[192:193], -v[196:197]
	v_mul_f64 v[2:3], v[2:3], v[194:195]
	v_fmac_f64_e32 v[2:3], v[4:5], v[192:193]
	scratch_load_dwordx4 v[192:195], off, s15
	v_add_f64 v[52:53], v[52:53], v[2:3]
	ds_read_b128 v[2:5], v49 offset:1824
	v_add_f64 v[10:11], v[10:11], v[196:197]
	s_add_i32 s15, s14, 0x360
	s_addk_i32 s14, 0x370
	s_or_b64 s[10:11], vcc, s[10:11]
	s_waitcnt vmcnt(0) lgkmcnt(0)
	v_mul_f64 v[196:197], v[4:5], v[194:195]
	v_fma_f64 v[196:197], v[2:3], v[192:193], -v[196:197]
	v_mul_f64 v[2:3], v[2:3], v[194:195]
	v_fmac_f64_e32 v[2:3], v[4:5], v[192:193]
	scratch_load_dwordx4 v[192:195], off, s15
	v_add_f64 v[52:53], v[52:53], v[2:3]
	ds_read_b128 v[2:5], v49 offset:1840
	v_add_f64 v[10:11], v[10:11], v[196:197]
	s_waitcnt vmcnt(0) lgkmcnt(0)
	v_mul_f64 v[196:197], v[4:5], v[194:195]
	v_fma_f64 v[196:197], v[2:3], v[192:193], -v[196:197]
	v_mul_f64 v[2:3], v[2:3], v[194:195]
	v_fmac_f64_e32 v[2:3], v[4:5], v[192:193]
	scratch_load_dwordx4 v[192:195], off, s14
	v_add_f64 v[52:53], v[52:53], v[2:3]
	ds_read_b128 v[2:5], v49 offset:1856
	v_add_f64 v[10:11], v[10:11], v[196:197]
	s_waitcnt vmcnt(0) lgkmcnt(0)
	v_mul_f64 v[196:197], v[4:5], v[194:195]
	v_mul_f64 v[194:195], v[2:3], v[194:195]
	v_fma_f64 v[196:197], v[2:3], v[192:193], -v[196:197]
	v_fmac_f64_e32 v[194:195], v[4:5], v[192:193]
	v_add_f64 v[2:3], v[10:11], v[196:197]
	v_add_f64 v[4:5], v[52:53], v[194:195]
	s_andn2_b64 exec, exec, s[10:11]
	s_cbranch_execnz .LBB124_165
; %bb.166:
	s_or_b64 exec, exec, s[10:11]
.LBB124_167:
	s_or_b64 exec, exec, s[0:1]
	v_and_b32_e32 v7, 7, v0
	v_cmp_ne_u32_e32 vcc, 0, v7
	s_and_saveexec_b64 s[0:1], vcc
	s_cbranch_execz .LBB124_171
; %bb.168:
	v_lshlrev_b32_e32 v10, 4, v6
	v_add_u32_e32 v6, 0x3d0, v10
	v_add_u32_e32 v192, 0, v10
	s_mov_b64 s[10:11], 0
.LBB124_169:                            ; =>This Inner Loop Header: Depth=1
	scratch_load_dwordx4 v[194:197], v192, off
	ds_read_b128 v[198:201], v6
	v_add_u32_e32 v7, -1, v7
	v_cmp_eq_u32_e32 vcc, 0, v7
	v_add_u32_e32 v6, 16, v6
	v_add_u32_e32 v192, 16, v192
	s_or_b64 s[10:11], vcc, s[10:11]
	s_waitcnt vmcnt(0) lgkmcnt(0)
	v_mul_f64 v[10:11], v[200:201], v[196:197]
	v_mul_f64 v[52:53], v[198:199], v[196:197]
	v_fma_f64 v[10:11], v[198:199], v[194:195], -v[10:11]
	v_fmac_f64_e32 v[52:53], v[200:201], v[194:195]
	v_add_f64 v[2:3], v[2:3], v[10:11]
	v_add_f64 v[4:5], v[4:5], v[52:53]
	s_andn2_b64 exec, exec, s[10:11]
	s_cbranch_execnz .LBB124_169
; %bb.170:
	s_or_b64 exec, exec, s[10:11]
.LBB124_171:
	s_or_b64 exec, exec, s[0:1]
.LBB124_172:
	s_or_b64 exec, exec, s[8:9]
	v_mov_b32_e32 v6, 0
	ds_read_b128 v[192:195], v6 offset:752
	s_waitcnt lgkmcnt(0)
	v_mul_f64 v[6:7], v[4:5], v[194:195]
	v_mul_f64 v[196:197], v[2:3], v[194:195]
	v_fma_f64 v[194:195], v[2:3], v[192:193], -v[6:7]
	v_fmac_f64_e32 v[196:197], v[4:5], v[192:193]
	scratch_store_dwordx4 off, v[194:197], off offset:752
.LBB124_173:
	s_or_b64 exec, exec, s[4:5]
	scratch_load_dwordx4 v[2:5], v146, off
	v_cmp_lt_u32_e64 s[0:1], 46, v0
	s_waitcnt vmcnt(0)
	ds_write_b128 v9, v[2:5]
	s_waitcnt lgkmcnt(0)
	; wave barrier
	s_waitcnt lgkmcnt(0)
	s_and_saveexec_b64 s[4:5], s[0:1]
	s_cbranch_execz .LBB124_187
; %bb.174:
	ds_read_b128 v[2:5], v9
	s_andn2_b64 vcc, exec, s[6:7]
	s_cbranch_vccnz .LBB124_176
; %bb.175:
	scratch_load_dwordx4 v[192:195], v8, off
	s_waitcnt vmcnt(0) lgkmcnt(0)
	v_mul_f64 v[10:11], v[2:3], v[194:195]
	v_mul_f64 v[6:7], v[4:5], v[194:195]
	v_fmac_f64_e32 v[10:11], v[4:5], v[192:193]
	v_fma_f64 v[2:3], v[2:3], v[192:193], -v[6:7]
	v_mov_b64_e32 v[4:5], v[10:11]
.LBB124_176:
	s_and_saveexec_b64 s[8:9], s[2:3]
	s_cbranch_execz .LBB124_186
; %bb.177:
	v_subrev_u32_e32 v7, 48, v0
	v_subrev_u32_e32 v6, 47, v0
	v_cmp_lt_u32_e32 vcc, 6, v7
	v_mov_b32_e32 v193, 47
	s_and_saveexec_b64 s[2:3], vcc
	s_cbranch_execz .LBB124_181
; %bb.178:
	v_and_b32_e32 v7, -8, v6
	s_mov_b32 s12, 0
	s_mov_b64 s[10:11], 0
	v_mov_b32_e32 v192, 0
	s_mov_b32 s13, 0
.LBB124_179:                            ; =>This Inner Loop Header: Depth=1
	v_readfirstlane_b32 s14, v192
	s_add_i32 s14, s14, s12
	s_add_i32 s15, s14, 0x2f0
	v_mov_b32_e32 v49, s12
	ds_read_b128 v[194:197], v49 offset:1728
	ds_read_b128 v[198:201], v49 offset:1744
	;; [unrolled: 1-line block ×4, first 2 shown]
	scratch_load_dwordx4 v[210:213], off, s15
	s_add_i32 s15, s14, 0x300
	s_addk_i32 s12, 0x80
	s_waitcnt vmcnt(0) lgkmcnt(3)
	v_mul_f64 v[10:11], v[196:197], v[212:213]
	v_mul_f64 v[52:53], v[194:195], v[212:213]
	v_fma_f64 v[10:11], v[194:195], v[210:211], -v[10:11]
	v_fmac_f64_e32 v[52:53], v[196:197], v[210:211]
	v_add_f64 v[10:11], v[2:3], v[10:11]
	v_add_f64 v[52:53], v[4:5], v[52:53]
	scratch_load_dwordx4 v[2:5], off, s15
	s_add_i32 s15, s14, 0x310
	s_waitcnt vmcnt(0) lgkmcnt(2)
	v_mul_f64 v[194:195], v[200:201], v[4:5]
	v_mul_f64 v[4:5], v[198:199], v[4:5]
	v_fmac_f64_e32 v[4:5], v[200:201], v[2:3]
	v_fma_f64 v[194:195], v[198:199], v[2:3], -v[194:195]
	v_add_f64 v[52:53], v[52:53], v[4:5]
	scratch_load_dwordx4 v[2:5], off, s15
	v_add_f64 v[10:11], v[10:11], v[194:195]
	s_add_i32 s15, s14, 0x320
	s_waitcnt vmcnt(0) lgkmcnt(1)
	v_mul_f64 v[194:195], v[204:205], v[4:5]
	v_mul_f64 v[4:5], v[202:203], v[4:5]
	v_fmac_f64_e32 v[4:5], v[204:205], v[2:3]
	v_fma_f64 v[194:195], v[202:203], v[2:3], -v[194:195]
	v_add_f64 v[52:53], v[52:53], v[4:5]
	scratch_load_dwordx4 v[2:5], off, s15
	v_add_f64 v[10:11], v[10:11], v[194:195]
	s_add_i32 s15, s14, 0x330
	s_waitcnt vmcnt(0) lgkmcnt(0)
	v_mul_f64 v[194:195], v[208:209], v[4:5]
	v_fma_f64 v[194:195], v[206:207], v[2:3], -v[194:195]
	v_add_f64 v[10:11], v[10:11], v[194:195]
	scratch_load_dwordx4 v[194:197], off, s15
	v_mul_f64 v[4:5], v[206:207], v[4:5]
	v_fmac_f64_e32 v[4:5], v[208:209], v[2:3]
	v_add_f64 v[52:53], v[52:53], v[4:5]
	ds_read_b128 v[2:5], v49 offset:1792
	s_add_i32 s15, s14, 0x340
	s_waitcnt vmcnt(0) lgkmcnt(0)
	v_mul_f64 v[198:199], v[4:5], v[196:197]
	v_fma_f64 v[198:199], v[2:3], v[194:195], -v[198:199]
	v_mul_f64 v[2:3], v[2:3], v[196:197]
	v_fmac_f64_e32 v[2:3], v[4:5], v[194:195]
	scratch_load_dwordx4 v[194:197], off, s15
	v_add_f64 v[52:53], v[52:53], v[2:3]
	ds_read_b128 v[2:5], v49 offset:1808
	v_add_f64 v[10:11], v[10:11], v[198:199]
	s_add_i32 s15, s14, 0x350
	s_addk_i32 s14, 0x360
	s_waitcnt vmcnt(0) lgkmcnt(0)
	v_mul_f64 v[198:199], v[4:5], v[196:197]
	v_fma_f64 v[198:199], v[2:3], v[194:195], -v[198:199]
	v_mul_f64 v[2:3], v[2:3], v[196:197]
	v_fmac_f64_e32 v[2:3], v[4:5], v[194:195]
	scratch_load_dwordx4 v[194:197], off, s15
	v_add_f64 v[52:53], v[52:53], v[2:3]
	ds_read_b128 v[2:5], v49 offset:1824
	v_add_f64 v[10:11], v[10:11], v[198:199]
	s_waitcnt vmcnt(0) lgkmcnt(0)
	v_mul_f64 v[198:199], v[4:5], v[196:197]
	v_fma_f64 v[198:199], v[2:3], v[194:195], -v[198:199]
	v_mul_f64 v[2:3], v[2:3], v[196:197]
	v_fmac_f64_e32 v[2:3], v[4:5], v[194:195]
	scratch_load_dwordx4 v[194:197], off, s14
	v_add_f64 v[52:53], v[52:53], v[2:3]
	ds_read_b128 v[2:5], v49 offset:1840
	v_add_f64 v[10:11], v[10:11], v[198:199]
	s_add_i32 s14, s13, 8
	v_cmp_eq_u32_e32 vcc, s14, v7
	s_add_i32 s13, s13, 55
	s_or_b64 s[10:11], vcc, s[10:11]
	v_mov_b32_e32 v193, s13
	s_mov_b32 s13, s14
	s_waitcnt vmcnt(0) lgkmcnt(0)
	v_mul_f64 v[198:199], v[4:5], v[196:197]
	v_mul_f64 v[196:197], v[2:3], v[196:197]
	v_fma_f64 v[198:199], v[2:3], v[194:195], -v[198:199]
	v_fmac_f64_e32 v[196:197], v[4:5], v[194:195]
	v_add_f64 v[2:3], v[10:11], v[198:199]
	v_add_f64 v[4:5], v[52:53], v[196:197]
	s_andn2_b64 exec, exec, s[10:11]
	s_cbranch_execnz .LBB124_179
; %bb.180:
	s_or_b64 exec, exec, s[10:11]
.LBB124_181:
	s_or_b64 exec, exec, s[2:3]
	v_and_b32_e32 v6, 7, v6
	v_cmp_ne_u32_e32 vcc, 0, v6
	s_and_saveexec_b64 s[2:3], vcc
	s_cbranch_execz .LBB124_185
; %bb.182:
	v_lshlrev_b32_e32 v10, 4, v193
	v_add_u32_e32 v7, 0x3d0, v10
	v_add_u32_e32 v192, 0, v10
	s_mov_b64 s[10:11], 0
.LBB124_183:                            ; =>This Inner Loop Header: Depth=1
	scratch_load_dwordx4 v[194:197], v192, off
	ds_read_b128 v[198:201], v7
	v_add_u32_e32 v6, -1, v6
	v_cmp_eq_u32_e32 vcc, 0, v6
	v_add_u32_e32 v7, 16, v7
	v_add_u32_e32 v192, 16, v192
	s_or_b64 s[10:11], vcc, s[10:11]
	s_waitcnt vmcnt(0) lgkmcnt(0)
	v_mul_f64 v[10:11], v[200:201], v[196:197]
	v_mul_f64 v[52:53], v[198:199], v[196:197]
	v_fma_f64 v[10:11], v[198:199], v[194:195], -v[10:11]
	v_fmac_f64_e32 v[52:53], v[200:201], v[194:195]
	v_add_f64 v[2:3], v[2:3], v[10:11]
	v_add_f64 v[4:5], v[4:5], v[52:53]
	s_andn2_b64 exec, exec, s[10:11]
	s_cbranch_execnz .LBB124_183
; %bb.184:
	s_or_b64 exec, exec, s[10:11]
.LBB124_185:
	s_or_b64 exec, exec, s[2:3]
.LBB124_186:
	s_or_b64 exec, exec, s[8:9]
	v_mov_b32_e32 v6, 0
	ds_read_b128 v[192:195], v6 offset:736
	s_waitcnt lgkmcnt(0)
	v_mul_f64 v[6:7], v[4:5], v[194:195]
	v_mul_f64 v[196:197], v[2:3], v[194:195]
	v_fma_f64 v[194:195], v[2:3], v[192:193], -v[6:7]
	v_fmac_f64_e32 v[196:197], v[4:5], v[192:193]
	scratch_store_dwordx4 off, v[194:197], off offset:736
.LBB124_187:
	s_or_b64 exec, exec, s[4:5]
	scratch_load_dwordx4 v[2:5], v147, off
	v_cmp_lt_u32_e64 s[2:3], 45, v0
	s_waitcnt vmcnt(0)
	ds_write_b128 v9, v[2:5]
	s_waitcnt lgkmcnt(0)
	; wave barrier
	s_waitcnt lgkmcnt(0)
	s_and_saveexec_b64 s[4:5], s[2:3]
	s_cbranch_execz .LBB124_201
; %bb.188:
	ds_read_b128 v[2:5], v9
	s_andn2_b64 vcc, exec, s[6:7]
	s_cbranch_vccnz .LBB124_190
; %bb.189:
	scratch_load_dwordx4 v[192:195], v8, off
	s_waitcnt vmcnt(0) lgkmcnt(0)
	v_mul_f64 v[10:11], v[2:3], v[194:195]
	v_mul_f64 v[6:7], v[4:5], v[194:195]
	v_fmac_f64_e32 v[10:11], v[4:5], v[192:193]
	v_fma_f64 v[2:3], v[2:3], v[192:193], -v[6:7]
	v_mov_b64_e32 v[4:5], v[10:11]
.LBB124_190:
	s_and_saveexec_b64 s[8:9], s[0:1]
	s_cbranch_execz .LBB124_200
; %bb.191:
	v_subrev_u32_e32 v7, 47, v0
	v_subrev_u32_e32 v6, 46, v0
	v_cmp_lt_u32_e32 vcc, 6, v7
	v_mov_b32_e32 v193, 46
	s_and_saveexec_b64 s[0:1], vcc
	s_cbranch_execz .LBB124_195
; %bb.192:
	v_and_b32_e32 v7, -8, v6
	s_mov_b32 s12, 0
	s_mov_b64 s[10:11], 0
	v_mov_b32_e32 v192, 0
	s_mov_b32 s13, 0
.LBB124_193:                            ; =>This Inner Loop Header: Depth=1
	v_readfirstlane_b32 s14, v192
	s_add_i32 s14, s14, s12
	s_add_i32 s15, s14, 0x2e0
	v_mov_b32_e32 v49, s12
	ds_read_b128 v[194:197], v49 offset:1712
	ds_read_b128 v[198:201], v49 offset:1728
	;; [unrolled: 1-line block ×4, first 2 shown]
	scratch_load_dwordx4 v[210:213], off, s15
	s_add_i32 s15, s14, 0x2f0
	s_addk_i32 s12, 0x80
	s_waitcnt vmcnt(0) lgkmcnt(3)
	v_mul_f64 v[10:11], v[196:197], v[212:213]
	v_mul_f64 v[52:53], v[194:195], v[212:213]
	v_fma_f64 v[10:11], v[194:195], v[210:211], -v[10:11]
	v_fmac_f64_e32 v[52:53], v[196:197], v[210:211]
	v_add_f64 v[10:11], v[2:3], v[10:11]
	v_add_f64 v[52:53], v[4:5], v[52:53]
	scratch_load_dwordx4 v[2:5], off, s15
	s_add_i32 s15, s14, 0x300
	s_waitcnt vmcnt(0) lgkmcnt(2)
	v_mul_f64 v[194:195], v[200:201], v[4:5]
	v_mul_f64 v[4:5], v[198:199], v[4:5]
	v_fmac_f64_e32 v[4:5], v[200:201], v[2:3]
	v_fma_f64 v[194:195], v[198:199], v[2:3], -v[194:195]
	v_add_f64 v[52:53], v[52:53], v[4:5]
	scratch_load_dwordx4 v[2:5], off, s15
	v_add_f64 v[10:11], v[10:11], v[194:195]
	s_add_i32 s15, s14, 0x310
	s_waitcnt vmcnt(0) lgkmcnt(1)
	v_mul_f64 v[194:195], v[204:205], v[4:5]
	v_mul_f64 v[4:5], v[202:203], v[4:5]
	v_fmac_f64_e32 v[4:5], v[204:205], v[2:3]
	v_fma_f64 v[194:195], v[202:203], v[2:3], -v[194:195]
	v_add_f64 v[52:53], v[52:53], v[4:5]
	scratch_load_dwordx4 v[2:5], off, s15
	v_add_f64 v[10:11], v[10:11], v[194:195]
	s_add_i32 s15, s14, 0x320
	s_waitcnt vmcnt(0) lgkmcnt(0)
	v_mul_f64 v[194:195], v[208:209], v[4:5]
	v_fma_f64 v[194:195], v[206:207], v[2:3], -v[194:195]
	v_add_f64 v[10:11], v[10:11], v[194:195]
	scratch_load_dwordx4 v[194:197], off, s15
	v_mul_f64 v[4:5], v[206:207], v[4:5]
	v_fmac_f64_e32 v[4:5], v[208:209], v[2:3]
	v_add_f64 v[52:53], v[52:53], v[4:5]
	ds_read_b128 v[2:5], v49 offset:1776
	s_add_i32 s15, s14, 0x330
	s_waitcnt vmcnt(0) lgkmcnt(0)
	v_mul_f64 v[198:199], v[4:5], v[196:197]
	v_fma_f64 v[198:199], v[2:3], v[194:195], -v[198:199]
	v_mul_f64 v[2:3], v[2:3], v[196:197]
	v_fmac_f64_e32 v[2:3], v[4:5], v[194:195]
	scratch_load_dwordx4 v[194:197], off, s15
	v_add_f64 v[52:53], v[52:53], v[2:3]
	ds_read_b128 v[2:5], v49 offset:1792
	v_add_f64 v[10:11], v[10:11], v[198:199]
	s_add_i32 s15, s14, 0x340
	s_addk_i32 s14, 0x350
	s_waitcnt vmcnt(0) lgkmcnt(0)
	v_mul_f64 v[198:199], v[4:5], v[196:197]
	v_fma_f64 v[198:199], v[2:3], v[194:195], -v[198:199]
	v_mul_f64 v[2:3], v[2:3], v[196:197]
	v_fmac_f64_e32 v[2:3], v[4:5], v[194:195]
	scratch_load_dwordx4 v[194:197], off, s15
	v_add_f64 v[52:53], v[52:53], v[2:3]
	ds_read_b128 v[2:5], v49 offset:1808
	v_add_f64 v[10:11], v[10:11], v[198:199]
	s_waitcnt vmcnt(0) lgkmcnt(0)
	v_mul_f64 v[198:199], v[4:5], v[196:197]
	v_fma_f64 v[198:199], v[2:3], v[194:195], -v[198:199]
	v_mul_f64 v[2:3], v[2:3], v[196:197]
	v_fmac_f64_e32 v[2:3], v[4:5], v[194:195]
	scratch_load_dwordx4 v[194:197], off, s14
	v_add_f64 v[52:53], v[52:53], v[2:3]
	ds_read_b128 v[2:5], v49 offset:1824
	v_add_f64 v[10:11], v[10:11], v[198:199]
	s_add_i32 s14, s13, 8
	v_cmp_eq_u32_e32 vcc, s14, v7
	s_add_i32 s13, s13, 54
	s_or_b64 s[10:11], vcc, s[10:11]
	v_mov_b32_e32 v193, s13
	s_mov_b32 s13, s14
	s_waitcnt vmcnt(0) lgkmcnt(0)
	v_mul_f64 v[198:199], v[4:5], v[196:197]
	v_mul_f64 v[196:197], v[2:3], v[196:197]
	v_fma_f64 v[198:199], v[2:3], v[194:195], -v[198:199]
	v_fmac_f64_e32 v[196:197], v[4:5], v[194:195]
	v_add_f64 v[2:3], v[10:11], v[198:199]
	v_add_f64 v[4:5], v[52:53], v[196:197]
	s_andn2_b64 exec, exec, s[10:11]
	s_cbranch_execnz .LBB124_193
; %bb.194:
	s_or_b64 exec, exec, s[10:11]
.LBB124_195:
	s_or_b64 exec, exec, s[0:1]
	v_and_b32_e32 v6, 7, v6
	v_cmp_ne_u32_e32 vcc, 0, v6
	s_and_saveexec_b64 s[0:1], vcc
	s_cbranch_execz .LBB124_199
; %bb.196:
	v_lshlrev_b32_e32 v10, 4, v193
	v_add_u32_e32 v7, 0x3d0, v10
	v_add_u32_e32 v192, 0, v10
	s_mov_b64 s[10:11], 0
.LBB124_197:                            ; =>This Inner Loop Header: Depth=1
	scratch_load_dwordx4 v[194:197], v192, off
	ds_read_b128 v[198:201], v7
	v_add_u32_e32 v6, -1, v6
	v_cmp_eq_u32_e32 vcc, 0, v6
	v_add_u32_e32 v7, 16, v7
	v_add_u32_e32 v192, 16, v192
	s_or_b64 s[10:11], vcc, s[10:11]
	s_waitcnt vmcnt(0) lgkmcnt(0)
	v_mul_f64 v[10:11], v[200:201], v[196:197]
	v_mul_f64 v[52:53], v[198:199], v[196:197]
	v_fma_f64 v[10:11], v[198:199], v[194:195], -v[10:11]
	v_fmac_f64_e32 v[52:53], v[200:201], v[194:195]
	v_add_f64 v[2:3], v[2:3], v[10:11]
	v_add_f64 v[4:5], v[4:5], v[52:53]
	s_andn2_b64 exec, exec, s[10:11]
	s_cbranch_execnz .LBB124_197
; %bb.198:
	s_or_b64 exec, exec, s[10:11]
.LBB124_199:
	s_or_b64 exec, exec, s[0:1]
.LBB124_200:
	s_or_b64 exec, exec, s[8:9]
	v_mov_b32_e32 v6, 0
	ds_read_b128 v[192:195], v6 offset:720
	s_waitcnt lgkmcnt(0)
	v_mul_f64 v[6:7], v[4:5], v[194:195]
	v_mul_f64 v[196:197], v[2:3], v[194:195]
	v_fma_f64 v[194:195], v[2:3], v[192:193], -v[6:7]
	v_fmac_f64_e32 v[196:197], v[4:5], v[192:193]
	scratch_store_dwordx4 off, v[194:197], off offset:720
.LBB124_201:
	s_or_b64 exec, exec, s[4:5]
	scratch_load_dwordx4 v[2:5], v148, off
	v_cmp_lt_u32_e64 s[0:1], 44, v0
	s_waitcnt vmcnt(0)
	ds_write_b128 v9, v[2:5]
	s_waitcnt lgkmcnt(0)
	; wave barrier
	s_waitcnt lgkmcnt(0)
	s_and_saveexec_b64 s[4:5], s[0:1]
	s_cbranch_execz .LBB124_215
; %bb.202:
	ds_read_b128 v[2:5], v9
	s_andn2_b64 vcc, exec, s[6:7]
	s_cbranch_vccnz .LBB124_204
; %bb.203:
	scratch_load_dwordx4 v[192:195], v8, off
	s_waitcnt vmcnt(0) lgkmcnt(0)
	v_mul_f64 v[10:11], v[2:3], v[194:195]
	v_mul_f64 v[6:7], v[4:5], v[194:195]
	v_fmac_f64_e32 v[10:11], v[4:5], v[192:193]
	v_fma_f64 v[2:3], v[2:3], v[192:193], -v[6:7]
	v_mov_b64_e32 v[4:5], v[10:11]
.LBB124_204:
	s_and_saveexec_b64 s[8:9], s[2:3]
	s_cbranch_execz .LBB124_214
; %bb.205:
	v_subrev_u32_e32 v7, 46, v0
	v_subrev_u32_e32 v6, 45, v0
	v_cmp_lt_u32_e32 vcc, 6, v7
	v_mov_b32_e32 v193, 45
	s_and_saveexec_b64 s[2:3], vcc
	s_cbranch_execz .LBB124_209
; %bb.206:
	v_and_b32_e32 v7, -8, v6
	s_mov_b32 s12, 0
	s_mov_b64 s[10:11], 0
	v_mov_b32_e32 v192, 0
	s_mov_b32 s13, 0
.LBB124_207:                            ; =>This Inner Loop Header: Depth=1
	v_readfirstlane_b32 s14, v192
	s_add_i32 s14, s14, s12
	s_add_i32 s15, s14, 0x2d0
	v_mov_b32_e32 v49, s12
	ds_read_b128 v[194:197], v49 offset:1696
	ds_read_b128 v[198:201], v49 offset:1712
	;; [unrolled: 1-line block ×4, first 2 shown]
	scratch_load_dwordx4 v[210:213], off, s15
	s_add_i32 s15, s14, 0x2e0
	s_addk_i32 s12, 0x80
	s_waitcnt vmcnt(0) lgkmcnt(3)
	v_mul_f64 v[10:11], v[196:197], v[212:213]
	v_mul_f64 v[52:53], v[194:195], v[212:213]
	v_fma_f64 v[10:11], v[194:195], v[210:211], -v[10:11]
	v_fmac_f64_e32 v[52:53], v[196:197], v[210:211]
	v_add_f64 v[10:11], v[2:3], v[10:11]
	v_add_f64 v[52:53], v[4:5], v[52:53]
	scratch_load_dwordx4 v[2:5], off, s15
	s_add_i32 s15, s14, 0x2f0
	s_waitcnt vmcnt(0) lgkmcnt(2)
	v_mul_f64 v[194:195], v[200:201], v[4:5]
	v_mul_f64 v[4:5], v[198:199], v[4:5]
	v_fmac_f64_e32 v[4:5], v[200:201], v[2:3]
	v_fma_f64 v[194:195], v[198:199], v[2:3], -v[194:195]
	v_add_f64 v[52:53], v[52:53], v[4:5]
	scratch_load_dwordx4 v[2:5], off, s15
	v_add_f64 v[10:11], v[10:11], v[194:195]
	s_add_i32 s15, s14, 0x300
	s_waitcnt vmcnt(0) lgkmcnt(1)
	v_mul_f64 v[194:195], v[204:205], v[4:5]
	v_mul_f64 v[4:5], v[202:203], v[4:5]
	v_fmac_f64_e32 v[4:5], v[204:205], v[2:3]
	v_fma_f64 v[194:195], v[202:203], v[2:3], -v[194:195]
	v_add_f64 v[52:53], v[52:53], v[4:5]
	scratch_load_dwordx4 v[2:5], off, s15
	v_add_f64 v[10:11], v[10:11], v[194:195]
	s_add_i32 s15, s14, 0x310
	s_waitcnt vmcnt(0) lgkmcnt(0)
	v_mul_f64 v[194:195], v[208:209], v[4:5]
	v_fma_f64 v[194:195], v[206:207], v[2:3], -v[194:195]
	v_add_f64 v[10:11], v[10:11], v[194:195]
	scratch_load_dwordx4 v[194:197], off, s15
	v_mul_f64 v[4:5], v[206:207], v[4:5]
	v_fmac_f64_e32 v[4:5], v[208:209], v[2:3]
	v_add_f64 v[52:53], v[52:53], v[4:5]
	ds_read_b128 v[2:5], v49 offset:1760
	s_add_i32 s15, s14, 0x320
	s_waitcnt vmcnt(0) lgkmcnt(0)
	v_mul_f64 v[198:199], v[4:5], v[196:197]
	v_fma_f64 v[198:199], v[2:3], v[194:195], -v[198:199]
	v_mul_f64 v[2:3], v[2:3], v[196:197]
	v_fmac_f64_e32 v[2:3], v[4:5], v[194:195]
	scratch_load_dwordx4 v[194:197], off, s15
	v_add_f64 v[52:53], v[52:53], v[2:3]
	ds_read_b128 v[2:5], v49 offset:1776
	v_add_f64 v[10:11], v[10:11], v[198:199]
	s_add_i32 s15, s14, 0x330
	s_addk_i32 s14, 0x340
	s_waitcnt vmcnt(0) lgkmcnt(0)
	v_mul_f64 v[198:199], v[4:5], v[196:197]
	v_fma_f64 v[198:199], v[2:3], v[194:195], -v[198:199]
	v_mul_f64 v[2:3], v[2:3], v[196:197]
	v_fmac_f64_e32 v[2:3], v[4:5], v[194:195]
	scratch_load_dwordx4 v[194:197], off, s15
	v_add_f64 v[52:53], v[52:53], v[2:3]
	ds_read_b128 v[2:5], v49 offset:1792
	v_add_f64 v[10:11], v[10:11], v[198:199]
	s_waitcnt vmcnt(0) lgkmcnt(0)
	v_mul_f64 v[198:199], v[4:5], v[196:197]
	v_fma_f64 v[198:199], v[2:3], v[194:195], -v[198:199]
	v_mul_f64 v[2:3], v[2:3], v[196:197]
	v_fmac_f64_e32 v[2:3], v[4:5], v[194:195]
	scratch_load_dwordx4 v[194:197], off, s14
	v_add_f64 v[52:53], v[52:53], v[2:3]
	ds_read_b128 v[2:5], v49 offset:1808
	v_add_f64 v[10:11], v[10:11], v[198:199]
	s_add_i32 s14, s13, 8
	v_cmp_eq_u32_e32 vcc, s14, v7
	s_add_i32 s13, s13, 53
	s_or_b64 s[10:11], vcc, s[10:11]
	v_mov_b32_e32 v193, s13
	s_mov_b32 s13, s14
	s_waitcnt vmcnt(0) lgkmcnt(0)
	v_mul_f64 v[198:199], v[4:5], v[196:197]
	v_mul_f64 v[196:197], v[2:3], v[196:197]
	v_fma_f64 v[198:199], v[2:3], v[194:195], -v[198:199]
	v_fmac_f64_e32 v[196:197], v[4:5], v[194:195]
	v_add_f64 v[2:3], v[10:11], v[198:199]
	v_add_f64 v[4:5], v[52:53], v[196:197]
	s_andn2_b64 exec, exec, s[10:11]
	s_cbranch_execnz .LBB124_207
; %bb.208:
	s_or_b64 exec, exec, s[10:11]
.LBB124_209:
	s_or_b64 exec, exec, s[2:3]
	v_and_b32_e32 v6, 7, v6
	v_cmp_ne_u32_e32 vcc, 0, v6
	s_and_saveexec_b64 s[2:3], vcc
	s_cbranch_execz .LBB124_213
; %bb.210:
	v_lshlrev_b32_e32 v10, 4, v193
	v_add_u32_e32 v7, 0x3d0, v10
	v_add_u32_e32 v192, 0, v10
	s_mov_b64 s[10:11], 0
.LBB124_211:                            ; =>This Inner Loop Header: Depth=1
	scratch_load_dwordx4 v[194:197], v192, off
	ds_read_b128 v[198:201], v7
	v_add_u32_e32 v6, -1, v6
	v_cmp_eq_u32_e32 vcc, 0, v6
	v_add_u32_e32 v7, 16, v7
	v_add_u32_e32 v192, 16, v192
	s_or_b64 s[10:11], vcc, s[10:11]
	s_waitcnt vmcnt(0) lgkmcnt(0)
	v_mul_f64 v[10:11], v[200:201], v[196:197]
	v_mul_f64 v[52:53], v[198:199], v[196:197]
	v_fma_f64 v[10:11], v[198:199], v[194:195], -v[10:11]
	v_fmac_f64_e32 v[52:53], v[200:201], v[194:195]
	v_add_f64 v[2:3], v[2:3], v[10:11]
	v_add_f64 v[4:5], v[4:5], v[52:53]
	s_andn2_b64 exec, exec, s[10:11]
	s_cbranch_execnz .LBB124_211
; %bb.212:
	s_or_b64 exec, exec, s[10:11]
.LBB124_213:
	s_or_b64 exec, exec, s[2:3]
.LBB124_214:
	s_or_b64 exec, exec, s[8:9]
	v_mov_b32_e32 v6, 0
	ds_read_b128 v[192:195], v6 offset:704
	s_waitcnt lgkmcnt(0)
	v_mul_f64 v[6:7], v[4:5], v[194:195]
	v_mul_f64 v[196:197], v[2:3], v[194:195]
	v_fma_f64 v[194:195], v[2:3], v[192:193], -v[6:7]
	v_fmac_f64_e32 v[196:197], v[4:5], v[192:193]
	scratch_store_dwordx4 off, v[194:197], off offset:704
.LBB124_215:
	s_or_b64 exec, exec, s[4:5]
	scratch_load_dwordx4 v[2:5], v149, off
	v_cmp_lt_u32_e64 s[2:3], 43, v0
	s_waitcnt vmcnt(0)
	ds_write_b128 v9, v[2:5]
	s_waitcnt lgkmcnt(0)
	; wave barrier
	s_waitcnt lgkmcnt(0)
	s_and_saveexec_b64 s[4:5], s[2:3]
	s_cbranch_execz .LBB124_229
; %bb.216:
	ds_read_b128 v[2:5], v9
	s_andn2_b64 vcc, exec, s[6:7]
	s_cbranch_vccnz .LBB124_218
; %bb.217:
	scratch_load_dwordx4 v[192:195], v8, off
	s_waitcnt vmcnt(0) lgkmcnt(0)
	v_mul_f64 v[10:11], v[2:3], v[194:195]
	v_mul_f64 v[6:7], v[4:5], v[194:195]
	v_fmac_f64_e32 v[10:11], v[4:5], v[192:193]
	v_fma_f64 v[2:3], v[2:3], v[192:193], -v[6:7]
	v_mov_b64_e32 v[4:5], v[10:11]
.LBB124_218:
	s_and_saveexec_b64 s[8:9], s[0:1]
	s_cbranch_execz .LBB124_228
; %bb.219:
	v_subrev_u32_e32 v7, 45, v0
	v_subrev_u32_e32 v6, 44, v0
	v_cmp_lt_u32_e32 vcc, 6, v7
	v_mov_b32_e32 v193, 44
	s_and_saveexec_b64 s[0:1], vcc
	s_cbranch_execz .LBB124_223
; %bb.220:
	v_and_b32_e32 v7, -8, v6
	s_mov_b32 s12, 0
	s_mov_b64 s[10:11], 0
	v_mov_b32_e32 v192, 0
	s_mov_b32 s13, 0
.LBB124_221:                            ; =>This Inner Loop Header: Depth=1
	v_readfirstlane_b32 s14, v192
	s_add_i32 s14, s14, s12
	s_add_i32 s15, s14, 0x2c0
	v_mov_b32_e32 v49, s12
	ds_read_b128 v[194:197], v49 offset:1680
	ds_read_b128 v[198:201], v49 offset:1696
	;; [unrolled: 1-line block ×4, first 2 shown]
	scratch_load_dwordx4 v[210:213], off, s15
	s_add_i32 s15, s14, 0x2d0
	s_addk_i32 s12, 0x80
	s_waitcnt vmcnt(0) lgkmcnt(3)
	v_mul_f64 v[10:11], v[196:197], v[212:213]
	v_mul_f64 v[52:53], v[194:195], v[212:213]
	v_fma_f64 v[10:11], v[194:195], v[210:211], -v[10:11]
	v_fmac_f64_e32 v[52:53], v[196:197], v[210:211]
	v_add_f64 v[10:11], v[2:3], v[10:11]
	v_add_f64 v[52:53], v[4:5], v[52:53]
	scratch_load_dwordx4 v[2:5], off, s15
	s_add_i32 s15, s14, 0x2e0
	s_waitcnt vmcnt(0) lgkmcnt(2)
	v_mul_f64 v[194:195], v[200:201], v[4:5]
	v_mul_f64 v[4:5], v[198:199], v[4:5]
	v_fmac_f64_e32 v[4:5], v[200:201], v[2:3]
	v_fma_f64 v[194:195], v[198:199], v[2:3], -v[194:195]
	v_add_f64 v[52:53], v[52:53], v[4:5]
	scratch_load_dwordx4 v[2:5], off, s15
	v_add_f64 v[10:11], v[10:11], v[194:195]
	s_add_i32 s15, s14, 0x2f0
	s_waitcnt vmcnt(0) lgkmcnt(1)
	v_mul_f64 v[194:195], v[204:205], v[4:5]
	v_mul_f64 v[4:5], v[202:203], v[4:5]
	v_fmac_f64_e32 v[4:5], v[204:205], v[2:3]
	v_fma_f64 v[194:195], v[202:203], v[2:3], -v[194:195]
	v_add_f64 v[52:53], v[52:53], v[4:5]
	scratch_load_dwordx4 v[2:5], off, s15
	v_add_f64 v[10:11], v[10:11], v[194:195]
	s_add_i32 s15, s14, 0x300
	s_waitcnt vmcnt(0) lgkmcnt(0)
	v_mul_f64 v[194:195], v[208:209], v[4:5]
	v_fma_f64 v[194:195], v[206:207], v[2:3], -v[194:195]
	v_add_f64 v[10:11], v[10:11], v[194:195]
	scratch_load_dwordx4 v[194:197], off, s15
	v_mul_f64 v[4:5], v[206:207], v[4:5]
	v_fmac_f64_e32 v[4:5], v[208:209], v[2:3]
	v_add_f64 v[52:53], v[52:53], v[4:5]
	ds_read_b128 v[2:5], v49 offset:1744
	s_add_i32 s15, s14, 0x310
	s_waitcnt vmcnt(0) lgkmcnt(0)
	v_mul_f64 v[198:199], v[4:5], v[196:197]
	v_fma_f64 v[198:199], v[2:3], v[194:195], -v[198:199]
	v_mul_f64 v[2:3], v[2:3], v[196:197]
	v_fmac_f64_e32 v[2:3], v[4:5], v[194:195]
	scratch_load_dwordx4 v[194:197], off, s15
	v_add_f64 v[52:53], v[52:53], v[2:3]
	ds_read_b128 v[2:5], v49 offset:1760
	v_add_f64 v[10:11], v[10:11], v[198:199]
	s_add_i32 s15, s14, 0x320
	s_addk_i32 s14, 0x330
	s_waitcnt vmcnt(0) lgkmcnt(0)
	v_mul_f64 v[198:199], v[4:5], v[196:197]
	v_fma_f64 v[198:199], v[2:3], v[194:195], -v[198:199]
	v_mul_f64 v[2:3], v[2:3], v[196:197]
	v_fmac_f64_e32 v[2:3], v[4:5], v[194:195]
	scratch_load_dwordx4 v[194:197], off, s15
	v_add_f64 v[52:53], v[52:53], v[2:3]
	ds_read_b128 v[2:5], v49 offset:1776
	v_add_f64 v[10:11], v[10:11], v[198:199]
	s_waitcnt vmcnt(0) lgkmcnt(0)
	v_mul_f64 v[198:199], v[4:5], v[196:197]
	v_fma_f64 v[198:199], v[2:3], v[194:195], -v[198:199]
	v_mul_f64 v[2:3], v[2:3], v[196:197]
	v_fmac_f64_e32 v[2:3], v[4:5], v[194:195]
	scratch_load_dwordx4 v[194:197], off, s14
	v_add_f64 v[52:53], v[52:53], v[2:3]
	ds_read_b128 v[2:5], v49 offset:1792
	v_add_f64 v[10:11], v[10:11], v[198:199]
	s_add_i32 s14, s13, 8
	v_cmp_eq_u32_e32 vcc, s14, v7
	s_add_i32 s13, s13, 52
	s_or_b64 s[10:11], vcc, s[10:11]
	v_mov_b32_e32 v193, s13
	s_mov_b32 s13, s14
	s_waitcnt vmcnt(0) lgkmcnt(0)
	v_mul_f64 v[198:199], v[4:5], v[196:197]
	v_mul_f64 v[196:197], v[2:3], v[196:197]
	v_fma_f64 v[198:199], v[2:3], v[194:195], -v[198:199]
	v_fmac_f64_e32 v[196:197], v[4:5], v[194:195]
	v_add_f64 v[2:3], v[10:11], v[198:199]
	v_add_f64 v[4:5], v[52:53], v[196:197]
	s_andn2_b64 exec, exec, s[10:11]
	s_cbranch_execnz .LBB124_221
; %bb.222:
	s_or_b64 exec, exec, s[10:11]
.LBB124_223:
	s_or_b64 exec, exec, s[0:1]
	v_and_b32_e32 v6, 7, v6
	v_cmp_ne_u32_e32 vcc, 0, v6
	s_and_saveexec_b64 s[0:1], vcc
	s_cbranch_execz .LBB124_227
; %bb.224:
	v_lshlrev_b32_e32 v10, 4, v193
	v_add_u32_e32 v7, 0x3d0, v10
	v_add_u32_e32 v192, 0, v10
	s_mov_b64 s[10:11], 0
.LBB124_225:                            ; =>This Inner Loop Header: Depth=1
	scratch_load_dwordx4 v[194:197], v192, off
	ds_read_b128 v[198:201], v7
	v_add_u32_e32 v6, -1, v6
	v_cmp_eq_u32_e32 vcc, 0, v6
	v_add_u32_e32 v7, 16, v7
	v_add_u32_e32 v192, 16, v192
	s_or_b64 s[10:11], vcc, s[10:11]
	s_waitcnt vmcnt(0) lgkmcnt(0)
	v_mul_f64 v[10:11], v[200:201], v[196:197]
	v_mul_f64 v[52:53], v[198:199], v[196:197]
	v_fma_f64 v[10:11], v[198:199], v[194:195], -v[10:11]
	v_fmac_f64_e32 v[52:53], v[200:201], v[194:195]
	v_add_f64 v[2:3], v[2:3], v[10:11]
	v_add_f64 v[4:5], v[4:5], v[52:53]
	s_andn2_b64 exec, exec, s[10:11]
	s_cbranch_execnz .LBB124_225
; %bb.226:
	s_or_b64 exec, exec, s[10:11]
.LBB124_227:
	s_or_b64 exec, exec, s[0:1]
.LBB124_228:
	s_or_b64 exec, exec, s[8:9]
	v_mov_b32_e32 v6, 0
	ds_read_b128 v[192:195], v6 offset:688
	s_waitcnt lgkmcnt(0)
	v_mul_f64 v[6:7], v[4:5], v[194:195]
	v_mul_f64 v[196:197], v[2:3], v[194:195]
	v_fma_f64 v[194:195], v[2:3], v[192:193], -v[6:7]
	v_fmac_f64_e32 v[196:197], v[4:5], v[192:193]
	scratch_store_dwordx4 off, v[194:197], off offset:688
.LBB124_229:
	s_or_b64 exec, exec, s[4:5]
	scratch_load_dwordx4 v[2:5], v150, off
	v_cmp_lt_u32_e64 s[0:1], 42, v0
	s_waitcnt vmcnt(0)
	ds_write_b128 v9, v[2:5]
	s_waitcnt lgkmcnt(0)
	; wave barrier
	s_waitcnt lgkmcnt(0)
	s_and_saveexec_b64 s[4:5], s[0:1]
	s_cbranch_execz .LBB124_243
; %bb.230:
	ds_read_b128 v[2:5], v9
	s_andn2_b64 vcc, exec, s[6:7]
	s_cbranch_vccnz .LBB124_232
; %bb.231:
	scratch_load_dwordx4 v[192:195], v8, off
	s_waitcnt vmcnt(0) lgkmcnt(0)
	v_mul_f64 v[10:11], v[2:3], v[194:195]
	v_mul_f64 v[6:7], v[4:5], v[194:195]
	v_fmac_f64_e32 v[10:11], v[4:5], v[192:193]
	v_fma_f64 v[2:3], v[2:3], v[192:193], -v[6:7]
	v_mov_b64_e32 v[4:5], v[10:11]
.LBB124_232:
	s_and_saveexec_b64 s[8:9], s[2:3]
	s_cbranch_execz .LBB124_242
; %bb.233:
	v_subrev_u32_e32 v7, 44, v0
	v_subrev_u32_e32 v6, 43, v0
	v_cmp_lt_u32_e32 vcc, 6, v7
	v_mov_b32_e32 v193, 43
	s_and_saveexec_b64 s[2:3], vcc
	s_cbranch_execz .LBB124_237
; %bb.234:
	v_and_b32_e32 v7, -8, v6
	s_mov_b32 s12, 0
	s_mov_b64 s[10:11], 0
	v_mov_b32_e32 v192, 0
	s_mov_b32 s13, 0
.LBB124_235:                            ; =>This Inner Loop Header: Depth=1
	v_readfirstlane_b32 s14, v192
	s_add_i32 s14, s14, s12
	s_add_i32 s15, s14, 0x2b0
	v_mov_b32_e32 v49, s12
	ds_read_b128 v[194:197], v49 offset:1664
	ds_read_b128 v[198:201], v49 offset:1680
	;; [unrolled: 1-line block ×4, first 2 shown]
	scratch_load_dwordx4 v[210:213], off, s15
	s_add_i32 s15, s14, 0x2c0
	s_addk_i32 s12, 0x80
	s_waitcnt vmcnt(0) lgkmcnt(3)
	v_mul_f64 v[10:11], v[196:197], v[212:213]
	v_mul_f64 v[52:53], v[194:195], v[212:213]
	v_fma_f64 v[10:11], v[194:195], v[210:211], -v[10:11]
	v_fmac_f64_e32 v[52:53], v[196:197], v[210:211]
	v_add_f64 v[10:11], v[2:3], v[10:11]
	v_add_f64 v[52:53], v[4:5], v[52:53]
	scratch_load_dwordx4 v[2:5], off, s15
	s_add_i32 s15, s14, 0x2d0
	s_waitcnt vmcnt(0) lgkmcnt(2)
	v_mul_f64 v[194:195], v[200:201], v[4:5]
	v_mul_f64 v[4:5], v[198:199], v[4:5]
	v_fmac_f64_e32 v[4:5], v[200:201], v[2:3]
	v_fma_f64 v[194:195], v[198:199], v[2:3], -v[194:195]
	v_add_f64 v[52:53], v[52:53], v[4:5]
	scratch_load_dwordx4 v[2:5], off, s15
	v_add_f64 v[10:11], v[10:11], v[194:195]
	s_add_i32 s15, s14, 0x2e0
	s_waitcnt vmcnt(0) lgkmcnt(1)
	v_mul_f64 v[194:195], v[204:205], v[4:5]
	v_mul_f64 v[4:5], v[202:203], v[4:5]
	v_fmac_f64_e32 v[4:5], v[204:205], v[2:3]
	v_fma_f64 v[194:195], v[202:203], v[2:3], -v[194:195]
	v_add_f64 v[52:53], v[52:53], v[4:5]
	scratch_load_dwordx4 v[2:5], off, s15
	v_add_f64 v[10:11], v[10:11], v[194:195]
	s_add_i32 s15, s14, 0x2f0
	s_waitcnt vmcnt(0) lgkmcnt(0)
	v_mul_f64 v[194:195], v[208:209], v[4:5]
	v_fma_f64 v[194:195], v[206:207], v[2:3], -v[194:195]
	v_add_f64 v[10:11], v[10:11], v[194:195]
	scratch_load_dwordx4 v[194:197], off, s15
	v_mul_f64 v[4:5], v[206:207], v[4:5]
	v_fmac_f64_e32 v[4:5], v[208:209], v[2:3]
	v_add_f64 v[52:53], v[52:53], v[4:5]
	ds_read_b128 v[2:5], v49 offset:1728
	s_add_i32 s15, s14, 0x300
	s_waitcnt vmcnt(0) lgkmcnt(0)
	v_mul_f64 v[198:199], v[4:5], v[196:197]
	v_fma_f64 v[198:199], v[2:3], v[194:195], -v[198:199]
	v_mul_f64 v[2:3], v[2:3], v[196:197]
	v_fmac_f64_e32 v[2:3], v[4:5], v[194:195]
	scratch_load_dwordx4 v[194:197], off, s15
	v_add_f64 v[52:53], v[52:53], v[2:3]
	ds_read_b128 v[2:5], v49 offset:1744
	v_add_f64 v[10:11], v[10:11], v[198:199]
	s_add_i32 s15, s14, 0x310
	s_addk_i32 s14, 0x320
	s_waitcnt vmcnt(0) lgkmcnt(0)
	v_mul_f64 v[198:199], v[4:5], v[196:197]
	v_fma_f64 v[198:199], v[2:3], v[194:195], -v[198:199]
	v_mul_f64 v[2:3], v[2:3], v[196:197]
	v_fmac_f64_e32 v[2:3], v[4:5], v[194:195]
	scratch_load_dwordx4 v[194:197], off, s15
	v_add_f64 v[52:53], v[52:53], v[2:3]
	ds_read_b128 v[2:5], v49 offset:1760
	v_add_f64 v[10:11], v[10:11], v[198:199]
	s_waitcnt vmcnt(0) lgkmcnt(0)
	v_mul_f64 v[198:199], v[4:5], v[196:197]
	v_fma_f64 v[198:199], v[2:3], v[194:195], -v[198:199]
	v_mul_f64 v[2:3], v[2:3], v[196:197]
	v_fmac_f64_e32 v[2:3], v[4:5], v[194:195]
	scratch_load_dwordx4 v[194:197], off, s14
	v_add_f64 v[52:53], v[52:53], v[2:3]
	ds_read_b128 v[2:5], v49 offset:1776
	v_add_f64 v[10:11], v[10:11], v[198:199]
	s_add_i32 s14, s13, 8
	v_cmp_eq_u32_e32 vcc, s14, v7
	s_add_i32 s13, s13, 51
	s_or_b64 s[10:11], vcc, s[10:11]
	v_mov_b32_e32 v193, s13
	s_mov_b32 s13, s14
	s_waitcnt vmcnt(0) lgkmcnt(0)
	v_mul_f64 v[198:199], v[4:5], v[196:197]
	v_mul_f64 v[196:197], v[2:3], v[196:197]
	v_fma_f64 v[198:199], v[2:3], v[194:195], -v[198:199]
	v_fmac_f64_e32 v[196:197], v[4:5], v[194:195]
	v_add_f64 v[2:3], v[10:11], v[198:199]
	v_add_f64 v[4:5], v[52:53], v[196:197]
	s_andn2_b64 exec, exec, s[10:11]
	s_cbranch_execnz .LBB124_235
; %bb.236:
	s_or_b64 exec, exec, s[10:11]
.LBB124_237:
	s_or_b64 exec, exec, s[2:3]
	v_and_b32_e32 v6, 7, v6
	v_cmp_ne_u32_e32 vcc, 0, v6
	s_and_saveexec_b64 s[2:3], vcc
	s_cbranch_execz .LBB124_241
; %bb.238:
	v_lshlrev_b32_e32 v10, 4, v193
	v_add_u32_e32 v7, 0x3d0, v10
	v_add_u32_e32 v192, 0, v10
	s_mov_b64 s[10:11], 0
.LBB124_239:                            ; =>This Inner Loop Header: Depth=1
	scratch_load_dwordx4 v[194:197], v192, off
	ds_read_b128 v[198:201], v7
	v_add_u32_e32 v6, -1, v6
	v_cmp_eq_u32_e32 vcc, 0, v6
	v_add_u32_e32 v7, 16, v7
	v_add_u32_e32 v192, 16, v192
	s_or_b64 s[10:11], vcc, s[10:11]
	s_waitcnt vmcnt(0) lgkmcnt(0)
	v_mul_f64 v[10:11], v[200:201], v[196:197]
	v_mul_f64 v[52:53], v[198:199], v[196:197]
	v_fma_f64 v[10:11], v[198:199], v[194:195], -v[10:11]
	v_fmac_f64_e32 v[52:53], v[200:201], v[194:195]
	v_add_f64 v[2:3], v[2:3], v[10:11]
	v_add_f64 v[4:5], v[4:5], v[52:53]
	s_andn2_b64 exec, exec, s[10:11]
	s_cbranch_execnz .LBB124_239
; %bb.240:
	s_or_b64 exec, exec, s[10:11]
.LBB124_241:
	s_or_b64 exec, exec, s[2:3]
.LBB124_242:
	s_or_b64 exec, exec, s[8:9]
	v_mov_b32_e32 v6, 0
	ds_read_b128 v[192:195], v6 offset:672
	s_waitcnt lgkmcnt(0)
	v_mul_f64 v[6:7], v[4:5], v[194:195]
	v_mul_f64 v[196:197], v[2:3], v[194:195]
	v_fma_f64 v[194:195], v[2:3], v[192:193], -v[6:7]
	v_fmac_f64_e32 v[196:197], v[4:5], v[192:193]
	scratch_store_dwordx4 off, v[194:197], off offset:672
.LBB124_243:
	s_or_b64 exec, exec, s[4:5]
	scratch_load_dwordx4 v[2:5], v151, off
	v_cmp_lt_u32_e64 s[2:3], 41, v0
	s_waitcnt vmcnt(0)
	ds_write_b128 v9, v[2:5]
	s_waitcnt lgkmcnt(0)
	; wave barrier
	s_waitcnt lgkmcnt(0)
	s_and_saveexec_b64 s[4:5], s[2:3]
	s_cbranch_execz .LBB124_257
; %bb.244:
	ds_read_b128 v[2:5], v9
	s_andn2_b64 vcc, exec, s[6:7]
	s_cbranch_vccnz .LBB124_246
; %bb.245:
	scratch_load_dwordx4 v[192:195], v8, off
	s_waitcnt vmcnt(0) lgkmcnt(0)
	v_mul_f64 v[10:11], v[2:3], v[194:195]
	v_mul_f64 v[6:7], v[4:5], v[194:195]
	v_fmac_f64_e32 v[10:11], v[4:5], v[192:193]
	v_fma_f64 v[2:3], v[2:3], v[192:193], -v[6:7]
	v_mov_b64_e32 v[4:5], v[10:11]
.LBB124_246:
	s_and_saveexec_b64 s[8:9], s[0:1]
	s_cbranch_execz .LBB124_256
; %bb.247:
	v_subrev_u32_e32 v7, 43, v0
	v_subrev_u32_e32 v6, 42, v0
	v_cmp_lt_u32_e32 vcc, 6, v7
	v_mov_b32_e32 v193, 42
	s_and_saveexec_b64 s[0:1], vcc
	s_cbranch_execz .LBB124_251
; %bb.248:
	v_and_b32_e32 v7, -8, v6
	s_mov_b32 s12, 0
	s_mov_b64 s[10:11], 0
	v_mov_b32_e32 v192, 0
	s_mov_b32 s13, 0
.LBB124_249:                            ; =>This Inner Loop Header: Depth=1
	v_readfirstlane_b32 s14, v192
	s_add_i32 s14, s14, s12
	s_add_i32 s15, s14, 0x2a0
	v_mov_b32_e32 v49, s12
	ds_read_b128 v[194:197], v49 offset:1648
	ds_read_b128 v[198:201], v49 offset:1664
	;; [unrolled: 1-line block ×4, first 2 shown]
	scratch_load_dwordx4 v[210:213], off, s15
	s_add_i32 s15, s14, 0x2b0
	s_addk_i32 s12, 0x80
	s_waitcnt vmcnt(0) lgkmcnt(3)
	v_mul_f64 v[10:11], v[196:197], v[212:213]
	v_mul_f64 v[52:53], v[194:195], v[212:213]
	v_fma_f64 v[10:11], v[194:195], v[210:211], -v[10:11]
	v_fmac_f64_e32 v[52:53], v[196:197], v[210:211]
	v_add_f64 v[10:11], v[2:3], v[10:11]
	v_add_f64 v[52:53], v[4:5], v[52:53]
	scratch_load_dwordx4 v[2:5], off, s15
	s_add_i32 s15, s14, 0x2c0
	s_waitcnt vmcnt(0) lgkmcnt(2)
	v_mul_f64 v[194:195], v[200:201], v[4:5]
	v_mul_f64 v[4:5], v[198:199], v[4:5]
	v_fmac_f64_e32 v[4:5], v[200:201], v[2:3]
	v_fma_f64 v[194:195], v[198:199], v[2:3], -v[194:195]
	v_add_f64 v[52:53], v[52:53], v[4:5]
	scratch_load_dwordx4 v[2:5], off, s15
	v_add_f64 v[10:11], v[10:11], v[194:195]
	s_add_i32 s15, s14, 0x2d0
	s_waitcnt vmcnt(0) lgkmcnt(1)
	v_mul_f64 v[194:195], v[204:205], v[4:5]
	v_mul_f64 v[4:5], v[202:203], v[4:5]
	v_fmac_f64_e32 v[4:5], v[204:205], v[2:3]
	v_fma_f64 v[194:195], v[202:203], v[2:3], -v[194:195]
	v_add_f64 v[52:53], v[52:53], v[4:5]
	scratch_load_dwordx4 v[2:5], off, s15
	v_add_f64 v[10:11], v[10:11], v[194:195]
	s_add_i32 s15, s14, 0x2e0
	s_waitcnt vmcnt(0) lgkmcnt(0)
	v_mul_f64 v[194:195], v[208:209], v[4:5]
	v_fma_f64 v[194:195], v[206:207], v[2:3], -v[194:195]
	v_add_f64 v[10:11], v[10:11], v[194:195]
	scratch_load_dwordx4 v[194:197], off, s15
	v_mul_f64 v[4:5], v[206:207], v[4:5]
	v_fmac_f64_e32 v[4:5], v[208:209], v[2:3]
	v_add_f64 v[52:53], v[52:53], v[4:5]
	ds_read_b128 v[2:5], v49 offset:1712
	s_add_i32 s15, s14, 0x2f0
	s_waitcnt vmcnt(0) lgkmcnt(0)
	v_mul_f64 v[198:199], v[4:5], v[196:197]
	v_fma_f64 v[198:199], v[2:3], v[194:195], -v[198:199]
	v_mul_f64 v[2:3], v[2:3], v[196:197]
	v_fmac_f64_e32 v[2:3], v[4:5], v[194:195]
	scratch_load_dwordx4 v[194:197], off, s15
	v_add_f64 v[52:53], v[52:53], v[2:3]
	ds_read_b128 v[2:5], v49 offset:1728
	v_add_f64 v[10:11], v[10:11], v[198:199]
	s_add_i32 s15, s14, 0x300
	s_addk_i32 s14, 0x310
	s_waitcnt vmcnt(0) lgkmcnt(0)
	v_mul_f64 v[198:199], v[4:5], v[196:197]
	v_fma_f64 v[198:199], v[2:3], v[194:195], -v[198:199]
	v_mul_f64 v[2:3], v[2:3], v[196:197]
	v_fmac_f64_e32 v[2:3], v[4:5], v[194:195]
	scratch_load_dwordx4 v[194:197], off, s15
	v_add_f64 v[52:53], v[52:53], v[2:3]
	ds_read_b128 v[2:5], v49 offset:1744
	v_add_f64 v[10:11], v[10:11], v[198:199]
	s_waitcnt vmcnt(0) lgkmcnt(0)
	v_mul_f64 v[198:199], v[4:5], v[196:197]
	v_fma_f64 v[198:199], v[2:3], v[194:195], -v[198:199]
	v_mul_f64 v[2:3], v[2:3], v[196:197]
	v_fmac_f64_e32 v[2:3], v[4:5], v[194:195]
	scratch_load_dwordx4 v[194:197], off, s14
	v_add_f64 v[52:53], v[52:53], v[2:3]
	ds_read_b128 v[2:5], v49 offset:1760
	v_add_f64 v[10:11], v[10:11], v[198:199]
	s_add_i32 s14, s13, 8
	v_cmp_eq_u32_e32 vcc, s14, v7
	s_add_i32 s13, s13, 50
	s_or_b64 s[10:11], vcc, s[10:11]
	v_mov_b32_e32 v193, s13
	s_mov_b32 s13, s14
	s_waitcnt vmcnt(0) lgkmcnt(0)
	v_mul_f64 v[198:199], v[4:5], v[196:197]
	v_mul_f64 v[196:197], v[2:3], v[196:197]
	v_fma_f64 v[198:199], v[2:3], v[194:195], -v[198:199]
	v_fmac_f64_e32 v[196:197], v[4:5], v[194:195]
	v_add_f64 v[2:3], v[10:11], v[198:199]
	v_add_f64 v[4:5], v[52:53], v[196:197]
	s_andn2_b64 exec, exec, s[10:11]
	s_cbranch_execnz .LBB124_249
; %bb.250:
	s_or_b64 exec, exec, s[10:11]
.LBB124_251:
	s_or_b64 exec, exec, s[0:1]
	v_and_b32_e32 v6, 7, v6
	v_cmp_ne_u32_e32 vcc, 0, v6
	s_and_saveexec_b64 s[0:1], vcc
	s_cbranch_execz .LBB124_255
; %bb.252:
	v_lshlrev_b32_e32 v10, 4, v193
	v_add_u32_e32 v7, 0x3d0, v10
	v_add_u32_e32 v192, 0, v10
	s_mov_b64 s[10:11], 0
.LBB124_253:                            ; =>This Inner Loop Header: Depth=1
	scratch_load_dwordx4 v[194:197], v192, off
	ds_read_b128 v[198:201], v7
	v_add_u32_e32 v6, -1, v6
	v_cmp_eq_u32_e32 vcc, 0, v6
	v_add_u32_e32 v7, 16, v7
	v_add_u32_e32 v192, 16, v192
	s_or_b64 s[10:11], vcc, s[10:11]
	s_waitcnt vmcnt(0) lgkmcnt(0)
	v_mul_f64 v[10:11], v[200:201], v[196:197]
	v_mul_f64 v[52:53], v[198:199], v[196:197]
	v_fma_f64 v[10:11], v[198:199], v[194:195], -v[10:11]
	v_fmac_f64_e32 v[52:53], v[200:201], v[194:195]
	v_add_f64 v[2:3], v[2:3], v[10:11]
	v_add_f64 v[4:5], v[4:5], v[52:53]
	s_andn2_b64 exec, exec, s[10:11]
	s_cbranch_execnz .LBB124_253
; %bb.254:
	s_or_b64 exec, exec, s[10:11]
.LBB124_255:
	s_or_b64 exec, exec, s[0:1]
.LBB124_256:
	s_or_b64 exec, exec, s[8:9]
	v_mov_b32_e32 v6, 0
	ds_read_b128 v[192:195], v6 offset:656
	s_waitcnt lgkmcnt(0)
	v_mul_f64 v[6:7], v[4:5], v[194:195]
	v_mul_f64 v[196:197], v[2:3], v[194:195]
	v_fma_f64 v[194:195], v[2:3], v[192:193], -v[6:7]
	v_fmac_f64_e32 v[196:197], v[4:5], v[192:193]
	scratch_store_dwordx4 off, v[194:197], off offset:656
.LBB124_257:
	s_or_b64 exec, exec, s[4:5]
	scratch_load_dwordx4 v[2:5], v152, off
	v_cmp_lt_u32_e64 s[0:1], 40, v0
	s_waitcnt vmcnt(0)
	ds_write_b128 v9, v[2:5]
	s_waitcnt lgkmcnt(0)
	; wave barrier
	s_waitcnt lgkmcnt(0)
	s_and_saveexec_b64 s[4:5], s[0:1]
	s_cbranch_execz .LBB124_271
; %bb.258:
	ds_read_b128 v[2:5], v9
	s_andn2_b64 vcc, exec, s[6:7]
	s_cbranch_vccnz .LBB124_260
; %bb.259:
	scratch_load_dwordx4 v[192:195], v8, off
	s_waitcnt vmcnt(0) lgkmcnt(0)
	v_mul_f64 v[10:11], v[2:3], v[194:195]
	v_mul_f64 v[6:7], v[4:5], v[194:195]
	v_fmac_f64_e32 v[10:11], v[4:5], v[192:193]
	v_fma_f64 v[2:3], v[2:3], v[192:193], -v[6:7]
	v_mov_b64_e32 v[4:5], v[10:11]
.LBB124_260:
	s_and_saveexec_b64 s[8:9], s[2:3]
	s_cbranch_execz .LBB124_270
; %bb.261:
	v_subrev_u32_e32 v7, 42, v0
	v_subrev_u32_e32 v6, 41, v0
	v_cmp_lt_u32_e32 vcc, 6, v7
	v_mov_b32_e32 v193, 41
	s_and_saveexec_b64 s[2:3], vcc
	s_cbranch_execz .LBB124_265
; %bb.262:
	v_and_b32_e32 v7, -8, v6
	s_mov_b32 s12, 0
	s_mov_b64 s[10:11], 0
	v_mov_b32_e32 v192, 0
	s_mov_b32 s13, 0
.LBB124_263:                            ; =>This Inner Loop Header: Depth=1
	v_readfirstlane_b32 s14, v192
	s_add_i32 s14, s14, s12
	s_add_i32 s15, s14, 0x290
	v_mov_b32_e32 v49, s12
	ds_read_b128 v[194:197], v49 offset:1632
	ds_read_b128 v[198:201], v49 offset:1648
	;; [unrolled: 1-line block ×4, first 2 shown]
	scratch_load_dwordx4 v[210:213], off, s15
	s_add_i32 s15, s14, 0x2a0
	s_addk_i32 s12, 0x80
	s_waitcnt vmcnt(0) lgkmcnt(3)
	v_mul_f64 v[10:11], v[196:197], v[212:213]
	v_mul_f64 v[52:53], v[194:195], v[212:213]
	v_fma_f64 v[10:11], v[194:195], v[210:211], -v[10:11]
	v_fmac_f64_e32 v[52:53], v[196:197], v[210:211]
	v_add_f64 v[10:11], v[2:3], v[10:11]
	v_add_f64 v[52:53], v[4:5], v[52:53]
	scratch_load_dwordx4 v[2:5], off, s15
	s_add_i32 s15, s14, 0x2b0
	s_waitcnt vmcnt(0) lgkmcnt(2)
	v_mul_f64 v[194:195], v[200:201], v[4:5]
	v_mul_f64 v[4:5], v[198:199], v[4:5]
	v_fmac_f64_e32 v[4:5], v[200:201], v[2:3]
	v_fma_f64 v[194:195], v[198:199], v[2:3], -v[194:195]
	v_add_f64 v[52:53], v[52:53], v[4:5]
	scratch_load_dwordx4 v[2:5], off, s15
	v_add_f64 v[10:11], v[10:11], v[194:195]
	s_add_i32 s15, s14, 0x2c0
	s_waitcnt vmcnt(0) lgkmcnt(1)
	v_mul_f64 v[194:195], v[204:205], v[4:5]
	v_mul_f64 v[4:5], v[202:203], v[4:5]
	v_fmac_f64_e32 v[4:5], v[204:205], v[2:3]
	v_fma_f64 v[194:195], v[202:203], v[2:3], -v[194:195]
	v_add_f64 v[52:53], v[52:53], v[4:5]
	scratch_load_dwordx4 v[2:5], off, s15
	v_add_f64 v[10:11], v[10:11], v[194:195]
	s_add_i32 s15, s14, 0x2d0
	s_waitcnt vmcnt(0) lgkmcnt(0)
	v_mul_f64 v[194:195], v[208:209], v[4:5]
	v_fma_f64 v[194:195], v[206:207], v[2:3], -v[194:195]
	v_add_f64 v[10:11], v[10:11], v[194:195]
	scratch_load_dwordx4 v[194:197], off, s15
	v_mul_f64 v[4:5], v[206:207], v[4:5]
	v_fmac_f64_e32 v[4:5], v[208:209], v[2:3]
	v_add_f64 v[52:53], v[52:53], v[4:5]
	ds_read_b128 v[2:5], v49 offset:1696
	s_add_i32 s15, s14, 0x2e0
	s_waitcnt vmcnt(0) lgkmcnt(0)
	v_mul_f64 v[198:199], v[4:5], v[196:197]
	v_fma_f64 v[198:199], v[2:3], v[194:195], -v[198:199]
	v_mul_f64 v[2:3], v[2:3], v[196:197]
	v_fmac_f64_e32 v[2:3], v[4:5], v[194:195]
	scratch_load_dwordx4 v[194:197], off, s15
	v_add_f64 v[52:53], v[52:53], v[2:3]
	ds_read_b128 v[2:5], v49 offset:1712
	v_add_f64 v[10:11], v[10:11], v[198:199]
	s_add_i32 s15, s14, 0x2f0
	s_addk_i32 s14, 0x300
	s_waitcnt vmcnt(0) lgkmcnt(0)
	v_mul_f64 v[198:199], v[4:5], v[196:197]
	v_fma_f64 v[198:199], v[2:3], v[194:195], -v[198:199]
	v_mul_f64 v[2:3], v[2:3], v[196:197]
	v_fmac_f64_e32 v[2:3], v[4:5], v[194:195]
	scratch_load_dwordx4 v[194:197], off, s15
	v_add_f64 v[52:53], v[52:53], v[2:3]
	ds_read_b128 v[2:5], v49 offset:1728
	v_add_f64 v[10:11], v[10:11], v[198:199]
	s_waitcnt vmcnt(0) lgkmcnt(0)
	v_mul_f64 v[198:199], v[4:5], v[196:197]
	v_fma_f64 v[198:199], v[2:3], v[194:195], -v[198:199]
	v_mul_f64 v[2:3], v[2:3], v[196:197]
	v_fmac_f64_e32 v[2:3], v[4:5], v[194:195]
	scratch_load_dwordx4 v[194:197], off, s14
	v_add_f64 v[52:53], v[52:53], v[2:3]
	ds_read_b128 v[2:5], v49 offset:1744
	v_add_f64 v[10:11], v[10:11], v[198:199]
	s_add_i32 s14, s13, 8
	v_cmp_eq_u32_e32 vcc, s14, v7
	s_add_i32 s13, s13, 49
	s_or_b64 s[10:11], vcc, s[10:11]
	v_mov_b32_e32 v193, s13
	s_mov_b32 s13, s14
	s_waitcnt vmcnt(0) lgkmcnt(0)
	v_mul_f64 v[198:199], v[4:5], v[196:197]
	v_mul_f64 v[196:197], v[2:3], v[196:197]
	v_fma_f64 v[198:199], v[2:3], v[194:195], -v[198:199]
	v_fmac_f64_e32 v[196:197], v[4:5], v[194:195]
	v_add_f64 v[2:3], v[10:11], v[198:199]
	v_add_f64 v[4:5], v[52:53], v[196:197]
	s_andn2_b64 exec, exec, s[10:11]
	s_cbranch_execnz .LBB124_263
; %bb.264:
	s_or_b64 exec, exec, s[10:11]
.LBB124_265:
	s_or_b64 exec, exec, s[2:3]
	v_and_b32_e32 v6, 7, v6
	v_cmp_ne_u32_e32 vcc, 0, v6
	s_and_saveexec_b64 s[2:3], vcc
	s_cbranch_execz .LBB124_269
; %bb.266:
	v_lshlrev_b32_e32 v10, 4, v193
	v_add_u32_e32 v7, 0x3d0, v10
	v_add_u32_e32 v192, 0, v10
	s_mov_b64 s[10:11], 0
.LBB124_267:                            ; =>This Inner Loop Header: Depth=1
	scratch_load_dwordx4 v[194:197], v192, off
	ds_read_b128 v[198:201], v7
	v_add_u32_e32 v6, -1, v6
	v_cmp_eq_u32_e32 vcc, 0, v6
	v_add_u32_e32 v7, 16, v7
	v_add_u32_e32 v192, 16, v192
	s_or_b64 s[10:11], vcc, s[10:11]
	s_waitcnt vmcnt(0) lgkmcnt(0)
	v_mul_f64 v[10:11], v[200:201], v[196:197]
	v_mul_f64 v[52:53], v[198:199], v[196:197]
	v_fma_f64 v[10:11], v[198:199], v[194:195], -v[10:11]
	v_fmac_f64_e32 v[52:53], v[200:201], v[194:195]
	v_add_f64 v[2:3], v[2:3], v[10:11]
	v_add_f64 v[4:5], v[4:5], v[52:53]
	s_andn2_b64 exec, exec, s[10:11]
	s_cbranch_execnz .LBB124_267
; %bb.268:
	s_or_b64 exec, exec, s[10:11]
.LBB124_269:
	s_or_b64 exec, exec, s[2:3]
.LBB124_270:
	s_or_b64 exec, exec, s[8:9]
	v_mov_b32_e32 v6, 0
	ds_read_b128 v[192:195], v6 offset:640
	s_waitcnt lgkmcnt(0)
	v_mul_f64 v[6:7], v[4:5], v[194:195]
	v_mul_f64 v[196:197], v[2:3], v[194:195]
	v_fma_f64 v[194:195], v[2:3], v[192:193], -v[6:7]
	v_fmac_f64_e32 v[196:197], v[4:5], v[192:193]
	scratch_store_dwordx4 off, v[194:197], off offset:640
.LBB124_271:
	s_or_b64 exec, exec, s[4:5]
	scratch_load_dwordx4 v[2:5], v153, off
	v_cmp_lt_u32_e64 s[2:3], 39, v0
	s_waitcnt vmcnt(0)
	ds_write_b128 v9, v[2:5]
	s_waitcnt lgkmcnt(0)
	; wave barrier
	s_waitcnt lgkmcnt(0)
	s_and_saveexec_b64 s[4:5], s[2:3]
	s_cbranch_execz .LBB124_285
; %bb.272:
	ds_read_b128 v[2:5], v9
	s_andn2_b64 vcc, exec, s[6:7]
	s_cbranch_vccnz .LBB124_274
; %bb.273:
	scratch_load_dwordx4 v[192:195], v8, off
	s_waitcnt vmcnt(0) lgkmcnt(0)
	v_mul_f64 v[10:11], v[2:3], v[194:195]
	v_mul_f64 v[6:7], v[4:5], v[194:195]
	v_fmac_f64_e32 v[10:11], v[4:5], v[192:193]
	v_fma_f64 v[2:3], v[2:3], v[192:193], -v[6:7]
	v_mov_b64_e32 v[4:5], v[10:11]
.LBB124_274:
	s_and_saveexec_b64 s[8:9], s[0:1]
	s_cbranch_execz .LBB124_284
; %bb.275:
	v_subrev_u32_e32 v6, 41, v0
	v_cmp_lt_u32_e32 vcc, 6, v6
	v_mov_b32_e32 v6, 40
	s_and_saveexec_b64 s[0:1], vcc
	s_cbranch_execz .LBB124_279
; %bb.276:
	v_and_b32_e32 v6, 56, v0
	s_mov_b32 s12, 40
	s_mov_b32 s13, 0
	s_mov_b64 s[10:11], 0
	v_mov_b32_e32 v7, 0
.LBB124_277:                            ; =>This Inner Loop Header: Depth=1
	s_nop 0
	v_readfirstlane_b32 s14, v7
	s_add_i32 s14, s14, s13
	s_add_i32 s15, s14, 0x280
	v_mov_b32_e32 v49, s13
	ds_read_b128 v[192:195], v49 offset:1616
	ds_read_b128 v[196:199], v49 offset:1632
	;; [unrolled: 1-line block ×4, first 2 shown]
	scratch_load_dwordx4 v[208:211], off, s15
	s_add_i32 s15, s14, 0x290
	s_add_i32 s12, s12, 8
	s_addk_i32 s13, 0x80
	v_cmp_eq_u32_e32 vcc, s12, v6
	s_waitcnt vmcnt(0) lgkmcnt(3)
	v_mul_f64 v[10:11], v[194:195], v[210:211]
	v_mul_f64 v[52:53], v[192:193], v[210:211]
	v_fma_f64 v[10:11], v[192:193], v[208:209], -v[10:11]
	v_fmac_f64_e32 v[52:53], v[194:195], v[208:209]
	v_add_f64 v[10:11], v[2:3], v[10:11]
	v_add_f64 v[52:53], v[4:5], v[52:53]
	scratch_load_dwordx4 v[2:5], off, s15
	s_add_i32 s15, s14, 0x2a0
	s_waitcnt vmcnt(0) lgkmcnt(2)
	v_mul_f64 v[192:193], v[198:199], v[4:5]
	v_mul_f64 v[4:5], v[196:197], v[4:5]
	v_fmac_f64_e32 v[4:5], v[198:199], v[2:3]
	v_fma_f64 v[192:193], v[196:197], v[2:3], -v[192:193]
	v_add_f64 v[52:53], v[52:53], v[4:5]
	scratch_load_dwordx4 v[2:5], off, s15
	v_add_f64 v[10:11], v[10:11], v[192:193]
	s_add_i32 s15, s14, 0x2b0
	s_waitcnt vmcnt(0) lgkmcnt(1)
	v_mul_f64 v[192:193], v[202:203], v[4:5]
	v_mul_f64 v[4:5], v[200:201], v[4:5]
	v_fmac_f64_e32 v[4:5], v[202:203], v[2:3]
	v_fma_f64 v[192:193], v[200:201], v[2:3], -v[192:193]
	v_add_f64 v[52:53], v[52:53], v[4:5]
	scratch_load_dwordx4 v[2:5], off, s15
	v_add_f64 v[10:11], v[10:11], v[192:193]
	s_add_i32 s15, s14, 0x2c0
	s_waitcnt vmcnt(0) lgkmcnt(0)
	v_mul_f64 v[192:193], v[206:207], v[4:5]
	v_fma_f64 v[192:193], v[204:205], v[2:3], -v[192:193]
	v_add_f64 v[10:11], v[10:11], v[192:193]
	scratch_load_dwordx4 v[192:195], off, s15
	v_mul_f64 v[4:5], v[204:205], v[4:5]
	v_fmac_f64_e32 v[4:5], v[206:207], v[2:3]
	v_add_f64 v[52:53], v[52:53], v[4:5]
	ds_read_b128 v[2:5], v49 offset:1680
	s_add_i32 s15, s14, 0x2d0
	s_waitcnt vmcnt(0) lgkmcnt(0)
	v_mul_f64 v[196:197], v[4:5], v[194:195]
	v_fma_f64 v[196:197], v[2:3], v[192:193], -v[196:197]
	v_mul_f64 v[2:3], v[2:3], v[194:195]
	v_fmac_f64_e32 v[2:3], v[4:5], v[192:193]
	scratch_load_dwordx4 v[192:195], off, s15
	v_add_f64 v[52:53], v[52:53], v[2:3]
	ds_read_b128 v[2:5], v49 offset:1696
	v_add_f64 v[10:11], v[10:11], v[196:197]
	s_add_i32 s15, s14, 0x2e0
	s_addk_i32 s14, 0x2f0
	s_or_b64 s[10:11], vcc, s[10:11]
	s_waitcnt vmcnt(0) lgkmcnt(0)
	v_mul_f64 v[196:197], v[4:5], v[194:195]
	v_fma_f64 v[196:197], v[2:3], v[192:193], -v[196:197]
	v_mul_f64 v[2:3], v[2:3], v[194:195]
	v_fmac_f64_e32 v[2:3], v[4:5], v[192:193]
	scratch_load_dwordx4 v[192:195], off, s15
	v_add_f64 v[52:53], v[52:53], v[2:3]
	ds_read_b128 v[2:5], v49 offset:1712
	v_add_f64 v[10:11], v[10:11], v[196:197]
	s_waitcnt vmcnt(0) lgkmcnt(0)
	v_mul_f64 v[196:197], v[4:5], v[194:195]
	v_fma_f64 v[196:197], v[2:3], v[192:193], -v[196:197]
	v_mul_f64 v[2:3], v[2:3], v[194:195]
	v_fmac_f64_e32 v[2:3], v[4:5], v[192:193]
	scratch_load_dwordx4 v[192:195], off, s14
	v_add_f64 v[52:53], v[52:53], v[2:3]
	ds_read_b128 v[2:5], v49 offset:1728
	v_add_f64 v[10:11], v[10:11], v[196:197]
	s_waitcnt vmcnt(0) lgkmcnt(0)
	v_mul_f64 v[196:197], v[4:5], v[194:195]
	v_mul_f64 v[194:195], v[2:3], v[194:195]
	v_fma_f64 v[196:197], v[2:3], v[192:193], -v[196:197]
	v_fmac_f64_e32 v[194:195], v[4:5], v[192:193]
	v_add_f64 v[2:3], v[10:11], v[196:197]
	v_add_f64 v[4:5], v[52:53], v[194:195]
	s_andn2_b64 exec, exec, s[10:11]
	s_cbranch_execnz .LBB124_277
; %bb.278:
	s_or_b64 exec, exec, s[10:11]
.LBB124_279:
	s_or_b64 exec, exec, s[0:1]
	v_and_b32_e32 v7, 7, v0
	v_cmp_ne_u32_e32 vcc, 0, v7
	s_and_saveexec_b64 s[0:1], vcc
	s_cbranch_execz .LBB124_283
; %bb.280:
	v_lshlrev_b32_e32 v10, 4, v6
	v_add_u32_e32 v6, 0x3d0, v10
	v_add_u32_e32 v192, 0, v10
	s_mov_b64 s[10:11], 0
.LBB124_281:                            ; =>This Inner Loop Header: Depth=1
	scratch_load_dwordx4 v[194:197], v192, off
	ds_read_b128 v[198:201], v6
	v_add_u32_e32 v7, -1, v7
	v_cmp_eq_u32_e32 vcc, 0, v7
	v_add_u32_e32 v6, 16, v6
	v_add_u32_e32 v192, 16, v192
	s_or_b64 s[10:11], vcc, s[10:11]
	s_waitcnt vmcnt(0) lgkmcnt(0)
	v_mul_f64 v[10:11], v[200:201], v[196:197]
	v_mul_f64 v[52:53], v[198:199], v[196:197]
	v_fma_f64 v[10:11], v[198:199], v[194:195], -v[10:11]
	v_fmac_f64_e32 v[52:53], v[200:201], v[194:195]
	v_add_f64 v[2:3], v[2:3], v[10:11]
	v_add_f64 v[4:5], v[4:5], v[52:53]
	s_andn2_b64 exec, exec, s[10:11]
	s_cbranch_execnz .LBB124_281
; %bb.282:
	s_or_b64 exec, exec, s[10:11]
.LBB124_283:
	s_or_b64 exec, exec, s[0:1]
.LBB124_284:
	s_or_b64 exec, exec, s[8:9]
	v_mov_b32_e32 v6, 0
	ds_read_b128 v[192:195], v6 offset:624
	s_waitcnt lgkmcnt(0)
	v_mul_f64 v[6:7], v[4:5], v[194:195]
	v_mul_f64 v[196:197], v[2:3], v[194:195]
	v_fma_f64 v[194:195], v[2:3], v[192:193], -v[6:7]
	v_fmac_f64_e32 v[196:197], v[4:5], v[192:193]
	scratch_store_dwordx4 off, v[194:197], off offset:624
.LBB124_285:
	s_or_b64 exec, exec, s[4:5]
	scratch_load_dwordx4 v[2:5], v154, off
	v_cmp_lt_u32_e64 s[0:1], 38, v0
	s_waitcnt vmcnt(0)
	ds_write_b128 v9, v[2:5]
	s_waitcnt lgkmcnt(0)
	; wave barrier
	s_waitcnt lgkmcnt(0)
	s_and_saveexec_b64 s[4:5], s[0:1]
	s_cbranch_execz .LBB124_299
; %bb.286:
	ds_read_b128 v[2:5], v9
	s_andn2_b64 vcc, exec, s[6:7]
	s_cbranch_vccnz .LBB124_288
; %bb.287:
	scratch_load_dwordx4 v[192:195], v8, off
	s_waitcnt vmcnt(0) lgkmcnt(0)
	v_mul_f64 v[10:11], v[2:3], v[194:195]
	v_mul_f64 v[6:7], v[4:5], v[194:195]
	v_fmac_f64_e32 v[10:11], v[4:5], v[192:193]
	v_fma_f64 v[2:3], v[2:3], v[192:193], -v[6:7]
	v_mov_b64_e32 v[4:5], v[10:11]
.LBB124_288:
	s_and_saveexec_b64 s[8:9], s[2:3]
	s_cbranch_execz .LBB124_298
; %bb.289:
	v_subrev_u32_e32 v7, 40, v0
	v_subrev_u32_e32 v6, 39, v0
	v_cmp_lt_u32_e32 vcc, 6, v7
	v_mov_b32_e32 v193, 39
	s_and_saveexec_b64 s[2:3], vcc
	s_cbranch_execz .LBB124_293
; %bb.290:
	v_and_b32_e32 v7, -8, v6
	s_mov_b32 s12, 0
	s_mov_b64 s[10:11], 0
	v_mov_b32_e32 v192, 0
	s_mov_b32 s13, 0
.LBB124_291:                            ; =>This Inner Loop Header: Depth=1
	v_readfirstlane_b32 s14, v192
	s_add_i32 s14, s14, s12
	s_add_i32 s15, s14, 0x270
	v_mov_b32_e32 v49, s12
	ds_read_b128 v[194:197], v49 offset:1600
	ds_read_b128 v[198:201], v49 offset:1616
	ds_read_b128 v[202:205], v49 offset:1632
	ds_read_b128 v[206:209], v49 offset:1648
	scratch_load_dwordx4 v[210:213], off, s15
	s_add_i32 s15, s14, 0x280
	s_addk_i32 s12, 0x80
	s_waitcnt vmcnt(0) lgkmcnt(3)
	v_mul_f64 v[10:11], v[196:197], v[212:213]
	v_mul_f64 v[52:53], v[194:195], v[212:213]
	v_fma_f64 v[10:11], v[194:195], v[210:211], -v[10:11]
	v_fmac_f64_e32 v[52:53], v[196:197], v[210:211]
	v_add_f64 v[10:11], v[2:3], v[10:11]
	v_add_f64 v[52:53], v[4:5], v[52:53]
	scratch_load_dwordx4 v[2:5], off, s15
	s_add_i32 s15, s14, 0x290
	s_waitcnt vmcnt(0) lgkmcnt(2)
	v_mul_f64 v[194:195], v[200:201], v[4:5]
	v_mul_f64 v[4:5], v[198:199], v[4:5]
	v_fmac_f64_e32 v[4:5], v[200:201], v[2:3]
	v_fma_f64 v[194:195], v[198:199], v[2:3], -v[194:195]
	v_add_f64 v[52:53], v[52:53], v[4:5]
	scratch_load_dwordx4 v[2:5], off, s15
	v_add_f64 v[10:11], v[10:11], v[194:195]
	s_add_i32 s15, s14, 0x2a0
	s_waitcnt vmcnt(0) lgkmcnt(1)
	v_mul_f64 v[194:195], v[204:205], v[4:5]
	v_mul_f64 v[4:5], v[202:203], v[4:5]
	v_fmac_f64_e32 v[4:5], v[204:205], v[2:3]
	v_fma_f64 v[194:195], v[202:203], v[2:3], -v[194:195]
	v_add_f64 v[52:53], v[52:53], v[4:5]
	scratch_load_dwordx4 v[2:5], off, s15
	v_add_f64 v[10:11], v[10:11], v[194:195]
	s_add_i32 s15, s14, 0x2b0
	s_waitcnt vmcnt(0) lgkmcnt(0)
	v_mul_f64 v[194:195], v[208:209], v[4:5]
	v_fma_f64 v[194:195], v[206:207], v[2:3], -v[194:195]
	v_add_f64 v[10:11], v[10:11], v[194:195]
	scratch_load_dwordx4 v[194:197], off, s15
	v_mul_f64 v[4:5], v[206:207], v[4:5]
	v_fmac_f64_e32 v[4:5], v[208:209], v[2:3]
	v_add_f64 v[52:53], v[52:53], v[4:5]
	ds_read_b128 v[2:5], v49 offset:1664
	s_add_i32 s15, s14, 0x2c0
	s_waitcnt vmcnt(0) lgkmcnt(0)
	v_mul_f64 v[198:199], v[4:5], v[196:197]
	v_fma_f64 v[198:199], v[2:3], v[194:195], -v[198:199]
	v_mul_f64 v[2:3], v[2:3], v[196:197]
	v_fmac_f64_e32 v[2:3], v[4:5], v[194:195]
	scratch_load_dwordx4 v[194:197], off, s15
	v_add_f64 v[52:53], v[52:53], v[2:3]
	ds_read_b128 v[2:5], v49 offset:1680
	v_add_f64 v[10:11], v[10:11], v[198:199]
	s_add_i32 s15, s14, 0x2d0
	s_addk_i32 s14, 0x2e0
	s_waitcnt vmcnt(0) lgkmcnt(0)
	v_mul_f64 v[198:199], v[4:5], v[196:197]
	v_fma_f64 v[198:199], v[2:3], v[194:195], -v[198:199]
	v_mul_f64 v[2:3], v[2:3], v[196:197]
	v_fmac_f64_e32 v[2:3], v[4:5], v[194:195]
	scratch_load_dwordx4 v[194:197], off, s15
	v_add_f64 v[52:53], v[52:53], v[2:3]
	ds_read_b128 v[2:5], v49 offset:1696
	v_add_f64 v[10:11], v[10:11], v[198:199]
	s_waitcnt vmcnt(0) lgkmcnt(0)
	v_mul_f64 v[198:199], v[4:5], v[196:197]
	v_fma_f64 v[198:199], v[2:3], v[194:195], -v[198:199]
	v_mul_f64 v[2:3], v[2:3], v[196:197]
	v_fmac_f64_e32 v[2:3], v[4:5], v[194:195]
	scratch_load_dwordx4 v[194:197], off, s14
	v_add_f64 v[52:53], v[52:53], v[2:3]
	ds_read_b128 v[2:5], v49 offset:1712
	v_add_f64 v[10:11], v[10:11], v[198:199]
	s_add_i32 s14, s13, 8
	v_cmp_eq_u32_e32 vcc, s14, v7
	s_add_i32 s13, s13, 47
	s_or_b64 s[10:11], vcc, s[10:11]
	v_mov_b32_e32 v193, s13
	s_mov_b32 s13, s14
	s_waitcnt vmcnt(0) lgkmcnt(0)
	v_mul_f64 v[198:199], v[4:5], v[196:197]
	v_mul_f64 v[196:197], v[2:3], v[196:197]
	v_fma_f64 v[198:199], v[2:3], v[194:195], -v[198:199]
	v_fmac_f64_e32 v[196:197], v[4:5], v[194:195]
	v_add_f64 v[2:3], v[10:11], v[198:199]
	v_add_f64 v[4:5], v[52:53], v[196:197]
	s_andn2_b64 exec, exec, s[10:11]
	s_cbranch_execnz .LBB124_291
; %bb.292:
	s_or_b64 exec, exec, s[10:11]
.LBB124_293:
	s_or_b64 exec, exec, s[2:3]
	v_and_b32_e32 v6, 7, v6
	v_cmp_ne_u32_e32 vcc, 0, v6
	s_and_saveexec_b64 s[2:3], vcc
	s_cbranch_execz .LBB124_297
; %bb.294:
	v_lshlrev_b32_e32 v10, 4, v193
	v_add_u32_e32 v7, 0x3d0, v10
	v_add_u32_e32 v192, 0, v10
	s_mov_b64 s[10:11], 0
.LBB124_295:                            ; =>This Inner Loop Header: Depth=1
	scratch_load_dwordx4 v[194:197], v192, off
	ds_read_b128 v[198:201], v7
	v_add_u32_e32 v6, -1, v6
	v_cmp_eq_u32_e32 vcc, 0, v6
	v_add_u32_e32 v7, 16, v7
	v_add_u32_e32 v192, 16, v192
	s_or_b64 s[10:11], vcc, s[10:11]
	s_waitcnt vmcnt(0) lgkmcnt(0)
	v_mul_f64 v[10:11], v[200:201], v[196:197]
	v_mul_f64 v[52:53], v[198:199], v[196:197]
	v_fma_f64 v[10:11], v[198:199], v[194:195], -v[10:11]
	v_fmac_f64_e32 v[52:53], v[200:201], v[194:195]
	v_add_f64 v[2:3], v[2:3], v[10:11]
	v_add_f64 v[4:5], v[4:5], v[52:53]
	s_andn2_b64 exec, exec, s[10:11]
	s_cbranch_execnz .LBB124_295
; %bb.296:
	s_or_b64 exec, exec, s[10:11]
.LBB124_297:
	s_or_b64 exec, exec, s[2:3]
.LBB124_298:
	s_or_b64 exec, exec, s[8:9]
	v_mov_b32_e32 v6, 0
	ds_read_b128 v[192:195], v6 offset:608
	s_waitcnt lgkmcnt(0)
	v_mul_f64 v[6:7], v[4:5], v[194:195]
	v_mul_f64 v[196:197], v[2:3], v[194:195]
	v_fma_f64 v[194:195], v[2:3], v[192:193], -v[6:7]
	v_fmac_f64_e32 v[196:197], v[4:5], v[192:193]
	scratch_store_dwordx4 off, v[194:197], off offset:608
.LBB124_299:
	s_or_b64 exec, exec, s[4:5]
	scratch_load_dwordx4 v[2:5], v155, off
	v_cmp_lt_u32_e64 s[2:3], 37, v0
	s_waitcnt vmcnt(0)
	ds_write_b128 v9, v[2:5]
	s_waitcnt lgkmcnt(0)
	; wave barrier
	s_waitcnt lgkmcnt(0)
	s_and_saveexec_b64 s[4:5], s[2:3]
	s_cbranch_execz .LBB124_313
; %bb.300:
	ds_read_b128 v[2:5], v9
	s_andn2_b64 vcc, exec, s[6:7]
	s_cbranch_vccnz .LBB124_302
; %bb.301:
	scratch_load_dwordx4 v[192:195], v8, off
	s_waitcnt vmcnt(0) lgkmcnt(0)
	v_mul_f64 v[10:11], v[2:3], v[194:195]
	v_mul_f64 v[6:7], v[4:5], v[194:195]
	v_fmac_f64_e32 v[10:11], v[4:5], v[192:193]
	v_fma_f64 v[2:3], v[2:3], v[192:193], -v[6:7]
	v_mov_b64_e32 v[4:5], v[10:11]
.LBB124_302:
	s_and_saveexec_b64 s[8:9], s[0:1]
	s_cbranch_execz .LBB124_312
; %bb.303:
	v_subrev_u32_e32 v7, 39, v0
	v_subrev_u32_e32 v6, 38, v0
	v_cmp_lt_u32_e32 vcc, 6, v7
	v_mov_b32_e32 v193, 38
	s_and_saveexec_b64 s[0:1], vcc
	s_cbranch_execz .LBB124_307
; %bb.304:
	v_and_b32_e32 v7, -8, v6
	s_mov_b32 s12, 0
	s_mov_b64 s[10:11], 0
	v_mov_b32_e32 v192, 0
	s_mov_b32 s13, 0
.LBB124_305:                            ; =>This Inner Loop Header: Depth=1
	v_readfirstlane_b32 s14, v192
	s_add_i32 s14, s14, s12
	s_add_i32 s15, s14, 0x260
	v_mov_b32_e32 v49, s12
	ds_read_b128 v[194:197], v49 offset:1584
	ds_read_b128 v[198:201], v49 offset:1600
	;; [unrolled: 1-line block ×4, first 2 shown]
	scratch_load_dwordx4 v[210:213], off, s15
	s_add_i32 s15, s14, 0x270
	s_addk_i32 s12, 0x80
	s_waitcnt vmcnt(0) lgkmcnt(3)
	v_mul_f64 v[10:11], v[196:197], v[212:213]
	v_mul_f64 v[52:53], v[194:195], v[212:213]
	v_fma_f64 v[10:11], v[194:195], v[210:211], -v[10:11]
	v_fmac_f64_e32 v[52:53], v[196:197], v[210:211]
	v_add_f64 v[10:11], v[2:3], v[10:11]
	v_add_f64 v[52:53], v[4:5], v[52:53]
	scratch_load_dwordx4 v[2:5], off, s15
	s_add_i32 s15, s14, 0x280
	s_waitcnt vmcnt(0) lgkmcnt(2)
	v_mul_f64 v[194:195], v[200:201], v[4:5]
	v_mul_f64 v[4:5], v[198:199], v[4:5]
	v_fmac_f64_e32 v[4:5], v[200:201], v[2:3]
	v_fma_f64 v[194:195], v[198:199], v[2:3], -v[194:195]
	v_add_f64 v[52:53], v[52:53], v[4:5]
	scratch_load_dwordx4 v[2:5], off, s15
	v_add_f64 v[10:11], v[10:11], v[194:195]
	s_add_i32 s15, s14, 0x290
	s_waitcnt vmcnt(0) lgkmcnt(1)
	v_mul_f64 v[194:195], v[204:205], v[4:5]
	v_mul_f64 v[4:5], v[202:203], v[4:5]
	v_fmac_f64_e32 v[4:5], v[204:205], v[2:3]
	v_fma_f64 v[194:195], v[202:203], v[2:3], -v[194:195]
	v_add_f64 v[52:53], v[52:53], v[4:5]
	scratch_load_dwordx4 v[2:5], off, s15
	v_add_f64 v[10:11], v[10:11], v[194:195]
	s_add_i32 s15, s14, 0x2a0
	s_waitcnt vmcnt(0) lgkmcnt(0)
	v_mul_f64 v[194:195], v[208:209], v[4:5]
	v_fma_f64 v[194:195], v[206:207], v[2:3], -v[194:195]
	v_add_f64 v[10:11], v[10:11], v[194:195]
	scratch_load_dwordx4 v[194:197], off, s15
	v_mul_f64 v[4:5], v[206:207], v[4:5]
	v_fmac_f64_e32 v[4:5], v[208:209], v[2:3]
	v_add_f64 v[52:53], v[52:53], v[4:5]
	ds_read_b128 v[2:5], v49 offset:1648
	s_add_i32 s15, s14, 0x2b0
	s_waitcnt vmcnt(0) lgkmcnt(0)
	v_mul_f64 v[198:199], v[4:5], v[196:197]
	v_fma_f64 v[198:199], v[2:3], v[194:195], -v[198:199]
	v_mul_f64 v[2:3], v[2:3], v[196:197]
	v_fmac_f64_e32 v[2:3], v[4:5], v[194:195]
	scratch_load_dwordx4 v[194:197], off, s15
	v_add_f64 v[52:53], v[52:53], v[2:3]
	ds_read_b128 v[2:5], v49 offset:1664
	v_add_f64 v[10:11], v[10:11], v[198:199]
	s_add_i32 s15, s14, 0x2c0
	s_addk_i32 s14, 0x2d0
	s_waitcnt vmcnt(0) lgkmcnt(0)
	v_mul_f64 v[198:199], v[4:5], v[196:197]
	v_fma_f64 v[198:199], v[2:3], v[194:195], -v[198:199]
	v_mul_f64 v[2:3], v[2:3], v[196:197]
	v_fmac_f64_e32 v[2:3], v[4:5], v[194:195]
	scratch_load_dwordx4 v[194:197], off, s15
	v_add_f64 v[52:53], v[52:53], v[2:3]
	ds_read_b128 v[2:5], v49 offset:1680
	v_add_f64 v[10:11], v[10:11], v[198:199]
	s_waitcnt vmcnt(0) lgkmcnt(0)
	v_mul_f64 v[198:199], v[4:5], v[196:197]
	v_fma_f64 v[198:199], v[2:3], v[194:195], -v[198:199]
	v_mul_f64 v[2:3], v[2:3], v[196:197]
	v_fmac_f64_e32 v[2:3], v[4:5], v[194:195]
	scratch_load_dwordx4 v[194:197], off, s14
	v_add_f64 v[52:53], v[52:53], v[2:3]
	ds_read_b128 v[2:5], v49 offset:1696
	v_add_f64 v[10:11], v[10:11], v[198:199]
	s_add_i32 s14, s13, 8
	v_cmp_eq_u32_e32 vcc, s14, v7
	s_add_i32 s13, s13, 46
	s_or_b64 s[10:11], vcc, s[10:11]
	v_mov_b32_e32 v193, s13
	s_mov_b32 s13, s14
	s_waitcnt vmcnt(0) lgkmcnt(0)
	v_mul_f64 v[198:199], v[4:5], v[196:197]
	v_mul_f64 v[196:197], v[2:3], v[196:197]
	v_fma_f64 v[198:199], v[2:3], v[194:195], -v[198:199]
	v_fmac_f64_e32 v[196:197], v[4:5], v[194:195]
	v_add_f64 v[2:3], v[10:11], v[198:199]
	v_add_f64 v[4:5], v[52:53], v[196:197]
	s_andn2_b64 exec, exec, s[10:11]
	s_cbranch_execnz .LBB124_305
; %bb.306:
	s_or_b64 exec, exec, s[10:11]
.LBB124_307:
	s_or_b64 exec, exec, s[0:1]
	v_and_b32_e32 v6, 7, v6
	v_cmp_ne_u32_e32 vcc, 0, v6
	s_and_saveexec_b64 s[0:1], vcc
	s_cbranch_execz .LBB124_311
; %bb.308:
	v_lshlrev_b32_e32 v10, 4, v193
	v_add_u32_e32 v7, 0x3d0, v10
	v_add_u32_e32 v192, 0, v10
	s_mov_b64 s[10:11], 0
.LBB124_309:                            ; =>This Inner Loop Header: Depth=1
	scratch_load_dwordx4 v[194:197], v192, off
	ds_read_b128 v[198:201], v7
	v_add_u32_e32 v6, -1, v6
	v_cmp_eq_u32_e32 vcc, 0, v6
	v_add_u32_e32 v7, 16, v7
	v_add_u32_e32 v192, 16, v192
	s_or_b64 s[10:11], vcc, s[10:11]
	s_waitcnt vmcnt(0) lgkmcnt(0)
	v_mul_f64 v[10:11], v[200:201], v[196:197]
	v_mul_f64 v[52:53], v[198:199], v[196:197]
	v_fma_f64 v[10:11], v[198:199], v[194:195], -v[10:11]
	v_fmac_f64_e32 v[52:53], v[200:201], v[194:195]
	v_add_f64 v[2:3], v[2:3], v[10:11]
	v_add_f64 v[4:5], v[4:5], v[52:53]
	s_andn2_b64 exec, exec, s[10:11]
	s_cbranch_execnz .LBB124_309
; %bb.310:
	s_or_b64 exec, exec, s[10:11]
.LBB124_311:
	s_or_b64 exec, exec, s[0:1]
.LBB124_312:
	s_or_b64 exec, exec, s[8:9]
	v_mov_b32_e32 v6, 0
	ds_read_b128 v[192:195], v6 offset:592
	s_waitcnt lgkmcnt(0)
	v_mul_f64 v[6:7], v[4:5], v[194:195]
	v_mul_f64 v[196:197], v[2:3], v[194:195]
	v_fma_f64 v[194:195], v[2:3], v[192:193], -v[6:7]
	v_fmac_f64_e32 v[196:197], v[4:5], v[192:193]
	scratch_store_dwordx4 off, v[194:197], off offset:592
.LBB124_313:
	s_or_b64 exec, exec, s[4:5]
	scratch_load_dwordx4 v[2:5], v156, off
	v_cmp_lt_u32_e64 s[0:1], 36, v0
	s_waitcnt vmcnt(0)
	ds_write_b128 v9, v[2:5]
	s_waitcnt lgkmcnt(0)
	; wave barrier
	s_waitcnt lgkmcnt(0)
	s_and_saveexec_b64 s[4:5], s[0:1]
	s_cbranch_execz .LBB124_327
; %bb.314:
	ds_read_b128 v[2:5], v9
	s_andn2_b64 vcc, exec, s[6:7]
	s_cbranch_vccnz .LBB124_316
; %bb.315:
	scratch_load_dwordx4 v[192:195], v8, off
	s_waitcnt vmcnt(0) lgkmcnt(0)
	v_mul_f64 v[10:11], v[2:3], v[194:195]
	v_mul_f64 v[6:7], v[4:5], v[194:195]
	v_fmac_f64_e32 v[10:11], v[4:5], v[192:193]
	v_fma_f64 v[2:3], v[2:3], v[192:193], -v[6:7]
	v_mov_b64_e32 v[4:5], v[10:11]
.LBB124_316:
	s_and_saveexec_b64 s[8:9], s[2:3]
	s_cbranch_execz .LBB124_326
; %bb.317:
	v_subrev_u32_e32 v7, 38, v0
	v_subrev_u32_e32 v6, 37, v0
	v_cmp_lt_u32_e32 vcc, 6, v7
	v_mov_b32_e32 v193, 37
	s_and_saveexec_b64 s[2:3], vcc
	s_cbranch_execz .LBB124_321
; %bb.318:
	v_and_b32_e32 v7, -8, v6
	s_mov_b32 s12, 0
	s_mov_b64 s[10:11], 0
	v_mov_b32_e32 v192, 0
	s_mov_b32 s13, 0
.LBB124_319:                            ; =>This Inner Loop Header: Depth=1
	v_readfirstlane_b32 s14, v192
	s_add_i32 s14, s14, s12
	s_add_i32 s15, s14, 0x250
	v_mov_b32_e32 v49, s12
	ds_read_b128 v[194:197], v49 offset:1568
	ds_read_b128 v[198:201], v49 offset:1584
	;; [unrolled: 1-line block ×4, first 2 shown]
	scratch_load_dwordx4 v[210:213], off, s15
	s_add_i32 s15, s14, 0x260
	s_addk_i32 s12, 0x80
	s_waitcnt vmcnt(0) lgkmcnt(3)
	v_mul_f64 v[10:11], v[196:197], v[212:213]
	v_mul_f64 v[52:53], v[194:195], v[212:213]
	v_fma_f64 v[10:11], v[194:195], v[210:211], -v[10:11]
	v_fmac_f64_e32 v[52:53], v[196:197], v[210:211]
	v_add_f64 v[10:11], v[2:3], v[10:11]
	v_add_f64 v[52:53], v[4:5], v[52:53]
	scratch_load_dwordx4 v[2:5], off, s15
	s_add_i32 s15, s14, 0x270
	s_waitcnt vmcnt(0) lgkmcnt(2)
	v_mul_f64 v[194:195], v[200:201], v[4:5]
	v_mul_f64 v[4:5], v[198:199], v[4:5]
	v_fmac_f64_e32 v[4:5], v[200:201], v[2:3]
	v_fma_f64 v[194:195], v[198:199], v[2:3], -v[194:195]
	v_add_f64 v[52:53], v[52:53], v[4:5]
	scratch_load_dwordx4 v[2:5], off, s15
	v_add_f64 v[10:11], v[10:11], v[194:195]
	s_add_i32 s15, s14, 0x280
	s_waitcnt vmcnt(0) lgkmcnt(1)
	v_mul_f64 v[194:195], v[204:205], v[4:5]
	v_mul_f64 v[4:5], v[202:203], v[4:5]
	v_fmac_f64_e32 v[4:5], v[204:205], v[2:3]
	v_fma_f64 v[194:195], v[202:203], v[2:3], -v[194:195]
	v_add_f64 v[52:53], v[52:53], v[4:5]
	scratch_load_dwordx4 v[2:5], off, s15
	v_add_f64 v[10:11], v[10:11], v[194:195]
	s_add_i32 s15, s14, 0x290
	s_waitcnt vmcnt(0) lgkmcnt(0)
	v_mul_f64 v[194:195], v[208:209], v[4:5]
	v_fma_f64 v[194:195], v[206:207], v[2:3], -v[194:195]
	v_add_f64 v[10:11], v[10:11], v[194:195]
	scratch_load_dwordx4 v[194:197], off, s15
	v_mul_f64 v[4:5], v[206:207], v[4:5]
	v_fmac_f64_e32 v[4:5], v[208:209], v[2:3]
	v_add_f64 v[52:53], v[52:53], v[4:5]
	ds_read_b128 v[2:5], v49 offset:1632
	s_add_i32 s15, s14, 0x2a0
	s_waitcnt vmcnt(0) lgkmcnt(0)
	v_mul_f64 v[198:199], v[4:5], v[196:197]
	v_fma_f64 v[198:199], v[2:3], v[194:195], -v[198:199]
	v_mul_f64 v[2:3], v[2:3], v[196:197]
	v_fmac_f64_e32 v[2:3], v[4:5], v[194:195]
	scratch_load_dwordx4 v[194:197], off, s15
	v_add_f64 v[52:53], v[52:53], v[2:3]
	ds_read_b128 v[2:5], v49 offset:1648
	v_add_f64 v[10:11], v[10:11], v[198:199]
	s_add_i32 s15, s14, 0x2b0
	s_addk_i32 s14, 0x2c0
	s_waitcnt vmcnt(0) lgkmcnt(0)
	v_mul_f64 v[198:199], v[4:5], v[196:197]
	v_fma_f64 v[198:199], v[2:3], v[194:195], -v[198:199]
	v_mul_f64 v[2:3], v[2:3], v[196:197]
	v_fmac_f64_e32 v[2:3], v[4:5], v[194:195]
	scratch_load_dwordx4 v[194:197], off, s15
	v_add_f64 v[52:53], v[52:53], v[2:3]
	ds_read_b128 v[2:5], v49 offset:1664
	v_add_f64 v[10:11], v[10:11], v[198:199]
	s_waitcnt vmcnt(0) lgkmcnt(0)
	v_mul_f64 v[198:199], v[4:5], v[196:197]
	v_fma_f64 v[198:199], v[2:3], v[194:195], -v[198:199]
	v_mul_f64 v[2:3], v[2:3], v[196:197]
	v_fmac_f64_e32 v[2:3], v[4:5], v[194:195]
	scratch_load_dwordx4 v[194:197], off, s14
	v_add_f64 v[52:53], v[52:53], v[2:3]
	ds_read_b128 v[2:5], v49 offset:1680
	v_add_f64 v[10:11], v[10:11], v[198:199]
	s_add_i32 s14, s13, 8
	v_cmp_eq_u32_e32 vcc, s14, v7
	s_add_i32 s13, s13, 45
	s_or_b64 s[10:11], vcc, s[10:11]
	v_mov_b32_e32 v193, s13
	s_mov_b32 s13, s14
	s_waitcnt vmcnt(0) lgkmcnt(0)
	v_mul_f64 v[198:199], v[4:5], v[196:197]
	v_mul_f64 v[196:197], v[2:3], v[196:197]
	v_fma_f64 v[198:199], v[2:3], v[194:195], -v[198:199]
	v_fmac_f64_e32 v[196:197], v[4:5], v[194:195]
	v_add_f64 v[2:3], v[10:11], v[198:199]
	v_add_f64 v[4:5], v[52:53], v[196:197]
	s_andn2_b64 exec, exec, s[10:11]
	s_cbranch_execnz .LBB124_319
; %bb.320:
	s_or_b64 exec, exec, s[10:11]
.LBB124_321:
	s_or_b64 exec, exec, s[2:3]
	v_and_b32_e32 v6, 7, v6
	v_cmp_ne_u32_e32 vcc, 0, v6
	s_and_saveexec_b64 s[2:3], vcc
	s_cbranch_execz .LBB124_325
; %bb.322:
	v_lshlrev_b32_e32 v10, 4, v193
	v_add_u32_e32 v7, 0x3d0, v10
	v_add_u32_e32 v192, 0, v10
	s_mov_b64 s[10:11], 0
.LBB124_323:                            ; =>This Inner Loop Header: Depth=1
	scratch_load_dwordx4 v[194:197], v192, off
	ds_read_b128 v[198:201], v7
	v_add_u32_e32 v6, -1, v6
	v_cmp_eq_u32_e32 vcc, 0, v6
	v_add_u32_e32 v7, 16, v7
	v_add_u32_e32 v192, 16, v192
	s_or_b64 s[10:11], vcc, s[10:11]
	s_waitcnt vmcnt(0) lgkmcnt(0)
	v_mul_f64 v[10:11], v[200:201], v[196:197]
	v_mul_f64 v[52:53], v[198:199], v[196:197]
	v_fma_f64 v[10:11], v[198:199], v[194:195], -v[10:11]
	v_fmac_f64_e32 v[52:53], v[200:201], v[194:195]
	v_add_f64 v[2:3], v[2:3], v[10:11]
	v_add_f64 v[4:5], v[4:5], v[52:53]
	s_andn2_b64 exec, exec, s[10:11]
	s_cbranch_execnz .LBB124_323
; %bb.324:
	s_or_b64 exec, exec, s[10:11]
.LBB124_325:
	s_or_b64 exec, exec, s[2:3]
.LBB124_326:
	s_or_b64 exec, exec, s[8:9]
	v_mov_b32_e32 v6, 0
	ds_read_b128 v[192:195], v6 offset:576
	s_waitcnt lgkmcnt(0)
	v_mul_f64 v[6:7], v[4:5], v[194:195]
	v_mul_f64 v[196:197], v[2:3], v[194:195]
	v_fma_f64 v[194:195], v[2:3], v[192:193], -v[6:7]
	v_fmac_f64_e32 v[196:197], v[4:5], v[192:193]
	scratch_store_dwordx4 off, v[194:197], off offset:576
.LBB124_327:
	s_or_b64 exec, exec, s[4:5]
	scratch_load_dwordx4 v[2:5], v157, off
	v_cmp_lt_u32_e64 s[2:3], 35, v0
	s_waitcnt vmcnt(0)
	ds_write_b128 v9, v[2:5]
	s_waitcnt lgkmcnt(0)
	; wave barrier
	s_waitcnt lgkmcnt(0)
	s_and_saveexec_b64 s[4:5], s[2:3]
	s_cbranch_execz .LBB124_341
; %bb.328:
	ds_read_b128 v[2:5], v9
	s_andn2_b64 vcc, exec, s[6:7]
	s_cbranch_vccnz .LBB124_330
; %bb.329:
	scratch_load_dwordx4 v[192:195], v8, off
	s_waitcnt vmcnt(0) lgkmcnt(0)
	v_mul_f64 v[10:11], v[2:3], v[194:195]
	v_mul_f64 v[6:7], v[4:5], v[194:195]
	v_fmac_f64_e32 v[10:11], v[4:5], v[192:193]
	v_fma_f64 v[2:3], v[2:3], v[192:193], -v[6:7]
	v_mov_b64_e32 v[4:5], v[10:11]
.LBB124_330:
	s_and_saveexec_b64 s[8:9], s[0:1]
	s_cbranch_execz .LBB124_340
; %bb.331:
	v_subrev_u32_e32 v7, 37, v0
	v_subrev_u32_e32 v6, 36, v0
	v_cmp_lt_u32_e32 vcc, 6, v7
	v_mov_b32_e32 v193, 36
	s_and_saveexec_b64 s[0:1], vcc
	s_cbranch_execz .LBB124_335
; %bb.332:
	v_and_b32_e32 v7, -8, v6
	s_mov_b32 s12, 0
	s_mov_b64 s[10:11], 0
	v_mov_b32_e32 v192, 0
	s_mov_b32 s13, 0
.LBB124_333:                            ; =>This Inner Loop Header: Depth=1
	v_readfirstlane_b32 s14, v192
	s_add_i32 s14, s14, s12
	s_add_i32 s15, s14, 0x240
	v_mov_b32_e32 v49, s12
	ds_read_b128 v[194:197], v49 offset:1552
	ds_read_b128 v[198:201], v49 offset:1568
	;; [unrolled: 1-line block ×4, first 2 shown]
	scratch_load_dwordx4 v[210:213], off, s15
	s_add_i32 s15, s14, 0x250
	s_addk_i32 s12, 0x80
	s_waitcnt vmcnt(0) lgkmcnt(3)
	v_mul_f64 v[10:11], v[196:197], v[212:213]
	v_mul_f64 v[52:53], v[194:195], v[212:213]
	v_fma_f64 v[10:11], v[194:195], v[210:211], -v[10:11]
	v_fmac_f64_e32 v[52:53], v[196:197], v[210:211]
	v_add_f64 v[10:11], v[2:3], v[10:11]
	v_add_f64 v[52:53], v[4:5], v[52:53]
	scratch_load_dwordx4 v[2:5], off, s15
	s_add_i32 s15, s14, 0x260
	s_waitcnt vmcnt(0) lgkmcnt(2)
	v_mul_f64 v[194:195], v[200:201], v[4:5]
	v_mul_f64 v[4:5], v[198:199], v[4:5]
	v_fmac_f64_e32 v[4:5], v[200:201], v[2:3]
	v_fma_f64 v[194:195], v[198:199], v[2:3], -v[194:195]
	v_add_f64 v[52:53], v[52:53], v[4:5]
	scratch_load_dwordx4 v[2:5], off, s15
	v_add_f64 v[10:11], v[10:11], v[194:195]
	s_add_i32 s15, s14, 0x270
	s_waitcnt vmcnt(0) lgkmcnt(1)
	v_mul_f64 v[194:195], v[204:205], v[4:5]
	v_mul_f64 v[4:5], v[202:203], v[4:5]
	v_fmac_f64_e32 v[4:5], v[204:205], v[2:3]
	v_fma_f64 v[194:195], v[202:203], v[2:3], -v[194:195]
	v_add_f64 v[52:53], v[52:53], v[4:5]
	scratch_load_dwordx4 v[2:5], off, s15
	v_add_f64 v[10:11], v[10:11], v[194:195]
	s_add_i32 s15, s14, 0x280
	s_waitcnt vmcnt(0) lgkmcnt(0)
	v_mul_f64 v[194:195], v[208:209], v[4:5]
	v_fma_f64 v[194:195], v[206:207], v[2:3], -v[194:195]
	v_add_f64 v[10:11], v[10:11], v[194:195]
	scratch_load_dwordx4 v[194:197], off, s15
	v_mul_f64 v[4:5], v[206:207], v[4:5]
	v_fmac_f64_e32 v[4:5], v[208:209], v[2:3]
	v_add_f64 v[52:53], v[52:53], v[4:5]
	ds_read_b128 v[2:5], v49 offset:1616
	s_add_i32 s15, s14, 0x290
	s_waitcnt vmcnt(0) lgkmcnt(0)
	v_mul_f64 v[198:199], v[4:5], v[196:197]
	v_fma_f64 v[198:199], v[2:3], v[194:195], -v[198:199]
	v_mul_f64 v[2:3], v[2:3], v[196:197]
	v_fmac_f64_e32 v[2:3], v[4:5], v[194:195]
	scratch_load_dwordx4 v[194:197], off, s15
	v_add_f64 v[52:53], v[52:53], v[2:3]
	ds_read_b128 v[2:5], v49 offset:1632
	v_add_f64 v[10:11], v[10:11], v[198:199]
	s_add_i32 s15, s14, 0x2a0
	s_addk_i32 s14, 0x2b0
	s_waitcnt vmcnt(0) lgkmcnt(0)
	v_mul_f64 v[198:199], v[4:5], v[196:197]
	v_fma_f64 v[198:199], v[2:3], v[194:195], -v[198:199]
	v_mul_f64 v[2:3], v[2:3], v[196:197]
	v_fmac_f64_e32 v[2:3], v[4:5], v[194:195]
	scratch_load_dwordx4 v[194:197], off, s15
	v_add_f64 v[52:53], v[52:53], v[2:3]
	ds_read_b128 v[2:5], v49 offset:1648
	v_add_f64 v[10:11], v[10:11], v[198:199]
	s_waitcnt vmcnt(0) lgkmcnt(0)
	v_mul_f64 v[198:199], v[4:5], v[196:197]
	v_fma_f64 v[198:199], v[2:3], v[194:195], -v[198:199]
	v_mul_f64 v[2:3], v[2:3], v[196:197]
	v_fmac_f64_e32 v[2:3], v[4:5], v[194:195]
	scratch_load_dwordx4 v[194:197], off, s14
	v_add_f64 v[52:53], v[52:53], v[2:3]
	ds_read_b128 v[2:5], v49 offset:1664
	v_add_f64 v[10:11], v[10:11], v[198:199]
	s_add_i32 s14, s13, 8
	v_cmp_eq_u32_e32 vcc, s14, v7
	s_add_i32 s13, s13, 44
	s_or_b64 s[10:11], vcc, s[10:11]
	v_mov_b32_e32 v193, s13
	s_mov_b32 s13, s14
	s_waitcnt vmcnt(0) lgkmcnt(0)
	v_mul_f64 v[198:199], v[4:5], v[196:197]
	v_mul_f64 v[196:197], v[2:3], v[196:197]
	v_fma_f64 v[198:199], v[2:3], v[194:195], -v[198:199]
	v_fmac_f64_e32 v[196:197], v[4:5], v[194:195]
	v_add_f64 v[2:3], v[10:11], v[198:199]
	v_add_f64 v[4:5], v[52:53], v[196:197]
	s_andn2_b64 exec, exec, s[10:11]
	s_cbranch_execnz .LBB124_333
; %bb.334:
	s_or_b64 exec, exec, s[10:11]
.LBB124_335:
	s_or_b64 exec, exec, s[0:1]
	v_and_b32_e32 v6, 7, v6
	v_cmp_ne_u32_e32 vcc, 0, v6
	s_and_saveexec_b64 s[0:1], vcc
	s_cbranch_execz .LBB124_339
; %bb.336:
	v_lshlrev_b32_e32 v10, 4, v193
	v_add_u32_e32 v7, 0x3d0, v10
	v_add_u32_e32 v192, 0, v10
	s_mov_b64 s[10:11], 0
.LBB124_337:                            ; =>This Inner Loop Header: Depth=1
	scratch_load_dwordx4 v[194:197], v192, off
	ds_read_b128 v[198:201], v7
	v_add_u32_e32 v6, -1, v6
	v_cmp_eq_u32_e32 vcc, 0, v6
	v_add_u32_e32 v7, 16, v7
	v_add_u32_e32 v192, 16, v192
	s_or_b64 s[10:11], vcc, s[10:11]
	s_waitcnt vmcnt(0) lgkmcnt(0)
	v_mul_f64 v[10:11], v[200:201], v[196:197]
	v_mul_f64 v[52:53], v[198:199], v[196:197]
	v_fma_f64 v[10:11], v[198:199], v[194:195], -v[10:11]
	v_fmac_f64_e32 v[52:53], v[200:201], v[194:195]
	v_add_f64 v[2:3], v[2:3], v[10:11]
	v_add_f64 v[4:5], v[4:5], v[52:53]
	s_andn2_b64 exec, exec, s[10:11]
	s_cbranch_execnz .LBB124_337
; %bb.338:
	s_or_b64 exec, exec, s[10:11]
.LBB124_339:
	s_or_b64 exec, exec, s[0:1]
.LBB124_340:
	s_or_b64 exec, exec, s[8:9]
	v_mov_b32_e32 v6, 0
	ds_read_b128 v[192:195], v6 offset:560
	s_waitcnt lgkmcnt(0)
	v_mul_f64 v[6:7], v[4:5], v[194:195]
	v_mul_f64 v[196:197], v[2:3], v[194:195]
	v_fma_f64 v[194:195], v[2:3], v[192:193], -v[6:7]
	v_fmac_f64_e32 v[196:197], v[4:5], v[192:193]
	scratch_store_dwordx4 off, v[194:197], off offset:560
.LBB124_341:
	s_or_b64 exec, exec, s[4:5]
	scratch_load_dwordx4 v[2:5], v158, off
	v_cmp_lt_u32_e64 s[0:1], 34, v0
	s_waitcnt vmcnt(0)
	ds_write_b128 v9, v[2:5]
	s_waitcnt lgkmcnt(0)
	; wave barrier
	s_waitcnt lgkmcnt(0)
	s_and_saveexec_b64 s[4:5], s[0:1]
	s_cbranch_execz .LBB124_355
; %bb.342:
	ds_read_b128 v[2:5], v9
	s_andn2_b64 vcc, exec, s[6:7]
	s_cbranch_vccnz .LBB124_344
; %bb.343:
	scratch_load_dwordx4 v[192:195], v8, off
	s_waitcnt vmcnt(0) lgkmcnt(0)
	v_mul_f64 v[10:11], v[2:3], v[194:195]
	v_mul_f64 v[6:7], v[4:5], v[194:195]
	v_fmac_f64_e32 v[10:11], v[4:5], v[192:193]
	v_fma_f64 v[2:3], v[2:3], v[192:193], -v[6:7]
	v_mov_b64_e32 v[4:5], v[10:11]
.LBB124_344:
	s_and_saveexec_b64 s[8:9], s[2:3]
	s_cbranch_execz .LBB124_354
; %bb.345:
	v_subrev_u32_e32 v7, 36, v0
	v_subrev_u32_e32 v6, 35, v0
	v_cmp_lt_u32_e32 vcc, 6, v7
	v_mov_b32_e32 v193, 35
	s_and_saveexec_b64 s[2:3], vcc
	s_cbranch_execz .LBB124_349
; %bb.346:
	v_and_b32_e32 v7, -8, v6
	s_mov_b32 s12, 0
	s_mov_b64 s[10:11], 0
	v_mov_b32_e32 v192, 0
	s_mov_b32 s13, 0
.LBB124_347:                            ; =>This Inner Loop Header: Depth=1
	v_readfirstlane_b32 s14, v192
	s_add_i32 s14, s14, s12
	s_add_i32 s15, s14, 0x230
	v_mov_b32_e32 v49, s12
	ds_read_b128 v[194:197], v49 offset:1536
	ds_read_b128 v[198:201], v49 offset:1552
	;; [unrolled: 1-line block ×4, first 2 shown]
	scratch_load_dwordx4 v[210:213], off, s15
	s_add_i32 s15, s14, 0x240
	s_addk_i32 s12, 0x80
	s_waitcnt vmcnt(0) lgkmcnt(3)
	v_mul_f64 v[10:11], v[196:197], v[212:213]
	v_mul_f64 v[52:53], v[194:195], v[212:213]
	v_fma_f64 v[10:11], v[194:195], v[210:211], -v[10:11]
	v_fmac_f64_e32 v[52:53], v[196:197], v[210:211]
	v_add_f64 v[10:11], v[2:3], v[10:11]
	v_add_f64 v[52:53], v[4:5], v[52:53]
	scratch_load_dwordx4 v[2:5], off, s15
	s_add_i32 s15, s14, 0x250
	s_waitcnt vmcnt(0) lgkmcnt(2)
	v_mul_f64 v[194:195], v[200:201], v[4:5]
	v_mul_f64 v[4:5], v[198:199], v[4:5]
	v_fmac_f64_e32 v[4:5], v[200:201], v[2:3]
	v_fma_f64 v[194:195], v[198:199], v[2:3], -v[194:195]
	v_add_f64 v[52:53], v[52:53], v[4:5]
	scratch_load_dwordx4 v[2:5], off, s15
	v_add_f64 v[10:11], v[10:11], v[194:195]
	s_add_i32 s15, s14, 0x260
	s_waitcnt vmcnt(0) lgkmcnt(1)
	v_mul_f64 v[194:195], v[204:205], v[4:5]
	v_mul_f64 v[4:5], v[202:203], v[4:5]
	v_fmac_f64_e32 v[4:5], v[204:205], v[2:3]
	v_fma_f64 v[194:195], v[202:203], v[2:3], -v[194:195]
	v_add_f64 v[52:53], v[52:53], v[4:5]
	scratch_load_dwordx4 v[2:5], off, s15
	v_add_f64 v[10:11], v[10:11], v[194:195]
	s_add_i32 s15, s14, 0x270
	s_waitcnt vmcnt(0) lgkmcnt(0)
	v_mul_f64 v[194:195], v[208:209], v[4:5]
	v_fma_f64 v[194:195], v[206:207], v[2:3], -v[194:195]
	v_add_f64 v[10:11], v[10:11], v[194:195]
	scratch_load_dwordx4 v[194:197], off, s15
	v_mul_f64 v[4:5], v[206:207], v[4:5]
	v_fmac_f64_e32 v[4:5], v[208:209], v[2:3]
	v_add_f64 v[52:53], v[52:53], v[4:5]
	ds_read_b128 v[2:5], v49 offset:1600
	s_add_i32 s15, s14, 0x280
	s_waitcnt vmcnt(0) lgkmcnt(0)
	v_mul_f64 v[198:199], v[4:5], v[196:197]
	v_fma_f64 v[198:199], v[2:3], v[194:195], -v[198:199]
	v_mul_f64 v[2:3], v[2:3], v[196:197]
	v_fmac_f64_e32 v[2:3], v[4:5], v[194:195]
	scratch_load_dwordx4 v[194:197], off, s15
	v_add_f64 v[52:53], v[52:53], v[2:3]
	ds_read_b128 v[2:5], v49 offset:1616
	v_add_f64 v[10:11], v[10:11], v[198:199]
	s_add_i32 s15, s14, 0x290
	s_addk_i32 s14, 0x2a0
	s_waitcnt vmcnt(0) lgkmcnt(0)
	v_mul_f64 v[198:199], v[4:5], v[196:197]
	v_fma_f64 v[198:199], v[2:3], v[194:195], -v[198:199]
	v_mul_f64 v[2:3], v[2:3], v[196:197]
	v_fmac_f64_e32 v[2:3], v[4:5], v[194:195]
	scratch_load_dwordx4 v[194:197], off, s15
	v_add_f64 v[52:53], v[52:53], v[2:3]
	ds_read_b128 v[2:5], v49 offset:1632
	v_add_f64 v[10:11], v[10:11], v[198:199]
	s_waitcnt vmcnt(0) lgkmcnt(0)
	v_mul_f64 v[198:199], v[4:5], v[196:197]
	v_fma_f64 v[198:199], v[2:3], v[194:195], -v[198:199]
	v_mul_f64 v[2:3], v[2:3], v[196:197]
	v_fmac_f64_e32 v[2:3], v[4:5], v[194:195]
	scratch_load_dwordx4 v[194:197], off, s14
	v_add_f64 v[52:53], v[52:53], v[2:3]
	ds_read_b128 v[2:5], v49 offset:1648
	v_add_f64 v[10:11], v[10:11], v[198:199]
	s_add_i32 s14, s13, 8
	v_cmp_eq_u32_e32 vcc, s14, v7
	s_add_i32 s13, s13, 43
	s_or_b64 s[10:11], vcc, s[10:11]
	v_mov_b32_e32 v193, s13
	s_mov_b32 s13, s14
	s_waitcnt vmcnt(0) lgkmcnt(0)
	v_mul_f64 v[198:199], v[4:5], v[196:197]
	v_mul_f64 v[196:197], v[2:3], v[196:197]
	v_fma_f64 v[198:199], v[2:3], v[194:195], -v[198:199]
	v_fmac_f64_e32 v[196:197], v[4:5], v[194:195]
	v_add_f64 v[2:3], v[10:11], v[198:199]
	v_add_f64 v[4:5], v[52:53], v[196:197]
	s_andn2_b64 exec, exec, s[10:11]
	s_cbranch_execnz .LBB124_347
; %bb.348:
	s_or_b64 exec, exec, s[10:11]
.LBB124_349:
	s_or_b64 exec, exec, s[2:3]
	v_and_b32_e32 v6, 7, v6
	v_cmp_ne_u32_e32 vcc, 0, v6
	s_and_saveexec_b64 s[2:3], vcc
	s_cbranch_execz .LBB124_353
; %bb.350:
	v_lshlrev_b32_e32 v10, 4, v193
	v_add_u32_e32 v7, 0x3d0, v10
	v_add_u32_e32 v192, 0, v10
	s_mov_b64 s[10:11], 0
.LBB124_351:                            ; =>This Inner Loop Header: Depth=1
	scratch_load_dwordx4 v[194:197], v192, off
	ds_read_b128 v[198:201], v7
	v_add_u32_e32 v6, -1, v6
	v_cmp_eq_u32_e32 vcc, 0, v6
	v_add_u32_e32 v7, 16, v7
	v_add_u32_e32 v192, 16, v192
	s_or_b64 s[10:11], vcc, s[10:11]
	s_waitcnt vmcnt(0) lgkmcnt(0)
	v_mul_f64 v[10:11], v[200:201], v[196:197]
	v_mul_f64 v[52:53], v[198:199], v[196:197]
	v_fma_f64 v[10:11], v[198:199], v[194:195], -v[10:11]
	v_fmac_f64_e32 v[52:53], v[200:201], v[194:195]
	v_add_f64 v[2:3], v[2:3], v[10:11]
	v_add_f64 v[4:5], v[4:5], v[52:53]
	s_andn2_b64 exec, exec, s[10:11]
	s_cbranch_execnz .LBB124_351
; %bb.352:
	s_or_b64 exec, exec, s[10:11]
.LBB124_353:
	s_or_b64 exec, exec, s[2:3]
.LBB124_354:
	s_or_b64 exec, exec, s[8:9]
	v_mov_b32_e32 v6, 0
	ds_read_b128 v[192:195], v6 offset:544
	s_waitcnt lgkmcnt(0)
	v_mul_f64 v[6:7], v[4:5], v[194:195]
	v_mul_f64 v[196:197], v[2:3], v[194:195]
	v_fma_f64 v[194:195], v[2:3], v[192:193], -v[6:7]
	v_fmac_f64_e32 v[196:197], v[4:5], v[192:193]
	scratch_store_dwordx4 off, v[194:197], off offset:544
.LBB124_355:
	s_or_b64 exec, exec, s[4:5]
	scratch_load_dwordx4 v[2:5], v159, off
	v_cmp_lt_u32_e64 s[2:3], 33, v0
	s_waitcnt vmcnt(0)
	ds_write_b128 v9, v[2:5]
	s_waitcnt lgkmcnt(0)
	; wave barrier
	s_waitcnt lgkmcnt(0)
	s_and_saveexec_b64 s[4:5], s[2:3]
	s_cbranch_execz .LBB124_369
; %bb.356:
	ds_read_b128 v[2:5], v9
	s_andn2_b64 vcc, exec, s[6:7]
	s_cbranch_vccnz .LBB124_358
; %bb.357:
	scratch_load_dwordx4 v[192:195], v8, off
	s_waitcnt vmcnt(0) lgkmcnt(0)
	v_mul_f64 v[10:11], v[2:3], v[194:195]
	v_mul_f64 v[6:7], v[4:5], v[194:195]
	v_fmac_f64_e32 v[10:11], v[4:5], v[192:193]
	v_fma_f64 v[2:3], v[2:3], v[192:193], -v[6:7]
	v_mov_b64_e32 v[4:5], v[10:11]
.LBB124_358:
	s_and_saveexec_b64 s[8:9], s[0:1]
	s_cbranch_execz .LBB124_368
; %bb.359:
	v_subrev_u32_e32 v7, 35, v0
	v_subrev_u32_e32 v6, 34, v0
	v_cmp_lt_u32_e32 vcc, 6, v7
	v_mov_b32_e32 v193, 34
	s_and_saveexec_b64 s[0:1], vcc
	s_cbranch_execz .LBB124_363
; %bb.360:
	v_and_b32_e32 v7, -8, v6
	s_mov_b32 s12, 0
	s_mov_b64 s[10:11], 0
	v_mov_b32_e32 v192, 0
	s_mov_b32 s13, 0
.LBB124_361:                            ; =>This Inner Loop Header: Depth=1
	v_readfirstlane_b32 s14, v192
	s_add_i32 s14, s14, s12
	s_add_i32 s15, s14, 0x220
	v_mov_b32_e32 v49, s12
	ds_read_b128 v[194:197], v49 offset:1520
	ds_read_b128 v[198:201], v49 offset:1536
	;; [unrolled: 1-line block ×4, first 2 shown]
	scratch_load_dwordx4 v[210:213], off, s15
	s_add_i32 s15, s14, 0x230
	s_addk_i32 s12, 0x80
	s_waitcnt vmcnt(0) lgkmcnt(3)
	v_mul_f64 v[10:11], v[196:197], v[212:213]
	v_mul_f64 v[52:53], v[194:195], v[212:213]
	v_fma_f64 v[10:11], v[194:195], v[210:211], -v[10:11]
	v_fmac_f64_e32 v[52:53], v[196:197], v[210:211]
	v_add_f64 v[10:11], v[2:3], v[10:11]
	v_add_f64 v[52:53], v[4:5], v[52:53]
	scratch_load_dwordx4 v[2:5], off, s15
	s_add_i32 s15, s14, 0x240
	s_waitcnt vmcnt(0) lgkmcnt(2)
	v_mul_f64 v[194:195], v[200:201], v[4:5]
	v_mul_f64 v[4:5], v[198:199], v[4:5]
	v_fmac_f64_e32 v[4:5], v[200:201], v[2:3]
	v_fma_f64 v[194:195], v[198:199], v[2:3], -v[194:195]
	v_add_f64 v[52:53], v[52:53], v[4:5]
	scratch_load_dwordx4 v[2:5], off, s15
	v_add_f64 v[10:11], v[10:11], v[194:195]
	s_add_i32 s15, s14, 0x250
	s_waitcnt vmcnt(0) lgkmcnt(1)
	v_mul_f64 v[194:195], v[204:205], v[4:5]
	v_mul_f64 v[4:5], v[202:203], v[4:5]
	v_fmac_f64_e32 v[4:5], v[204:205], v[2:3]
	v_fma_f64 v[194:195], v[202:203], v[2:3], -v[194:195]
	v_add_f64 v[52:53], v[52:53], v[4:5]
	scratch_load_dwordx4 v[2:5], off, s15
	v_add_f64 v[10:11], v[10:11], v[194:195]
	s_add_i32 s15, s14, 0x260
	s_waitcnt vmcnt(0) lgkmcnt(0)
	v_mul_f64 v[194:195], v[208:209], v[4:5]
	v_fma_f64 v[194:195], v[206:207], v[2:3], -v[194:195]
	v_add_f64 v[10:11], v[10:11], v[194:195]
	scratch_load_dwordx4 v[194:197], off, s15
	v_mul_f64 v[4:5], v[206:207], v[4:5]
	v_fmac_f64_e32 v[4:5], v[208:209], v[2:3]
	v_add_f64 v[52:53], v[52:53], v[4:5]
	ds_read_b128 v[2:5], v49 offset:1584
	s_add_i32 s15, s14, 0x270
	s_waitcnt vmcnt(0) lgkmcnt(0)
	v_mul_f64 v[198:199], v[4:5], v[196:197]
	v_fma_f64 v[198:199], v[2:3], v[194:195], -v[198:199]
	v_mul_f64 v[2:3], v[2:3], v[196:197]
	v_fmac_f64_e32 v[2:3], v[4:5], v[194:195]
	scratch_load_dwordx4 v[194:197], off, s15
	v_add_f64 v[52:53], v[52:53], v[2:3]
	ds_read_b128 v[2:5], v49 offset:1600
	v_add_f64 v[10:11], v[10:11], v[198:199]
	s_add_i32 s15, s14, 0x280
	s_addk_i32 s14, 0x290
	s_waitcnt vmcnt(0) lgkmcnt(0)
	v_mul_f64 v[198:199], v[4:5], v[196:197]
	v_fma_f64 v[198:199], v[2:3], v[194:195], -v[198:199]
	v_mul_f64 v[2:3], v[2:3], v[196:197]
	v_fmac_f64_e32 v[2:3], v[4:5], v[194:195]
	scratch_load_dwordx4 v[194:197], off, s15
	v_add_f64 v[52:53], v[52:53], v[2:3]
	ds_read_b128 v[2:5], v49 offset:1616
	v_add_f64 v[10:11], v[10:11], v[198:199]
	s_waitcnt vmcnt(0) lgkmcnt(0)
	v_mul_f64 v[198:199], v[4:5], v[196:197]
	v_fma_f64 v[198:199], v[2:3], v[194:195], -v[198:199]
	v_mul_f64 v[2:3], v[2:3], v[196:197]
	v_fmac_f64_e32 v[2:3], v[4:5], v[194:195]
	scratch_load_dwordx4 v[194:197], off, s14
	v_add_f64 v[52:53], v[52:53], v[2:3]
	ds_read_b128 v[2:5], v49 offset:1632
	v_add_f64 v[10:11], v[10:11], v[198:199]
	s_add_i32 s14, s13, 8
	v_cmp_eq_u32_e32 vcc, s14, v7
	s_add_i32 s13, s13, 42
	s_or_b64 s[10:11], vcc, s[10:11]
	v_mov_b32_e32 v193, s13
	s_mov_b32 s13, s14
	s_waitcnt vmcnt(0) lgkmcnt(0)
	v_mul_f64 v[198:199], v[4:5], v[196:197]
	v_mul_f64 v[196:197], v[2:3], v[196:197]
	v_fma_f64 v[198:199], v[2:3], v[194:195], -v[198:199]
	v_fmac_f64_e32 v[196:197], v[4:5], v[194:195]
	v_add_f64 v[2:3], v[10:11], v[198:199]
	v_add_f64 v[4:5], v[52:53], v[196:197]
	s_andn2_b64 exec, exec, s[10:11]
	s_cbranch_execnz .LBB124_361
; %bb.362:
	s_or_b64 exec, exec, s[10:11]
.LBB124_363:
	s_or_b64 exec, exec, s[0:1]
	v_and_b32_e32 v6, 7, v6
	v_cmp_ne_u32_e32 vcc, 0, v6
	s_and_saveexec_b64 s[0:1], vcc
	s_cbranch_execz .LBB124_367
; %bb.364:
	v_lshlrev_b32_e32 v10, 4, v193
	v_add_u32_e32 v7, 0x3d0, v10
	v_add_u32_e32 v192, 0, v10
	s_mov_b64 s[10:11], 0
.LBB124_365:                            ; =>This Inner Loop Header: Depth=1
	scratch_load_dwordx4 v[194:197], v192, off
	ds_read_b128 v[198:201], v7
	v_add_u32_e32 v6, -1, v6
	v_cmp_eq_u32_e32 vcc, 0, v6
	v_add_u32_e32 v7, 16, v7
	v_add_u32_e32 v192, 16, v192
	s_or_b64 s[10:11], vcc, s[10:11]
	s_waitcnt vmcnt(0) lgkmcnt(0)
	v_mul_f64 v[10:11], v[200:201], v[196:197]
	v_mul_f64 v[52:53], v[198:199], v[196:197]
	v_fma_f64 v[10:11], v[198:199], v[194:195], -v[10:11]
	v_fmac_f64_e32 v[52:53], v[200:201], v[194:195]
	v_add_f64 v[2:3], v[2:3], v[10:11]
	v_add_f64 v[4:5], v[4:5], v[52:53]
	s_andn2_b64 exec, exec, s[10:11]
	s_cbranch_execnz .LBB124_365
; %bb.366:
	s_or_b64 exec, exec, s[10:11]
.LBB124_367:
	s_or_b64 exec, exec, s[0:1]
.LBB124_368:
	s_or_b64 exec, exec, s[8:9]
	v_mov_b32_e32 v6, 0
	ds_read_b128 v[192:195], v6 offset:528
	s_waitcnt lgkmcnt(0)
	v_mul_f64 v[6:7], v[4:5], v[194:195]
	v_mul_f64 v[196:197], v[2:3], v[194:195]
	v_fma_f64 v[194:195], v[2:3], v[192:193], -v[6:7]
	v_fmac_f64_e32 v[196:197], v[4:5], v[192:193]
	scratch_store_dwordx4 off, v[194:197], off offset:528
.LBB124_369:
	s_or_b64 exec, exec, s[4:5]
	scratch_load_dwordx4 v[2:5], v160, off
	v_cmp_lt_u32_e64 s[0:1], 32, v0
	s_waitcnt vmcnt(0)
	ds_write_b128 v9, v[2:5]
	s_waitcnt lgkmcnt(0)
	; wave barrier
	s_waitcnt lgkmcnt(0)
	s_and_saveexec_b64 s[4:5], s[0:1]
	s_cbranch_execz .LBB124_383
; %bb.370:
	ds_read_b128 v[2:5], v9
	s_andn2_b64 vcc, exec, s[6:7]
	s_cbranch_vccnz .LBB124_372
; %bb.371:
	scratch_load_dwordx4 v[192:195], v8, off
	s_waitcnt vmcnt(0) lgkmcnt(0)
	v_mul_f64 v[10:11], v[2:3], v[194:195]
	v_mul_f64 v[6:7], v[4:5], v[194:195]
	v_fmac_f64_e32 v[10:11], v[4:5], v[192:193]
	v_fma_f64 v[2:3], v[2:3], v[192:193], -v[6:7]
	v_mov_b64_e32 v[4:5], v[10:11]
.LBB124_372:
	s_and_saveexec_b64 s[8:9], s[2:3]
	s_cbranch_execz .LBB124_382
; %bb.373:
	v_subrev_u32_e32 v7, 34, v0
	v_subrev_u32_e32 v6, 33, v0
	v_cmp_lt_u32_e32 vcc, 6, v7
	v_mov_b32_e32 v193, 33
	s_and_saveexec_b64 s[2:3], vcc
	s_cbranch_execz .LBB124_377
; %bb.374:
	v_and_b32_e32 v7, -8, v6
	s_mov_b32 s12, 0
	s_mov_b64 s[10:11], 0
	v_mov_b32_e32 v192, 0
	s_mov_b32 s13, 0
.LBB124_375:                            ; =>This Inner Loop Header: Depth=1
	v_readfirstlane_b32 s14, v192
	s_add_i32 s14, s14, s12
	s_add_i32 s15, s14, 0x210
	v_mov_b32_e32 v49, s12
	ds_read_b128 v[194:197], v49 offset:1504
	ds_read_b128 v[198:201], v49 offset:1520
	;; [unrolled: 1-line block ×4, first 2 shown]
	scratch_load_dwordx4 v[210:213], off, s15
	s_add_i32 s15, s14, 0x220
	s_addk_i32 s12, 0x80
	s_waitcnt vmcnt(0) lgkmcnt(3)
	v_mul_f64 v[10:11], v[196:197], v[212:213]
	v_mul_f64 v[52:53], v[194:195], v[212:213]
	v_fma_f64 v[10:11], v[194:195], v[210:211], -v[10:11]
	v_fmac_f64_e32 v[52:53], v[196:197], v[210:211]
	v_add_f64 v[10:11], v[2:3], v[10:11]
	v_add_f64 v[52:53], v[4:5], v[52:53]
	scratch_load_dwordx4 v[2:5], off, s15
	s_add_i32 s15, s14, 0x230
	s_waitcnt vmcnt(0) lgkmcnt(2)
	v_mul_f64 v[194:195], v[200:201], v[4:5]
	v_mul_f64 v[4:5], v[198:199], v[4:5]
	v_fmac_f64_e32 v[4:5], v[200:201], v[2:3]
	v_fma_f64 v[194:195], v[198:199], v[2:3], -v[194:195]
	v_add_f64 v[52:53], v[52:53], v[4:5]
	scratch_load_dwordx4 v[2:5], off, s15
	v_add_f64 v[10:11], v[10:11], v[194:195]
	s_add_i32 s15, s14, 0x240
	s_waitcnt vmcnt(0) lgkmcnt(1)
	v_mul_f64 v[194:195], v[204:205], v[4:5]
	v_mul_f64 v[4:5], v[202:203], v[4:5]
	v_fmac_f64_e32 v[4:5], v[204:205], v[2:3]
	v_fma_f64 v[194:195], v[202:203], v[2:3], -v[194:195]
	v_add_f64 v[52:53], v[52:53], v[4:5]
	scratch_load_dwordx4 v[2:5], off, s15
	v_add_f64 v[10:11], v[10:11], v[194:195]
	s_add_i32 s15, s14, 0x250
	s_waitcnt vmcnt(0) lgkmcnt(0)
	v_mul_f64 v[194:195], v[208:209], v[4:5]
	v_fma_f64 v[194:195], v[206:207], v[2:3], -v[194:195]
	v_add_f64 v[10:11], v[10:11], v[194:195]
	scratch_load_dwordx4 v[194:197], off, s15
	v_mul_f64 v[4:5], v[206:207], v[4:5]
	v_fmac_f64_e32 v[4:5], v[208:209], v[2:3]
	v_add_f64 v[52:53], v[52:53], v[4:5]
	ds_read_b128 v[2:5], v49 offset:1568
	s_add_i32 s15, s14, 0x260
	s_waitcnt vmcnt(0) lgkmcnt(0)
	v_mul_f64 v[198:199], v[4:5], v[196:197]
	v_fma_f64 v[198:199], v[2:3], v[194:195], -v[198:199]
	v_mul_f64 v[2:3], v[2:3], v[196:197]
	v_fmac_f64_e32 v[2:3], v[4:5], v[194:195]
	scratch_load_dwordx4 v[194:197], off, s15
	v_add_f64 v[52:53], v[52:53], v[2:3]
	ds_read_b128 v[2:5], v49 offset:1584
	v_add_f64 v[10:11], v[10:11], v[198:199]
	s_add_i32 s15, s14, 0x270
	s_addk_i32 s14, 0x280
	s_waitcnt vmcnt(0) lgkmcnt(0)
	v_mul_f64 v[198:199], v[4:5], v[196:197]
	v_fma_f64 v[198:199], v[2:3], v[194:195], -v[198:199]
	v_mul_f64 v[2:3], v[2:3], v[196:197]
	v_fmac_f64_e32 v[2:3], v[4:5], v[194:195]
	scratch_load_dwordx4 v[194:197], off, s15
	v_add_f64 v[52:53], v[52:53], v[2:3]
	ds_read_b128 v[2:5], v49 offset:1600
	v_add_f64 v[10:11], v[10:11], v[198:199]
	s_waitcnt vmcnt(0) lgkmcnt(0)
	v_mul_f64 v[198:199], v[4:5], v[196:197]
	v_fma_f64 v[198:199], v[2:3], v[194:195], -v[198:199]
	v_mul_f64 v[2:3], v[2:3], v[196:197]
	v_fmac_f64_e32 v[2:3], v[4:5], v[194:195]
	scratch_load_dwordx4 v[194:197], off, s14
	v_add_f64 v[52:53], v[52:53], v[2:3]
	ds_read_b128 v[2:5], v49 offset:1616
	v_add_f64 v[10:11], v[10:11], v[198:199]
	s_add_i32 s14, s13, 8
	v_cmp_eq_u32_e32 vcc, s14, v7
	s_add_i32 s13, s13, 41
	s_or_b64 s[10:11], vcc, s[10:11]
	v_mov_b32_e32 v193, s13
	s_mov_b32 s13, s14
	s_waitcnt vmcnt(0) lgkmcnt(0)
	v_mul_f64 v[198:199], v[4:5], v[196:197]
	v_mul_f64 v[196:197], v[2:3], v[196:197]
	v_fma_f64 v[198:199], v[2:3], v[194:195], -v[198:199]
	v_fmac_f64_e32 v[196:197], v[4:5], v[194:195]
	v_add_f64 v[2:3], v[10:11], v[198:199]
	v_add_f64 v[4:5], v[52:53], v[196:197]
	s_andn2_b64 exec, exec, s[10:11]
	s_cbranch_execnz .LBB124_375
; %bb.376:
	s_or_b64 exec, exec, s[10:11]
.LBB124_377:
	s_or_b64 exec, exec, s[2:3]
	v_and_b32_e32 v6, 7, v6
	v_cmp_ne_u32_e32 vcc, 0, v6
	s_and_saveexec_b64 s[2:3], vcc
	s_cbranch_execz .LBB124_381
; %bb.378:
	v_lshlrev_b32_e32 v10, 4, v193
	v_add_u32_e32 v7, 0x3d0, v10
	v_add_u32_e32 v192, 0, v10
	s_mov_b64 s[10:11], 0
.LBB124_379:                            ; =>This Inner Loop Header: Depth=1
	scratch_load_dwordx4 v[194:197], v192, off
	ds_read_b128 v[198:201], v7
	v_add_u32_e32 v6, -1, v6
	v_cmp_eq_u32_e32 vcc, 0, v6
	v_add_u32_e32 v7, 16, v7
	v_add_u32_e32 v192, 16, v192
	s_or_b64 s[10:11], vcc, s[10:11]
	s_waitcnt vmcnt(0) lgkmcnt(0)
	v_mul_f64 v[10:11], v[200:201], v[196:197]
	v_mul_f64 v[52:53], v[198:199], v[196:197]
	v_fma_f64 v[10:11], v[198:199], v[194:195], -v[10:11]
	v_fmac_f64_e32 v[52:53], v[200:201], v[194:195]
	v_add_f64 v[2:3], v[2:3], v[10:11]
	v_add_f64 v[4:5], v[4:5], v[52:53]
	s_andn2_b64 exec, exec, s[10:11]
	s_cbranch_execnz .LBB124_379
; %bb.380:
	s_or_b64 exec, exec, s[10:11]
.LBB124_381:
	s_or_b64 exec, exec, s[2:3]
.LBB124_382:
	s_or_b64 exec, exec, s[8:9]
	v_mov_b32_e32 v6, 0
	ds_read_b128 v[192:195], v6 offset:512
	s_waitcnt lgkmcnt(0)
	v_mul_f64 v[6:7], v[4:5], v[194:195]
	v_mul_f64 v[196:197], v[2:3], v[194:195]
	v_fma_f64 v[194:195], v[2:3], v[192:193], -v[6:7]
	v_fmac_f64_e32 v[196:197], v[4:5], v[192:193]
	scratch_store_dwordx4 off, v[194:197], off offset:512
.LBB124_383:
	s_or_b64 exec, exec, s[4:5]
	scratch_load_dwordx4 v[2:5], v161, off
	v_cmp_lt_u32_e64 s[2:3], 31, v0
	s_waitcnt vmcnt(0)
	ds_write_b128 v9, v[2:5]
	s_waitcnt lgkmcnt(0)
	; wave barrier
	s_waitcnt lgkmcnt(0)
	s_and_saveexec_b64 s[4:5], s[2:3]
	s_cbranch_execz .LBB124_397
; %bb.384:
	ds_read_b128 v[2:5], v9
	s_andn2_b64 vcc, exec, s[6:7]
	s_cbranch_vccnz .LBB124_386
; %bb.385:
	scratch_load_dwordx4 v[192:195], v8, off
	s_waitcnt vmcnt(0) lgkmcnt(0)
	v_mul_f64 v[10:11], v[2:3], v[194:195]
	v_mul_f64 v[6:7], v[4:5], v[194:195]
	v_fmac_f64_e32 v[10:11], v[4:5], v[192:193]
	v_fma_f64 v[2:3], v[2:3], v[192:193], -v[6:7]
	v_mov_b64_e32 v[4:5], v[10:11]
.LBB124_386:
	s_and_saveexec_b64 s[8:9], s[0:1]
	s_cbranch_execz .LBB124_396
; %bb.387:
	v_subrev_u32_e32 v6, 33, v0
	v_cmp_lt_u32_e32 vcc, 6, v6
	v_mov_b32_e32 v6, 32
	s_and_saveexec_b64 s[0:1], vcc
	s_cbranch_execz .LBB124_391
; %bb.388:
	v_and_b32_e32 v6, 56, v0
	s_mov_b32 s12, 32
	s_mov_b32 s13, 0
	s_mov_b64 s[10:11], 0
	v_mov_b32_e32 v7, 0
.LBB124_389:                            ; =>This Inner Loop Header: Depth=1
	s_nop 0
	v_readfirstlane_b32 s14, v7
	s_add_i32 s14, s14, s13
	s_add_i32 s15, s14, 0x200
	v_mov_b32_e32 v49, s13
	ds_read_b128 v[192:195], v49 offset:1488
	ds_read_b128 v[196:199], v49 offset:1504
	;; [unrolled: 1-line block ×4, first 2 shown]
	scratch_load_dwordx4 v[208:211], off, s15
	s_add_i32 s15, s14, 0x210
	s_add_i32 s12, s12, 8
	s_addk_i32 s13, 0x80
	v_cmp_eq_u32_e32 vcc, s12, v6
	s_waitcnt vmcnt(0) lgkmcnt(3)
	v_mul_f64 v[10:11], v[194:195], v[210:211]
	v_mul_f64 v[52:53], v[192:193], v[210:211]
	v_fma_f64 v[10:11], v[192:193], v[208:209], -v[10:11]
	v_fmac_f64_e32 v[52:53], v[194:195], v[208:209]
	v_add_f64 v[10:11], v[2:3], v[10:11]
	v_add_f64 v[52:53], v[4:5], v[52:53]
	scratch_load_dwordx4 v[2:5], off, s15
	s_add_i32 s15, s14, 0x220
	s_waitcnt vmcnt(0) lgkmcnt(2)
	v_mul_f64 v[192:193], v[198:199], v[4:5]
	v_mul_f64 v[4:5], v[196:197], v[4:5]
	v_fmac_f64_e32 v[4:5], v[198:199], v[2:3]
	v_fma_f64 v[192:193], v[196:197], v[2:3], -v[192:193]
	v_add_f64 v[52:53], v[52:53], v[4:5]
	scratch_load_dwordx4 v[2:5], off, s15
	v_add_f64 v[10:11], v[10:11], v[192:193]
	s_add_i32 s15, s14, 0x230
	s_waitcnt vmcnt(0) lgkmcnt(1)
	v_mul_f64 v[192:193], v[202:203], v[4:5]
	v_mul_f64 v[4:5], v[200:201], v[4:5]
	v_fmac_f64_e32 v[4:5], v[202:203], v[2:3]
	v_fma_f64 v[192:193], v[200:201], v[2:3], -v[192:193]
	v_add_f64 v[52:53], v[52:53], v[4:5]
	scratch_load_dwordx4 v[2:5], off, s15
	v_add_f64 v[10:11], v[10:11], v[192:193]
	s_add_i32 s15, s14, 0x240
	s_waitcnt vmcnt(0) lgkmcnt(0)
	v_mul_f64 v[192:193], v[206:207], v[4:5]
	v_fma_f64 v[192:193], v[204:205], v[2:3], -v[192:193]
	v_add_f64 v[10:11], v[10:11], v[192:193]
	scratch_load_dwordx4 v[192:195], off, s15
	v_mul_f64 v[4:5], v[204:205], v[4:5]
	v_fmac_f64_e32 v[4:5], v[206:207], v[2:3]
	v_add_f64 v[52:53], v[52:53], v[4:5]
	ds_read_b128 v[2:5], v49 offset:1552
	s_add_i32 s15, s14, 0x250
	s_waitcnt vmcnt(0) lgkmcnt(0)
	v_mul_f64 v[196:197], v[4:5], v[194:195]
	v_fma_f64 v[196:197], v[2:3], v[192:193], -v[196:197]
	v_mul_f64 v[2:3], v[2:3], v[194:195]
	v_fmac_f64_e32 v[2:3], v[4:5], v[192:193]
	scratch_load_dwordx4 v[192:195], off, s15
	v_add_f64 v[52:53], v[52:53], v[2:3]
	ds_read_b128 v[2:5], v49 offset:1568
	v_add_f64 v[10:11], v[10:11], v[196:197]
	s_add_i32 s15, s14, 0x260
	s_addk_i32 s14, 0x270
	s_or_b64 s[10:11], vcc, s[10:11]
	s_waitcnt vmcnt(0) lgkmcnt(0)
	v_mul_f64 v[196:197], v[4:5], v[194:195]
	v_fma_f64 v[196:197], v[2:3], v[192:193], -v[196:197]
	v_mul_f64 v[2:3], v[2:3], v[194:195]
	v_fmac_f64_e32 v[2:3], v[4:5], v[192:193]
	scratch_load_dwordx4 v[192:195], off, s15
	v_add_f64 v[52:53], v[52:53], v[2:3]
	ds_read_b128 v[2:5], v49 offset:1584
	v_add_f64 v[10:11], v[10:11], v[196:197]
	s_waitcnt vmcnt(0) lgkmcnt(0)
	v_mul_f64 v[196:197], v[4:5], v[194:195]
	v_fma_f64 v[196:197], v[2:3], v[192:193], -v[196:197]
	v_mul_f64 v[2:3], v[2:3], v[194:195]
	v_fmac_f64_e32 v[2:3], v[4:5], v[192:193]
	scratch_load_dwordx4 v[192:195], off, s14
	v_add_f64 v[52:53], v[52:53], v[2:3]
	ds_read_b128 v[2:5], v49 offset:1600
	v_add_f64 v[10:11], v[10:11], v[196:197]
	s_waitcnt vmcnt(0) lgkmcnt(0)
	v_mul_f64 v[196:197], v[4:5], v[194:195]
	v_mul_f64 v[194:195], v[2:3], v[194:195]
	v_fma_f64 v[196:197], v[2:3], v[192:193], -v[196:197]
	v_fmac_f64_e32 v[194:195], v[4:5], v[192:193]
	v_add_f64 v[2:3], v[10:11], v[196:197]
	v_add_f64 v[4:5], v[52:53], v[194:195]
	s_andn2_b64 exec, exec, s[10:11]
	s_cbranch_execnz .LBB124_389
; %bb.390:
	s_or_b64 exec, exec, s[10:11]
.LBB124_391:
	s_or_b64 exec, exec, s[0:1]
	v_and_b32_e32 v7, 7, v0
	v_cmp_ne_u32_e32 vcc, 0, v7
	s_and_saveexec_b64 s[0:1], vcc
	s_cbranch_execz .LBB124_395
; %bb.392:
	v_lshlrev_b32_e32 v10, 4, v6
	v_add_u32_e32 v6, 0x3d0, v10
	v_add_u32_e32 v192, 0, v10
	s_mov_b64 s[10:11], 0
.LBB124_393:                            ; =>This Inner Loop Header: Depth=1
	scratch_load_dwordx4 v[194:197], v192, off
	ds_read_b128 v[198:201], v6
	v_add_u32_e32 v7, -1, v7
	v_cmp_eq_u32_e32 vcc, 0, v7
	v_add_u32_e32 v6, 16, v6
	v_add_u32_e32 v192, 16, v192
	s_or_b64 s[10:11], vcc, s[10:11]
	s_waitcnt vmcnt(0) lgkmcnt(0)
	v_mul_f64 v[10:11], v[200:201], v[196:197]
	v_mul_f64 v[52:53], v[198:199], v[196:197]
	v_fma_f64 v[10:11], v[198:199], v[194:195], -v[10:11]
	v_fmac_f64_e32 v[52:53], v[200:201], v[194:195]
	v_add_f64 v[2:3], v[2:3], v[10:11]
	v_add_f64 v[4:5], v[4:5], v[52:53]
	s_andn2_b64 exec, exec, s[10:11]
	s_cbranch_execnz .LBB124_393
; %bb.394:
	s_or_b64 exec, exec, s[10:11]
.LBB124_395:
	s_or_b64 exec, exec, s[0:1]
.LBB124_396:
	s_or_b64 exec, exec, s[8:9]
	v_mov_b32_e32 v6, 0
	ds_read_b128 v[192:195], v6 offset:496
	s_waitcnt lgkmcnt(0)
	v_mul_f64 v[6:7], v[4:5], v[194:195]
	v_mul_f64 v[196:197], v[2:3], v[194:195]
	v_fma_f64 v[194:195], v[2:3], v[192:193], -v[6:7]
	v_fmac_f64_e32 v[196:197], v[4:5], v[192:193]
	scratch_store_dwordx4 off, v[194:197], off offset:496
.LBB124_397:
	s_or_b64 exec, exec, s[4:5]
	scratch_load_dwordx4 v[2:5], v162, off
	v_cmp_lt_u32_e64 s[0:1], 30, v0
	s_waitcnt vmcnt(0)
	ds_write_b128 v9, v[2:5]
	s_waitcnt lgkmcnt(0)
	; wave barrier
	s_waitcnt lgkmcnt(0)
	s_and_saveexec_b64 s[4:5], s[0:1]
	s_cbranch_execz .LBB124_411
; %bb.398:
	ds_read_b128 v[2:5], v9
	s_andn2_b64 vcc, exec, s[6:7]
	s_cbranch_vccnz .LBB124_400
; %bb.399:
	scratch_load_dwordx4 v[192:195], v8, off
	s_waitcnt vmcnt(0) lgkmcnt(0)
	v_mul_f64 v[10:11], v[2:3], v[194:195]
	v_mul_f64 v[6:7], v[4:5], v[194:195]
	v_fmac_f64_e32 v[10:11], v[4:5], v[192:193]
	v_fma_f64 v[2:3], v[2:3], v[192:193], -v[6:7]
	v_mov_b64_e32 v[4:5], v[10:11]
.LBB124_400:
	s_and_saveexec_b64 s[8:9], s[2:3]
	s_cbranch_execz .LBB124_410
; %bb.401:
	v_subrev_u32_e32 v7, 32, v0
	v_subrev_u32_e32 v6, 31, v0
	v_cmp_lt_u32_e32 vcc, 6, v7
	v_mov_b32_e32 v193, 31
	s_and_saveexec_b64 s[2:3], vcc
	s_cbranch_execz .LBB124_405
; %bb.402:
	v_and_b32_e32 v7, -8, v6
	s_mov_b32 s12, 0
	s_mov_b64 s[10:11], 0
	v_mov_b32_e32 v192, 0
	s_mov_b32 s13, 0
.LBB124_403:                            ; =>This Inner Loop Header: Depth=1
	v_readfirstlane_b32 s14, v192
	s_add_i32 s14, s14, s12
	s_add_i32 s15, s14, 0x1f0
	v_mov_b32_e32 v49, s12
	ds_read_b128 v[194:197], v49 offset:1472
	ds_read_b128 v[198:201], v49 offset:1488
	;; [unrolled: 1-line block ×4, first 2 shown]
	scratch_load_dwordx4 v[210:213], off, s15
	s_add_i32 s15, s14, 0x200
	s_addk_i32 s12, 0x80
	s_waitcnt vmcnt(0) lgkmcnt(3)
	v_mul_f64 v[10:11], v[196:197], v[212:213]
	v_mul_f64 v[52:53], v[194:195], v[212:213]
	v_fma_f64 v[10:11], v[194:195], v[210:211], -v[10:11]
	v_fmac_f64_e32 v[52:53], v[196:197], v[210:211]
	v_add_f64 v[10:11], v[2:3], v[10:11]
	v_add_f64 v[52:53], v[4:5], v[52:53]
	scratch_load_dwordx4 v[2:5], off, s15
	s_add_i32 s15, s14, 0x210
	s_waitcnt vmcnt(0) lgkmcnt(2)
	v_mul_f64 v[194:195], v[200:201], v[4:5]
	v_mul_f64 v[4:5], v[198:199], v[4:5]
	v_fmac_f64_e32 v[4:5], v[200:201], v[2:3]
	v_fma_f64 v[194:195], v[198:199], v[2:3], -v[194:195]
	v_add_f64 v[52:53], v[52:53], v[4:5]
	scratch_load_dwordx4 v[2:5], off, s15
	v_add_f64 v[10:11], v[10:11], v[194:195]
	s_add_i32 s15, s14, 0x220
	s_waitcnt vmcnt(0) lgkmcnt(1)
	v_mul_f64 v[194:195], v[204:205], v[4:5]
	v_mul_f64 v[4:5], v[202:203], v[4:5]
	v_fmac_f64_e32 v[4:5], v[204:205], v[2:3]
	v_fma_f64 v[194:195], v[202:203], v[2:3], -v[194:195]
	v_add_f64 v[52:53], v[52:53], v[4:5]
	scratch_load_dwordx4 v[2:5], off, s15
	v_add_f64 v[10:11], v[10:11], v[194:195]
	s_add_i32 s15, s14, 0x230
	s_waitcnt vmcnt(0) lgkmcnt(0)
	v_mul_f64 v[194:195], v[208:209], v[4:5]
	v_fma_f64 v[194:195], v[206:207], v[2:3], -v[194:195]
	v_add_f64 v[10:11], v[10:11], v[194:195]
	scratch_load_dwordx4 v[194:197], off, s15
	v_mul_f64 v[4:5], v[206:207], v[4:5]
	v_fmac_f64_e32 v[4:5], v[208:209], v[2:3]
	v_add_f64 v[52:53], v[52:53], v[4:5]
	ds_read_b128 v[2:5], v49 offset:1536
	s_add_i32 s15, s14, 0x240
	s_waitcnt vmcnt(0) lgkmcnt(0)
	v_mul_f64 v[198:199], v[4:5], v[196:197]
	v_fma_f64 v[198:199], v[2:3], v[194:195], -v[198:199]
	v_mul_f64 v[2:3], v[2:3], v[196:197]
	v_fmac_f64_e32 v[2:3], v[4:5], v[194:195]
	scratch_load_dwordx4 v[194:197], off, s15
	v_add_f64 v[52:53], v[52:53], v[2:3]
	ds_read_b128 v[2:5], v49 offset:1552
	v_add_f64 v[10:11], v[10:11], v[198:199]
	s_add_i32 s15, s14, 0x250
	s_addk_i32 s14, 0x260
	s_waitcnt vmcnt(0) lgkmcnt(0)
	v_mul_f64 v[198:199], v[4:5], v[196:197]
	v_fma_f64 v[198:199], v[2:3], v[194:195], -v[198:199]
	v_mul_f64 v[2:3], v[2:3], v[196:197]
	v_fmac_f64_e32 v[2:3], v[4:5], v[194:195]
	scratch_load_dwordx4 v[194:197], off, s15
	v_add_f64 v[52:53], v[52:53], v[2:3]
	ds_read_b128 v[2:5], v49 offset:1568
	v_add_f64 v[10:11], v[10:11], v[198:199]
	s_waitcnt vmcnt(0) lgkmcnt(0)
	v_mul_f64 v[198:199], v[4:5], v[196:197]
	v_fma_f64 v[198:199], v[2:3], v[194:195], -v[198:199]
	v_mul_f64 v[2:3], v[2:3], v[196:197]
	v_fmac_f64_e32 v[2:3], v[4:5], v[194:195]
	scratch_load_dwordx4 v[194:197], off, s14
	v_add_f64 v[52:53], v[52:53], v[2:3]
	ds_read_b128 v[2:5], v49 offset:1584
	v_add_f64 v[10:11], v[10:11], v[198:199]
	s_add_i32 s14, s13, 8
	v_cmp_eq_u32_e32 vcc, s14, v7
	s_add_i32 s13, s13, 39
	s_or_b64 s[10:11], vcc, s[10:11]
	v_mov_b32_e32 v193, s13
	s_mov_b32 s13, s14
	s_waitcnt vmcnt(0) lgkmcnt(0)
	v_mul_f64 v[198:199], v[4:5], v[196:197]
	v_mul_f64 v[196:197], v[2:3], v[196:197]
	v_fma_f64 v[198:199], v[2:3], v[194:195], -v[198:199]
	v_fmac_f64_e32 v[196:197], v[4:5], v[194:195]
	v_add_f64 v[2:3], v[10:11], v[198:199]
	v_add_f64 v[4:5], v[52:53], v[196:197]
	s_andn2_b64 exec, exec, s[10:11]
	s_cbranch_execnz .LBB124_403
; %bb.404:
	s_or_b64 exec, exec, s[10:11]
.LBB124_405:
	s_or_b64 exec, exec, s[2:3]
	v_and_b32_e32 v6, 7, v6
	v_cmp_ne_u32_e32 vcc, 0, v6
	s_and_saveexec_b64 s[2:3], vcc
	s_cbranch_execz .LBB124_409
; %bb.406:
	v_lshlrev_b32_e32 v10, 4, v193
	v_add_u32_e32 v7, 0x3d0, v10
	v_add_u32_e32 v192, 0, v10
	s_mov_b64 s[10:11], 0
.LBB124_407:                            ; =>This Inner Loop Header: Depth=1
	scratch_load_dwordx4 v[194:197], v192, off
	ds_read_b128 v[198:201], v7
	v_add_u32_e32 v6, -1, v6
	v_cmp_eq_u32_e32 vcc, 0, v6
	v_add_u32_e32 v7, 16, v7
	v_add_u32_e32 v192, 16, v192
	s_or_b64 s[10:11], vcc, s[10:11]
	s_waitcnt vmcnt(0) lgkmcnt(0)
	v_mul_f64 v[10:11], v[200:201], v[196:197]
	v_mul_f64 v[52:53], v[198:199], v[196:197]
	v_fma_f64 v[10:11], v[198:199], v[194:195], -v[10:11]
	v_fmac_f64_e32 v[52:53], v[200:201], v[194:195]
	v_add_f64 v[2:3], v[2:3], v[10:11]
	v_add_f64 v[4:5], v[4:5], v[52:53]
	s_andn2_b64 exec, exec, s[10:11]
	s_cbranch_execnz .LBB124_407
; %bb.408:
	s_or_b64 exec, exec, s[10:11]
.LBB124_409:
	s_or_b64 exec, exec, s[2:3]
.LBB124_410:
	s_or_b64 exec, exec, s[8:9]
	v_mov_b32_e32 v6, 0
	ds_read_b128 v[192:195], v6 offset:480
	s_waitcnt lgkmcnt(0)
	v_mul_f64 v[6:7], v[4:5], v[194:195]
	v_mul_f64 v[196:197], v[2:3], v[194:195]
	v_fma_f64 v[194:195], v[2:3], v[192:193], -v[6:7]
	v_fmac_f64_e32 v[196:197], v[4:5], v[192:193]
	scratch_store_dwordx4 off, v[194:197], off offset:480
.LBB124_411:
	s_or_b64 exec, exec, s[4:5]
	scratch_load_dwordx4 v[2:5], v163, off
	v_cmp_lt_u32_e64 s[2:3], 29, v0
	s_waitcnt vmcnt(0)
	ds_write_b128 v9, v[2:5]
	s_waitcnt lgkmcnt(0)
	; wave barrier
	s_waitcnt lgkmcnt(0)
	s_and_saveexec_b64 s[4:5], s[2:3]
	s_cbranch_execz .LBB124_425
; %bb.412:
	ds_read_b128 v[2:5], v9
	s_andn2_b64 vcc, exec, s[6:7]
	s_cbranch_vccnz .LBB124_414
; %bb.413:
	scratch_load_dwordx4 v[192:195], v8, off
	s_waitcnt vmcnt(0) lgkmcnt(0)
	v_mul_f64 v[10:11], v[2:3], v[194:195]
	v_mul_f64 v[6:7], v[4:5], v[194:195]
	v_fmac_f64_e32 v[10:11], v[4:5], v[192:193]
	v_fma_f64 v[2:3], v[2:3], v[192:193], -v[6:7]
	v_mov_b64_e32 v[4:5], v[10:11]
.LBB124_414:
	s_and_saveexec_b64 s[8:9], s[0:1]
	s_cbranch_execz .LBB124_424
; %bb.415:
	v_subrev_u32_e32 v7, 31, v0
	v_subrev_u32_e32 v6, 30, v0
	v_cmp_lt_u32_e32 vcc, 6, v7
	v_mov_b32_e32 v193, 30
	s_and_saveexec_b64 s[0:1], vcc
	s_cbranch_execz .LBB124_419
; %bb.416:
	v_and_b32_e32 v7, -8, v6
	s_mov_b32 s12, 0
	s_mov_b64 s[10:11], 0
	v_mov_b32_e32 v192, 0
	s_mov_b32 s13, 0
.LBB124_417:                            ; =>This Inner Loop Header: Depth=1
	v_readfirstlane_b32 s14, v192
	s_add_i32 s14, s14, s12
	s_add_i32 s15, s14, 0x1e0
	v_mov_b32_e32 v49, s12
	ds_read_b128 v[194:197], v49 offset:1456
	ds_read_b128 v[198:201], v49 offset:1472
	;; [unrolled: 1-line block ×4, first 2 shown]
	scratch_load_dwordx4 v[210:213], off, s15
	s_add_i32 s15, s14, 0x1f0
	s_addk_i32 s12, 0x80
	s_waitcnt vmcnt(0) lgkmcnt(3)
	v_mul_f64 v[10:11], v[196:197], v[212:213]
	v_mul_f64 v[52:53], v[194:195], v[212:213]
	v_fma_f64 v[10:11], v[194:195], v[210:211], -v[10:11]
	v_fmac_f64_e32 v[52:53], v[196:197], v[210:211]
	v_add_f64 v[10:11], v[2:3], v[10:11]
	v_add_f64 v[52:53], v[4:5], v[52:53]
	scratch_load_dwordx4 v[2:5], off, s15
	s_add_i32 s15, s14, 0x200
	s_waitcnt vmcnt(0) lgkmcnt(2)
	v_mul_f64 v[194:195], v[200:201], v[4:5]
	v_mul_f64 v[4:5], v[198:199], v[4:5]
	v_fmac_f64_e32 v[4:5], v[200:201], v[2:3]
	v_fma_f64 v[194:195], v[198:199], v[2:3], -v[194:195]
	v_add_f64 v[52:53], v[52:53], v[4:5]
	scratch_load_dwordx4 v[2:5], off, s15
	v_add_f64 v[10:11], v[10:11], v[194:195]
	s_add_i32 s15, s14, 0x210
	s_waitcnt vmcnt(0) lgkmcnt(1)
	v_mul_f64 v[194:195], v[204:205], v[4:5]
	v_mul_f64 v[4:5], v[202:203], v[4:5]
	v_fmac_f64_e32 v[4:5], v[204:205], v[2:3]
	v_fma_f64 v[194:195], v[202:203], v[2:3], -v[194:195]
	v_add_f64 v[52:53], v[52:53], v[4:5]
	scratch_load_dwordx4 v[2:5], off, s15
	v_add_f64 v[10:11], v[10:11], v[194:195]
	s_add_i32 s15, s14, 0x220
	s_waitcnt vmcnt(0) lgkmcnt(0)
	v_mul_f64 v[194:195], v[208:209], v[4:5]
	v_fma_f64 v[194:195], v[206:207], v[2:3], -v[194:195]
	v_add_f64 v[10:11], v[10:11], v[194:195]
	scratch_load_dwordx4 v[194:197], off, s15
	v_mul_f64 v[4:5], v[206:207], v[4:5]
	v_fmac_f64_e32 v[4:5], v[208:209], v[2:3]
	v_add_f64 v[52:53], v[52:53], v[4:5]
	ds_read_b128 v[2:5], v49 offset:1520
	s_add_i32 s15, s14, 0x230
	s_waitcnt vmcnt(0) lgkmcnt(0)
	v_mul_f64 v[198:199], v[4:5], v[196:197]
	v_fma_f64 v[198:199], v[2:3], v[194:195], -v[198:199]
	v_mul_f64 v[2:3], v[2:3], v[196:197]
	v_fmac_f64_e32 v[2:3], v[4:5], v[194:195]
	scratch_load_dwordx4 v[194:197], off, s15
	v_add_f64 v[52:53], v[52:53], v[2:3]
	ds_read_b128 v[2:5], v49 offset:1536
	v_add_f64 v[10:11], v[10:11], v[198:199]
	s_add_i32 s15, s14, 0x240
	s_addk_i32 s14, 0x250
	s_waitcnt vmcnt(0) lgkmcnt(0)
	v_mul_f64 v[198:199], v[4:5], v[196:197]
	v_fma_f64 v[198:199], v[2:3], v[194:195], -v[198:199]
	v_mul_f64 v[2:3], v[2:3], v[196:197]
	v_fmac_f64_e32 v[2:3], v[4:5], v[194:195]
	scratch_load_dwordx4 v[194:197], off, s15
	v_add_f64 v[52:53], v[52:53], v[2:3]
	ds_read_b128 v[2:5], v49 offset:1552
	v_add_f64 v[10:11], v[10:11], v[198:199]
	s_waitcnt vmcnt(0) lgkmcnt(0)
	v_mul_f64 v[198:199], v[4:5], v[196:197]
	v_fma_f64 v[198:199], v[2:3], v[194:195], -v[198:199]
	v_mul_f64 v[2:3], v[2:3], v[196:197]
	v_fmac_f64_e32 v[2:3], v[4:5], v[194:195]
	scratch_load_dwordx4 v[194:197], off, s14
	v_add_f64 v[52:53], v[52:53], v[2:3]
	ds_read_b128 v[2:5], v49 offset:1568
	v_add_f64 v[10:11], v[10:11], v[198:199]
	s_add_i32 s14, s13, 8
	v_cmp_eq_u32_e32 vcc, s14, v7
	s_add_i32 s13, s13, 38
	s_or_b64 s[10:11], vcc, s[10:11]
	v_mov_b32_e32 v193, s13
	s_mov_b32 s13, s14
	s_waitcnt vmcnt(0) lgkmcnt(0)
	v_mul_f64 v[198:199], v[4:5], v[196:197]
	v_mul_f64 v[196:197], v[2:3], v[196:197]
	v_fma_f64 v[198:199], v[2:3], v[194:195], -v[198:199]
	v_fmac_f64_e32 v[196:197], v[4:5], v[194:195]
	v_add_f64 v[2:3], v[10:11], v[198:199]
	v_add_f64 v[4:5], v[52:53], v[196:197]
	s_andn2_b64 exec, exec, s[10:11]
	s_cbranch_execnz .LBB124_417
; %bb.418:
	s_or_b64 exec, exec, s[10:11]
.LBB124_419:
	s_or_b64 exec, exec, s[0:1]
	v_and_b32_e32 v6, 7, v6
	v_cmp_ne_u32_e32 vcc, 0, v6
	s_and_saveexec_b64 s[0:1], vcc
	s_cbranch_execz .LBB124_423
; %bb.420:
	v_lshlrev_b32_e32 v10, 4, v193
	v_add_u32_e32 v7, 0x3d0, v10
	v_add_u32_e32 v192, 0, v10
	s_mov_b64 s[10:11], 0
.LBB124_421:                            ; =>This Inner Loop Header: Depth=1
	scratch_load_dwordx4 v[194:197], v192, off
	ds_read_b128 v[198:201], v7
	v_add_u32_e32 v6, -1, v6
	v_cmp_eq_u32_e32 vcc, 0, v6
	v_add_u32_e32 v7, 16, v7
	v_add_u32_e32 v192, 16, v192
	s_or_b64 s[10:11], vcc, s[10:11]
	s_waitcnt vmcnt(0) lgkmcnt(0)
	v_mul_f64 v[10:11], v[200:201], v[196:197]
	v_mul_f64 v[52:53], v[198:199], v[196:197]
	v_fma_f64 v[10:11], v[198:199], v[194:195], -v[10:11]
	v_fmac_f64_e32 v[52:53], v[200:201], v[194:195]
	v_add_f64 v[2:3], v[2:3], v[10:11]
	v_add_f64 v[4:5], v[4:5], v[52:53]
	s_andn2_b64 exec, exec, s[10:11]
	s_cbranch_execnz .LBB124_421
; %bb.422:
	s_or_b64 exec, exec, s[10:11]
.LBB124_423:
	s_or_b64 exec, exec, s[0:1]
.LBB124_424:
	s_or_b64 exec, exec, s[8:9]
	v_mov_b32_e32 v6, 0
	ds_read_b128 v[192:195], v6 offset:464
	s_waitcnt lgkmcnt(0)
	v_mul_f64 v[6:7], v[4:5], v[194:195]
	v_mul_f64 v[196:197], v[2:3], v[194:195]
	v_fma_f64 v[194:195], v[2:3], v[192:193], -v[6:7]
	v_fmac_f64_e32 v[196:197], v[4:5], v[192:193]
	scratch_store_dwordx4 off, v[194:197], off offset:464
.LBB124_425:
	s_or_b64 exec, exec, s[4:5]
	scratch_load_dwordx4 v[2:5], v164, off
	v_cmp_lt_u32_e64 s[0:1], 28, v0
	s_waitcnt vmcnt(0)
	ds_write_b128 v9, v[2:5]
	s_waitcnt lgkmcnt(0)
	; wave barrier
	s_waitcnt lgkmcnt(0)
	s_and_saveexec_b64 s[4:5], s[0:1]
	s_cbranch_execz .LBB124_439
; %bb.426:
	ds_read_b128 v[2:5], v9
	s_andn2_b64 vcc, exec, s[6:7]
	s_cbranch_vccnz .LBB124_428
; %bb.427:
	scratch_load_dwordx4 v[192:195], v8, off
	s_waitcnt vmcnt(0) lgkmcnt(0)
	v_mul_f64 v[10:11], v[2:3], v[194:195]
	v_mul_f64 v[6:7], v[4:5], v[194:195]
	v_fmac_f64_e32 v[10:11], v[4:5], v[192:193]
	v_fma_f64 v[2:3], v[2:3], v[192:193], -v[6:7]
	v_mov_b64_e32 v[4:5], v[10:11]
.LBB124_428:
	s_and_saveexec_b64 s[8:9], s[2:3]
	s_cbranch_execz .LBB124_438
; %bb.429:
	v_subrev_u32_e32 v7, 30, v0
	v_subrev_u32_e32 v6, 29, v0
	v_cmp_lt_u32_e32 vcc, 6, v7
	v_mov_b32_e32 v193, 29
	s_and_saveexec_b64 s[2:3], vcc
	s_cbranch_execz .LBB124_433
; %bb.430:
	v_and_b32_e32 v7, -8, v6
	s_mov_b32 s12, 0
	s_mov_b64 s[10:11], 0
	v_mov_b32_e32 v192, 0
	s_mov_b32 s13, 0
.LBB124_431:                            ; =>This Inner Loop Header: Depth=1
	v_readfirstlane_b32 s14, v192
	s_add_i32 s14, s14, s12
	s_add_i32 s15, s14, 0x1d0
	v_mov_b32_e32 v49, s12
	ds_read_b128 v[194:197], v49 offset:1440
	ds_read_b128 v[198:201], v49 offset:1456
	;; [unrolled: 1-line block ×4, first 2 shown]
	scratch_load_dwordx4 v[210:213], off, s15
	s_add_i32 s15, s14, 0x1e0
	s_addk_i32 s12, 0x80
	s_waitcnt vmcnt(0) lgkmcnt(3)
	v_mul_f64 v[10:11], v[196:197], v[212:213]
	v_mul_f64 v[52:53], v[194:195], v[212:213]
	v_fma_f64 v[10:11], v[194:195], v[210:211], -v[10:11]
	v_fmac_f64_e32 v[52:53], v[196:197], v[210:211]
	v_add_f64 v[10:11], v[2:3], v[10:11]
	v_add_f64 v[52:53], v[4:5], v[52:53]
	scratch_load_dwordx4 v[2:5], off, s15
	s_add_i32 s15, s14, 0x1f0
	s_waitcnt vmcnt(0) lgkmcnt(2)
	v_mul_f64 v[194:195], v[200:201], v[4:5]
	v_mul_f64 v[4:5], v[198:199], v[4:5]
	v_fmac_f64_e32 v[4:5], v[200:201], v[2:3]
	v_fma_f64 v[194:195], v[198:199], v[2:3], -v[194:195]
	v_add_f64 v[52:53], v[52:53], v[4:5]
	scratch_load_dwordx4 v[2:5], off, s15
	v_add_f64 v[10:11], v[10:11], v[194:195]
	s_add_i32 s15, s14, 0x200
	s_waitcnt vmcnt(0) lgkmcnt(1)
	v_mul_f64 v[194:195], v[204:205], v[4:5]
	v_mul_f64 v[4:5], v[202:203], v[4:5]
	v_fmac_f64_e32 v[4:5], v[204:205], v[2:3]
	v_fma_f64 v[194:195], v[202:203], v[2:3], -v[194:195]
	v_add_f64 v[52:53], v[52:53], v[4:5]
	scratch_load_dwordx4 v[2:5], off, s15
	v_add_f64 v[10:11], v[10:11], v[194:195]
	s_add_i32 s15, s14, 0x210
	s_waitcnt vmcnt(0) lgkmcnt(0)
	v_mul_f64 v[194:195], v[208:209], v[4:5]
	v_fma_f64 v[194:195], v[206:207], v[2:3], -v[194:195]
	v_add_f64 v[10:11], v[10:11], v[194:195]
	scratch_load_dwordx4 v[194:197], off, s15
	v_mul_f64 v[4:5], v[206:207], v[4:5]
	v_fmac_f64_e32 v[4:5], v[208:209], v[2:3]
	v_add_f64 v[52:53], v[52:53], v[4:5]
	ds_read_b128 v[2:5], v49 offset:1504
	s_add_i32 s15, s14, 0x220
	s_waitcnt vmcnt(0) lgkmcnt(0)
	v_mul_f64 v[198:199], v[4:5], v[196:197]
	v_fma_f64 v[198:199], v[2:3], v[194:195], -v[198:199]
	v_mul_f64 v[2:3], v[2:3], v[196:197]
	v_fmac_f64_e32 v[2:3], v[4:5], v[194:195]
	scratch_load_dwordx4 v[194:197], off, s15
	v_add_f64 v[52:53], v[52:53], v[2:3]
	ds_read_b128 v[2:5], v49 offset:1520
	v_add_f64 v[10:11], v[10:11], v[198:199]
	s_add_i32 s15, s14, 0x230
	s_addk_i32 s14, 0x240
	s_waitcnt vmcnt(0) lgkmcnt(0)
	v_mul_f64 v[198:199], v[4:5], v[196:197]
	v_fma_f64 v[198:199], v[2:3], v[194:195], -v[198:199]
	v_mul_f64 v[2:3], v[2:3], v[196:197]
	v_fmac_f64_e32 v[2:3], v[4:5], v[194:195]
	scratch_load_dwordx4 v[194:197], off, s15
	v_add_f64 v[52:53], v[52:53], v[2:3]
	ds_read_b128 v[2:5], v49 offset:1536
	v_add_f64 v[10:11], v[10:11], v[198:199]
	s_waitcnt vmcnt(0) lgkmcnt(0)
	v_mul_f64 v[198:199], v[4:5], v[196:197]
	v_fma_f64 v[198:199], v[2:3], v[194:195], -v[198:199]
	v_mul_f64 v[2:3], v[2:3], v[196:197]
	v_fmac_f64_e32 v[2:3], v[4:5], v[194:195]
	scratch_load_dwordx4 v[194:197], off, s14
	v_add_f64 v[52:53], v[52:53], v[2:3]
	ds_read_b128 v[2:5], v49 offset:1552
	v_add_f64 v[10:11], v[10:11], v[198:199]
	s_add_i32 s14, s13, 8
	v_cmp_eq_u32_e32 vcc, s14, v7
	s_add_i32 s13, s13, 37
	s_or_b64 s[10:11], vcc, s[10:11]
	v_mov_b32_e32 v193, s13
	s_mov_b32 s13, s14
	s_waitcnt vmcnt(0) lgkmcnt(0)
	v_mul_f64 v[198:199], v[4:5], v[196:197]
	v_mul_f64 v[196:197], v[2:3], v[196:197]
	v_fma_f64 v[198:199], v[2:3], v[194:195], -v[198:199]
	v_fmac_f64_e32 v[196:197], v[4:5], v[194:195]
	v_add_f64 v[2:3], v[10:11], v[198:199]
	v_add_f64 v[4:5], v[52:53], v[196:197]
	s_andn2_b64 exec, exec, s[10:11]
	s_cbranch_execnz .LBB124_431
; %bb.432:
	s_or_b64 exec, exec, s[10:11]
.LBB124_433:
	s_or_b64 exec, exec, s[2:3]
	v_and_b32_e32 v6, 7, v6
	v_cmp_ne_u32_e32 vcc, 0, v6
	s_and_saveexec_b64 s[2:3], vcc
	s_cbranch_execz .LBB124_437
; %bb.434:
	v_lshlrev_b32_e32 v10, 4, v193
	v_add_u32_e32 v7, 0x3d0, v10
	v_add_u32_e32 v192, 0, v10
	s_mov_b64 s[10:11], 0
.LBB124_435:                            ; =>This Inner Loop Header: Depth=1
	scratch_load_dwordx4 v[194:197], v192, off
	ds_read_b128 v[198:201], v7
	v_add_u32_e32 v6, -1, v6
	v_cmp_eq_u32_e32 vcc, 0, v6
	v_add_u32_e32 v7, 16, v7
	v_add_u32_e32 v192, 16, v192
	s_or_b64 s[10:11], vcc, s[10:11]
	s_waitcnt vmcnt(0) lgkmcnt(0)
	v_mul_f64 v[10:11], v[200:201], v[196:197]
	v_mul_f64 v[52:53], v[198:199], v[196:197]
	v_fma_f64 v[10:11], v[198:199], v[194:195], -v[10:11]
	v_fmac_f64_e32 v[52:53], v[200:201], v[194:195]
	v_add_f64 v[2:3], v[2:3], v[10:11]
	v_add_f64 v[4:5], v[4:5], v[52:53]
	s_andn2_b64 exec, exec, s[10:11]
	s_cbranch_execnz .LBB124_435
; %bb.436:
	s_or_b64 exec, exec, s[10:11]
.LBB124_437:
	s_or_b64 exec, exec, s[2:3]
.LBB124_438:
	s_or_b64 exec, exec, s[8:9]
	v_mov_b32_e32 v6, 0
	ds_read_b128 v[192:195], v6 offset:448
	s_waitcnt lgkmcnt(0)
	v_mul_f64 v[6:7], v[4:5], v[194:195]
	v_mul_f64 v[196:197], v[2:3], v[194:195]
	v_fma_f64 v[194:195], v[2:3], v[192:193], -v[6:7]
	v_fmac_f64_e32 v[196:197], v[4:5], v[192:193]
	scratch_store_dwordx4 off, v[194:197], off offset:448
.LBB124_439:
	s_or_b64 exec, exec, s[4:5]
	scratch_load_dwordx4 v[2:5], v165, off
	v_cmp_lt_u32_e64 s[2:3], 27, v0
	s_waitcnt vmcnt(0)
	ds_write_b128 v9, v[2:5]
	s_waitcnt lgkmcnt(0)
	; wave barrier
	s_waitcnt lgkmcnt(0)
	s_and_saveexec_b64 s[4:5], s[2:3]
	s_cbranch_execz .LBB124_453
; %bb.440:
	ds_read_b128 v[2:5], v9
	s_andn2_b64 vcc, exec, s[6:7]
	s_cbranch_vccnz .LBB124_442
; %bb.441:
	scratch_load_dwordx4 v[192:195], v8, off
	s_waitcnt vmcnt(0) lgkmcnt(0)
	v_mul_f64 v[10:11], v[2:3], v[194:195]
	v_mul_f64 v[6:7], v[4:5], v[194:195]
	v_fmac_f64_e32 v[10:11], v[4:5], v[192:193]
	v_fma_f64 v[2:3], v[2:3], v[192:193], -v[6:7]
	v_mov_b64_e32 v[4:5], v[10:11]
.LBB124_442:
	s_and_saveexec_b64 s[8:9], s[0:1]
	s_cbranch_execz .LBB124_452
; %bb.443:
	v_subrev_u32_e32 v7, 29, v0
	v_subrev_u32_e32 v6, 28, v0
	v_cmp_lt_u32_e32 vcc, 6, v7
	v_mov_b32_e32 v193, 28
	s_and_saveexec_b64 s[0:1], vcc
	s_cbranch_execz .LBB124_447
; %bb.444:
	v_and_b32_e32 v7, -8, v6
	s_mov_b32 s12, 0
	s_mov_b64 s[10:11], 0
	v_mov_b32_e32 v192, 0
	s_mov_b32 s13, 0
.LBB124_445:                            ; =>This Inner Loop Header: Depth=1
	v_readfirstlane_b32 s14, v192
	s_add_i32 s14, s14, s12
	s_add_i32 s15, s14, 0x1c0
	v_mov_b32_e32 v49, s12
	ds_read_b128 v[194:197], v49 offset:1424
	ds_read_b128 v[198:201], v49 offset:1440
	ds_read_b128 v[202:205], v49 offset:1456
	ds_read_b128 v[206:209], v49 offset:1472
	scratch_load_dwordx4 v[210:213], off, s15
	s_add_i32 s15, s14, 0x1d0
	s_addk_i32 s12, 0x80
	s_waitcnt vmcnt(0) lgkmcnt(3)
	v_mul_f64 v[10:11], v[196:197], v[212:213]
	v_mul_f64 v[52:53], v[194:195], v[212:213]
	v_fma_f64 v[10:11], v[194:195], v[210:211], -v[10:11]
	v_fmac_f64_e32 v[52:53], v[196:197], v[210:211]
	v_add_f64 v[10:11], v[2:3], v[10:11]
	v_add_f64 v[52:53], v[4:5], v[52:53]
	scratch_load_dwordx4 v[2:5], off, s15
	s_add_i32 s15, s14, 0x1e0
	s_waitcnt vmcnt(0) lgkmcnt(2)
	v_mul_f64 v[194:195], v[200:201], v[4:5]
	v_mul_f64 v[4:5], v[198:199], v[4:5]
	v_fmac_f64_e32 v[4:5], v[200:201], v[2:3]
	v_fma_f64 v[194:195], v[198:199], v[2:3], -v[194:195]
	v_add_f64 v[52:53], v[52:53], v[4:5]
	scratch_load_dwordx4 v[2:5], off, s15
	v_add_f64 v[10:11], v[10:11], v[194:195]
	s_add_i32 s15, s14, 0x1f0
	s_waitcnt vmcnt(0) lgkmcnt(1)
	v_mul_f64 v[194:195], v[204:205], v[4:5]
	v_mul_f64 v[4:5], v[202:203], v[4:5]
	v_fmac_f64_e32 v[4:5], v[204:205], v[2:3]
	v_fma_f64 v[194:195], v[202:203], v[2:3], -v[194:195]
	v_add_f64 v[52:53], v[52:53], v[4:5]
	scratch_load_dwordx4 v[2:5], off, s15
	v_add_f64 v[10:11], v[10:11], v[194:195]
	s_add_i32 s15, s14, 0x200
	s_waitcnt vmcnt(0) lgkmcnt(0)
	v_mul_f64 v[194:195], v[208:209], v[4:5]
	v_fma_f64 v[194:195], v[206:207], v[2:3], -v[194:195]
	v_add_f64 v[10:11], v[10:11], v[194:195]
	scratch_load_dwordx4 v[194:197], off, s15
	v_mul_f64 v[4:5], v[206:207], v[4:5]
	v_fmac_f64_e32 v[4:5], v[208:209], v[2:3]
	v_add_f64 v[52:53], v[52:53], v[4:5]
	ds_read_b128 v[2:5], v49 offset:1488
	s_add_i32 s15, s14, 0x210
	s_waitcnt vmcnt(0) lgkmcnt(0)
	v_mul_f64 v[198:199], v[4:5], v[196:197]
	v_fma_f64 v[198:199], v[2:3], v[194:195], -v[198:199]
	v_mul_f64 v[2:3], v[2:3], v[196:197]
	v_fmac_f64_e32 v[2:3], v[4:5], v[194:195]
	scratch_load_dwordx4 v[194:197], off, s15
	v_add_f64 v[52:53], v[52:53], v[2:3]
	ds_read_b128 v[2:5], v49 offset:1504
	v_add_f64 v[10:11], v[10:11], v[198:199]
	s_add_i32 s15, s14, 0x220
	s_addk_i32 s14, 0x230
	s_waitcnt vmcnt(0) lgkmcnt(0)
	v_mul_f64 v[198:199], v[4:5], v[196:197]
	v_fma_f64 v[198:199], v[2:3], v[194:195], -v[198:199]
	v_mul_f64 v[2:3], v[2:3], v[196:197]
	v_fmac_f64_e32 v[2:3], v[4:5], v[194:195]
	scratch_load_dwordx4 v[194:197], off, s15
	v_add_f64 v[52:53], v[52:53], v[2:3]
	ds_read_b128 v[2:5], v49 offset:1520
	v_add_f64 v[10:11], v[10:11], v[198:199]
	s_waitcnt vmcnt(0) lgkmcnt(0)
	v_mul_f64 v[198:199], v[4:5], v[196:197]
	v_fma_f64 v[198:199], v[2:3], v[194:195], -v[198:199]
	v_mul_f64 v[2:3], v[2:3], v[196:197]
	v_fmac_f64_e32 v[2:3], v[4:5], v[194:195]
	scratch_load_dwordx4 v[194:197], off, s14
	v_add_f64 v[52:53], v[52:53], v[2:3]
	ds_read_b128 v[2:5], v49 offset:1536
	v_add_f64 v[10:11], v[10:11], v[198:199]
	s_add_i32 s14, s13, 8
	v_cmp_eq_u32_e32 vcc, s14, v7
	s_add_i32 s13, s13, 36
	s_or_b64 s[10:11], vcc, s[10:11]
	v_mov_b32_e32 v193, s13
	s_mov_b32 s13, s14
	s_waitcnt vmcnt(0) lgkmcnt(0)
	v_mul_f64 v[198:199], v[4:5], v[196:197]
	v_mul_f64 v[196:197], v[2:3], v[196:197]
	v_fma_f64 v[198:199], v[2:3], v[194:195], -v[198:199]
	v_fmac_f64_e32 v[196:197], v[4:5], v[194:195]
	v_add_f64 v[2:3], v[10:11], v[198:199]
	v_add_f64 v[4:5], v[52:53], v[196:197]
	s_andn2_b64 exec, exec, s[10:11]
	s_cbranch_execnz .LBB124_445
; %bb.446:
	s_or_b64 exec, exec, s[10:11]
.LBB124_447:
	s_or_b64 exec, exec, s[0:1]
	v_and_b32_e32 v6, 7, v6
	v_cmp_ne_u32_e32 vcc, 0, v6
	s_and_saveexec_b64 s[0:1], vcc
	s_cbranch_execz .LBB124_451
; %bb.448:
	v_lshlrev_b32_e32 v10, 4, v193
	v_add_u32_e32 v7, 0x3d0, v10
	v_add_u32_e32 v192, 0, v10
	s_mov_b64 s[10:11], 0
.LBB124_449:                            ; =>This Inner Loop Header: Depth=1
	scratch_load_dwordx4 v[194:197], v192, off
	ds_read_b128 v[198:201], v7
	v_add_u32_e32 v6, -1, v6
	v_cmp_eq_u32_e32 vcc, 0, v6
	v_add_u32_e32 v7, 16, v7
	v_add_u32_e32 v192, 16, v192
	s_or_b64 s[10:11], vcc, s[10:11]
	s_waitcnt vmcnt(0) lgkmcnt(0)
	v_mul_f64 v[10:11], v[200:201], v[196:197]
	v_mul_f64 v[52:53], v[198:199], v[196:197]
	v_fma_f64 v[10:11], v[198:199], v[194:195], -v[10:11]
	v_fmac_f64_e32 v[52:53], v[200:201], v[194:195]
	v_add_f64 v[2:3], v[2:3], v[10:11]
	v_add_f64 v[4:5], v[4:5], v[52:53]
	s_andn2_b64 exec, exec, s[10:11]
	s_cbranch_execnz .LBB124_449
; %bb.450:
	s_or_b64 exec, exec, s[10:11]
.LBB124_451:
	s_or_b64 exec, exec, s[0:1]
.LBB124_452:
	s_or_b64 exec, exec, s[8:9]
	v_mov_b32_e32 v6, 0
	ds_read_b128 v[192:195], v6 offset:432
	s_waitcnt lgkmcnt(0)
	v_mul_f64 v[6:7], v[4:5], v[194:195]
	v_mul_f64 v[196:197], v[2:3], v[194:195]
	v_fma_f64 v[194:195], v[2:3], v[192:193], -v[6:7]
	v_fmac_f64_e32 v[196:197], v[4:5], v[192:193]
	scratch_store_dwordx4 off, v[194:197], off offset:432
.LBB124_453:
	s_or_b64 exec, exec, s[4:5]
	scratch_load_dwordx4 v[2:5], v166, off
	v_cmp_lt_u32_e64 s[0:1], 26, v0
	s_waitcnt vmcnt(0)
	ds_write_b128 v9, v[2:5]
	s_waitcnt lgkmcnt(0)
	; wave barrier
	s_waitcnt lgkmcnt(0)
	s_and_saveexec_b64 s[4:5], s[0:1]
	s_cbranch_execz .LBB124_467
; %bb.454:
	ds_read_b128 v[2:5], v9
	s_andn2_b64 vcc, exec, s[6:7]
	s_cbranch_vccnz .LBB124_456
; %bb.455:
	scratch_load_dwordx4 v[192:195], v8, off
	s_waitcnt vmcnt(0) lgkmcnt(0)
	v_mul_f64 v[10:11], v[2:3], v[194:195]
	v_mul_f64 v[6:7], v[4:5], v[194:195]
	v_fmac_f64_e32 v[10:11], v[4:5], v[192:193]
	v_fma_f64 v[2:3], v[2:3], v[192:193], -v[6:7]
	v_mov_b64_e32 v[4:5], v[10:11]
.LBB124_456:
	s_and_saveexec_b64 s[8:9], s[2:3]
	s_cbranch_execz .LBB124_466
; %bb.457:
	v_subrev_u32_e32 v7, 28, v0
	v_subrev_u32_e32 v6, 27, v0
	v_cmp_lt_u32_e32 vcc, 6, v7
	v_mov_b32_e32 v193, 27
	s_and_saveexec_b64 s[2:3], vcc
	s_cbranch_execz .LBB124_461
; %bb.458:
	v_and_b32_e32 v7, -8, v6
	s_mov_b32 s12, 0
	s_mov_b64 s[10:11], 0
	v_mov_b32_e32 v192, 0
	s_mov_b32 s13, 0
.LBB124_459:                            ; =>This Inner Loop Header: Depth=1
	v_readfirstlane_b32 s14, v192
	s_add_i32 s14, s14, s12
	s_add_i32 s15, s14, 0x1b0
	v_mov_b32_e32 v49, s12
	ds_read_b128 v[194:197], v49 offset:1408
	ds_read_b128 v[198:201], v49 offset:1424
	;; [unrolled: 1-line block ×4, first 2 shown]
	scratch_load_dwordx4 v[210:213], off, s15
	s_add_i32 s15, s14, 0x1c0
	s_addk_i32 s12, 0x80
	s_waitcnt vmcnt(0) lgkmcnt(3)
	v_mul_f64 v[10:11], v[196:197], v[212:213]
	v_mul_f64 v[52:53], v[194:195], v[212:213]
	v_fma_f64 v[10:11], v[194:195], v[210:211], -v[10:11]
	v_fmac_f64_e32 v[52:53], v[196:197], v[210:211]
	v_add_f64 v[10:11], v[2:3], v[10:11]
	v_add_f64 v[52:53], v[4:5], v[52:53]
	scratch_load_dwordx4 v[2:5], off, s15
	s_add_i32 s15, s14, 0x1d0
	s_waitcnt vmcnt(0) lgkmcnt(2)
	v_mul_f64 v[194:195], v[200:201], v[4:5]
	v_mul_f64 v[4:5], v[198:199], v[4:5]
	v_fmac_f64_e32 v[4:5], v[200:201], v[2:3]
	v_fma_f64 v[194:195], v[198:199], v[2:3], -v[194:195]
	v_add_f64 v[52:53], v[52:53], v[4:5]
	scratch_load_dwordx4 v[2:5], off, s15
	v_add_f64 v[10:11], v[10:11], v[194:195]
	s_add_i32 s15, s14, 0x1e0
	s_waitcnt vmcnt(0) lgkmcnt(1)
	v_mul_f64 v[194:195], v[204:205], v[4:5]
	v_mul_f64 v[4:5], v[202:203], v[4:5]
	v_fmac_f64_e32 v[4:5], v[204:205], v[2:3]
	v_fma_f64 v[194:195], v[202:203], v[2:3], -v[194:195]
	v_add_f64 v[52:53], v[52:53], v[4:5]
	scratch_load_dwordx4 v[2:5], off, s15
	v_add_f64 v[10:11], v[10:11], v[194:195]
	s_add_i32 s15, s14, 0x1f0
	s_waitcnt vmcnt(0) lgkmcnt(0)
	v_mul_f64 v[194:195], v[208:209], v[4:5]
	v_fma_f64 v[194:195], v[206:207], v[2:3], -v[194:195]
	v_add_f64 v[10:11], v[10:11], v[194:195]
	scratch_load_dwordx4 v[194:197], off, s15
	v_mul_f64 v[4:5], v[206:207], v[4:5]
	v_fmac_f64_e32 v[4:5], v[208:209], v[2:3]
	v_add_f64 v[52:53], v[52:53], v[4:5]
	ds_read_b128 v[2:5], v49 offset:1472
	s_add_i32 s15, s14, 0x200
	s_waitcnt vmcnt(0) lgkmcnt(0)
	v_mul_f64 v[198:199], v[4:5], v[196:197]
	v_fma_f64 v[198:199], v[2:3], v[194:195], -v[198:199]
	v_mul_f64 v[2:3], v[2:3], v[196:197]
	v_fmac_f64_e32 v[2:3], v[4:5], v[194:195]
	scratch_load_dwordx4 v[194:197], off, s15
	v_add_f64 v[52:53], v[52:53], v[2:3]
	ds_read_b128 v[2:5], v49 offset:1488
	v_add_f64 v[10:11], v[10:11], v[198:199]
	s_add_i32 s15, s14, 0x210
	s_addk_i32 s14, 0x220
	s_waitcnt vmcnt(0) lgkmcnt(0)
	v_mul_f64 v[198:199], v[4:5], v[196:197]
	v_fma_f64 v[198:199], v[2:3], v[194:195], -v[198:199]
	v_mul_f64 v[2:3], v[2:3], v[196:197]
	v_fmac_f64_e32 v[2:3], v[4:5], v[194:195]
	scratch_load_dwordx4 v[194:197], off, s15
	v_add_f64 v[52:53], v[52:53], v[2:3]
	ds_read_b128 v[2:5], v49 offset:1504
	v_add_f64 v[10:11], v[10:11], v[198:199]
	s_waitcnt vmcnt(0) lgkmcnt(0)
	v_mul_f64 v[198:199], v[4:5], v[196:197]
	v_fma_f64 v[198:199], v[2:3], v[194:195], -v[198:199]
	v_mul_f64 v[2:3], v[2:3], v[196:197]
	v_fmac_f64_e32 v[2:3], v[4:5], v[194:195]
	scratch_load_dwordx4 v[194:197], off, s14
	v_add_f64 v[52:53], v[52:53], v[2:3]
	ds_read_b128 v[2:5], v49 offset:1520
	v_add_f64 v[10:11], v[10:11], v[198:199]
	s_add_i32 s14, s13, 8
	v_cmp_eq_u32_e32 vcc, s14, v7
	s_add_i32 s13, s13, 35
	s_or_b64 s[10:11], vcc, s[10:11]
	v_mov_b32_e32 v193, s13
	s_mov_b32 s13, s14
	s_waitcnt vmcnt(0) lgkmcnt(0)
	v_mul_f64 v[198:199], v[4:5], v[196:197]
	v_mul_f64 v[196:197], v[2:3], v[196:197]
	v_fma_f64 v[198:199], v[2:3], v[194:195], -v[198:199]
	v_fmac_f64_e32 v[196:197], v[4:5], v[194:195]
	v_add_f64 v[2:3], v[10:11], v[198:199]
	v_add_f64 v[4:5], v[52:53], v[196:197]
	s_andn2_b64 exec, exec, s[10:11]
	s_cbranch_execnz .LBB124_459
; %bb.460:
	s_or_b64 exec, exec, s[10:11]
.LBB124_461:
	s_or_b64 exec, exec, s[2:3]
	v_and_b32_e32 v6, 7, v6
	v_cmp_ne_u32_e32 vcc, 0, v6
	s_and_saveexec_b64 s[2:3], vcc
	s_cbranch_execz .LBB124_465
; %bb.462:
	v_lshlrev_b32_e32 v10, 4, v193
	v_add_u32_e32 v7, 0x3d0, v10
	v_add_u32_e32 v192, 0, v10
	s_mov_b64 s[10:11], 0
.LBB124_463:                            ; =>This Inner Loop Header: Depth=1
	scratch_load_dwordx4 v[194:197], v192, off
	ds_read_b128 v[198:201], v7
	v_add_u32_e32 v6, -1, v6
	v_cmp_eq_u32_e32 vcc, 0, v6
	v_add_u32_e32 v7, 16, v7
	v_add_u32_e32 v192, 16, v192
	s_or_b64 s[10:11], vcc, s[10:11]
	s_waitcnt vmcnt(0) lgkmcnt(0)
	v_mul_f64 v[10:11], v[200:201], v[196:197]
	v_mul_f64 v[52:53], v[198:199], v[196:197]
	v_fma_f64 v[10:11], v[198:199], v[194:195], -v[10:11]
	v_fmac_f64_e32 v[52:53], v[200:201], v[194:195]
	v_add_f64 v[2:3], v[2:3], v[10:11]
	v_add_f64 v[4:5], v[4:5], v[52:53]
	s_andn2_b64 exec, exec, s[10:11]
	s_cbranch_execnz .LBB124_463
; %bb.464:
	s_or_b64 exec, exec, s[10:11]
.LBB124_465:
	s_or_b64 exec, exec, s[2:3]
.LBB124_466:
	s_or_b64 exec, exec, s[8:9]
	v_mov_b32_e32 v6, 0
	ds_read_b128 v[192:195], v6 offset:416
	s_waitcnt lgkmcnt(0)
	v_mul_f64 v[6:7], v[4:5], v[194:195]
	v_mul_f64 v[196:197], v[2:3], v[194:195]
	v_fma_f64 v[194:195], v[2:3], v[192:193], -v[6:7]
	v_fmac_f64_e32 v[196:197], v[4:5], v[192:193]
	scratch_store_dwordx4 off, v[194:197], off offset:416
.LBB124_467:
	s_or_b64 exec, exec, s[4:5]
	scratch_load_dwordx4 v[2:5], v167, off
	v_cmp_lt_u32_e64 s[2:3], 25, v0
	s_waitcnt vmcnt(0)
	ds_write_b128 v9, v[2:5]
	s_waitcnt lgkmcnt(0)
	; wave barrier
	s_waitcnt lgkmcnt(0)
	s_and_saveexec_b64 s[4:5], s[2:3]
	s_cbranch_execz .LBB124_481
; %bb.468:
	ds_read_b128 v[2:5], v9
	s_andn2_b64 vcc, exec, s[6:7]
	s_cbranch_vccnz .LBB124_470
; %bb.469:
	scratch_load_dwordx4 v[192:195], v8, off
	s_waitcnt vmcnt(0) lgkmcnt(0)
	v_mul_f64 v[10:11], v[2:3], v[194:195]
	v_mul_f64 v[6:7], v[4:5], v[194:195]
	v_fmac_f64_e32 v[10:11], v[4:5], v[192:193]
	v_fma_f64 v[2:3], v[2:3], v[192:193], -v[6:7]
	v_mov_b64_e32 v[4:5], v[10:11]
.LBB124_470:
	s_and_saveexec_b64 s[8:9], s[0:1]
	s_cbranch_execz .LBB124_480
; %bb.471:
	v_subrev_u32_e32 v7, 27, v0
	v_subrev_u32_e32 v6, 26, v0
	v_cmp_lt_u32_e32 vcc, 6, v7
	v_mov_b32_e32 v193, 26
	s_and_saveexec_b64 s[0:1], vcc
	s_cbranch_execz .LBB124_475
; %bb.472:
	v_and_b32_e32 v7, -8, v6
	s_mov_b32 s12, 0
	s_mov_b64 s[10:11], 0
	v_mov_b32_e32 v192, 0
	s_mov_b32 s13, 0
.LBB124_473:                            ; =>This Inner Loop Header: Depth=1
	v_readfirstlane_b32 s14, v192
	s_add_i32 s14, s14, s12
	s_add_i32 s15, s14, 0x1a0
	v_mov_b32_e32 v49, s12
	ds_read_b128 v[194:197], v49 offset:1392
	ds_read_b128 v[198:201], v49 offset:1408
	;; [unrolled: 1-line block ×4, first 2 shown]
	scratch_load_dwordx4 v[210:213], off, s15
	s_add_i32 s15, s14, 0x1b0
	s_addk_i32 s12, 0x80
	s_waitcnt vmcnt(0) lgkmcnt(3)
	v_mul_f64 v[10:11], v[196:197], v[212:213]
	v_mul_f64 v[52:53], v[194:195], v[212:213]
	v_fma_f64 v[10:11], v[194:195], v[210:211], -v[10:11]
	v_fmac_f64_e32 v[52:53], v[196:197], v[210:211]
	v_add_f64 v[10:11], v[2:3], v[10:11]
	v_add_f64 v[52:53], v[4:5], v[52:53]
	scratch_load_dwordx4 v[2:5], off, s15
	s_add_i32 s15, s14, 0x1c0
	s_waitcnt vmcnt(0) lgkmcnt(2)
	v_mul_f64 v[194:195], v[200:201], v[4:5]
	v_mul_f64 v[4:5], v[198:199], v[4:5]
	v_fmac_f64_e32 v[4:5], v[200:201], v[2:3]
	v_fma_f64 v[194:195], v[198:199], v[2:3], -v[194:195]
	v_add_f64 v[52:53], v[52:53], v[4:5]
	scratch_load_dwordx4 v[2:5], off, s15
	v_add_f64 v[10:11], v[10:11], v[194:195]
	s_add_i32 s15, s14, 0x1d0
	s_waitcnt vmcnt(0) lgkmcnt(1)
	v_mul_f64 v[194:195], v[204:205], v[4:5]
	v_mul_f64 v[4:5], v[202:203], v[4:5]
	v_fmac_f64_e32 v[4:5], v[204:205], v[2:3]
	v_fma_f64 v[194:195], v[202:203], v[2:3], -v[194:195]
	v_add_f64 v[52:53], v[52:53], v[4:5]
	scratch_load_dwordx4 v[2:5], off, s15
	v_add_f64 v[10:11], v[10:11], v[194:195]
	s_add_i32 s15, s14, 0x1e0
	s_waitcnt vmcnt(0) lgkmcnt(0)
	v_mul_f64 v[194:195], v[208:209], v[4:5]
	v_fma_f64 v[194:195], v[206:207], v[2:3], -v[194:195]
	v_add_f64 v[10:11], v[10:11], v[194:195]
	scratch_load_dwordx4 v[194:197], off, s15
	v_mul_f64 v[4:5], v[206:207], v[4:5]
	v_fmac_f64_e32 v[4:5], v[208:209], v[2:3]
	v_add_f64 v[52:53], v[52:53], v[4:5]
	ds_read_b128 v[2:5], v49 offset:1456
	s_add_i32 s15, s14, 0x1f0
	s_waitcnt vmcnt(0) lgkmcnt(0)
	v_mul_f64 v[198:199], v[4:5], v[196:197]
	v_fma_f64 v[198:199], v[2:3], v[194:195], -v[198:199]
	v_mul_f64 v[2:3], v[2:3], v[196:197]
	v_fmac_f64_e32 v[2:3], v[4:5], v[194:195]
	scratch_load_dwordx4 v[194:197], off, s15
	v_add_f64 v[52:53], v[52:53], v[2:3]
	ds_read_b128 v[2:5], v49 offset:1472
	v_add_f64 v[10:11], v[10:11], v[198:199]
	s_add_i32 s15, s14, 0x200
	s_addk_i32 s14, 0x210
	s_waitcnt vmcnt(0) lgkmcnt(0)
	v_mul_f64 v[198:199], v[4:5], v[196:197]
	v_fma_f64 v[198:199], v[2:3], v[194:195], -v[198:199]
	v_mul_f64 v[2:3], v[2:3], v[196:197]
	v_fmac_f64_e32 v[2:3], v[4:5], v[194:195]
	scratch_load_dwordx4 v[194:197], off, s15
	v_add_f64 v[52:53], v[52:53], v[2:3]
	ds_read_b128 v[2:5], v49 offset:1488
	v_add_f64 v[10:11], v[10:11], v[198:199]
	s_waitcnt vmcnt(0) lgkmcnt(0)
	v_mul_f64 v[198:199], v[4:5], v[196:197]
	v_fma_f64 v[198:199], v[2:3], v[194:195], -v[198:199]
	v_mul_f64 v[2:3], v[2:3], v[196:197]
	v_fmac_f64_e32 v[2:3], v[4:5], v[194:195]
	scratch_load_dwordx4 v[194:197], off, s14
	v_add_f64 v[52:53], v[52:53], v[2:3]
	ds_read_b128 v[2:5], v49 offset:1504
	v_add_f64 v[10:11], v[10:11], v[198:199]
	s_add_i32 s14, s13, 8
	v_cmp_eq_u32_e32 vcc, s14, v7
	s_add_i32 s13, s13, 34
	s_or_b64 s[10:11], vcc, s[10:11]
	v_mov_b32_e32 v193, s13
	s_mov_b32 s13, s14
	s_waitcnt vmcnt(0) lgkmcnt(0)
	v_mul_f64 v[198:199], v[4:5], v[196:197]
	v_mul_f64 v[196:197], v[2:3], v[196:197]
	v_fma_f64 v[198:199], v[2:3], v[194:195], -v[198:199]
	v_fmac_f64_e32 v[196:197], v[4:5], v[194:195]
	v_add_f64 v[2:3], v[10:11], v[198:199]
	v_add_f64 v[4:5], v[52:53], v[196:197]
	s_andn2_b64 exec, exec, s[10:11]
	s_cbranch_execnz .LBB124_473
; %bb.474:
	s_or_b64 exec, exec, s[10:11]
.LBB124_475:
	s_or_b64 exec, exec, s[0:1]
	v_and_b32_e32 v6, 7, v6
	v_cmp_ne_u32_e32 vcc, 0, v6
	s_and_saveexec_b64 s[0:1], vcc
	s_cbranch_execz .LBB124_479
; %bb.476:
	v_lshlrev_b32_e32 v10, 4, v193
	v_add_u32_e32 v7, 0x3d0, v10
	v_add_u32_e32 v192, 0, v10
	s_mov_b64 s[10:11], 0
.LBB124_477:                            ; =>This Inner Loop Header: Depth=1
	scratch_load_dwordx4 v[194:197], v192, off
	ds_read_b128 v[198:201], v7
	v_add_u32_e32 v6, -1, v6
	v_cmp_eq_u32_e32 vcc, 0, v6
	v_add_u32_e32 v7, 16, v7
	v_add_u32_e32 v192, 16, v192
	s_or_b64 s[10:11], vcc, s[10:11]
	s_waitcnt vmcnt(0) lgkmcnt(0)
	v_mul_f64 v[10:11], v[200:201], v[196:197]
	v_mul_f64 v[52:53], v[198:199], v[196:197]
	v_fma_f64 v[10:11], v[198:199], v[194:195], -v[10:11]
	v_fmac_f64_e32 v[52:53], v[200:201], v[194:195]
	v_add_f64 v[2:3], v[2:3], v[10:11]
	v_add_f64 v[4:5], v[4:5], v[52:53]
	s_andn2_b64 exec, exec, s[10:11]
	s_cbranch_execnz .LBB124_477
; %bb.478:
	s_or_b64 exec, exec, s[10:11]
.LBB124_479:
	s_or_b64 exec, exec, s[0:1]
.LBB124_480:
	s_or_b64 exec, exec, s[8:9]
	v_mov_b32_e32 v6, 0
	ds_read_b128 v[192:195], v6 offset:400
	s_waitcnt lgkmcnt(0)
	v_mul_f64 v[6:7], v[4:5], v[194:195]
	v_mul_f64 v[196:197], v[2:3], v[194:195]
	v_fma_f64 v[194:195], v[2:3], v[192:193], -v[6:7]
	v_fmac_f64_e32 v[196:197], v[4:5], v[192:193]
	scratch_store_dwordx4 off, v[194:197], off offset:400
.LBB124_481:
	s_or_b64 exec, exec, s[4:5]
	scratch_load_dwordx4 v[2:5], v168, off
	v_cmp_lt_u32_e64 s[0:1], 24, v0
	s_waitcnt vmcnt(0)
	ds_write_b128 v9, v[2:5]
	s_waitcnt lgkmcnt(0)
	; wave barrier
	s_waitcnt lgkmcnt(0)
	s_and_saveexec_b64 s[4:5], s[0:1]
	s_cbranch_execz .LBB124_495
; %bb.482:
	ds_read_b128 v[2:5], v9
	s_andn2_b64 vcc, exec, s[6:7]
	s_cbranch_vccnz .LBB124_484
; %bb.483:
	scratch_load_dwordx4 v[192:195], v8, off
	s_waitcnt vmcnt(0) lgkmcnt(0)
	v_mul_f64 v[10:11], v[2:3], v[194:195]
	v_mul_f64 v[6:7], v[4:5], v[194:195]
	v_fmac_f64_e32 v[10:11], v[4:5], v[192:193]
	v_fma_f64 v[2:3], v[2:3], v[192:193], -v[6:7]
	v_mov_b64_e32 v[4:5], v[10:11]
.LBB124_484:
	s_and_saveexec_b64 s[8:9], s[2:3]
	s_cbranch_execz .LBB124_494
; %bb.485:
	v_subrev_u32_e32 v7, 26, v0
	v_subrev_u32_e32 v6, 25, v0
	v_cmp_lt_u32_e32 vcc, 6, v7
	v_mov_b32_e32 v193, 25
	s_and_saveexec_b64 s[2:3], vcc
	s_cbranch_execz .LBB124_489
; %bb.486:
	v_and_b32_e32 v7, -8, v6
	s_mov_b32 s12, 0
	s_mov_b64 s[10:11], 0
	v_mov_b32_e32 v192, 0
	s_mov_b32 s13, 0
.LBB124_487:                            ; =>This Inner Loop Header: Depth=1
	v_readfirstlane_b32 s14, v192
	s_add_i32 s14, s14, s12
	s_add_i32 s15, s14, 0x190
	v_mov_b32_e32 v49, s12
	ds_read_b128 v[194:197], v49 offset:1376
	ds_read_b128 v[198:201], v49 offset:1392
	;; [unrolled: 1-line block ×4, first 2 shown]
	scratch_load_dwordx4 v[210:213], off, s15
	s_add_i32 s15, s14, 0x1a0
	s_addk_i32 s12, 0x80
	s_waitcnt vmcnt(0) lgkmcnt(3)
	v_mul_f64 v[10:11], v[196:197], v[212:213]
	v_mul_f64 v[52:53], v[194:195], v[212:213]
	v_fma_f64 v[10:11], v[194:195], v[210:211], -v[10:11]
	v_fmac_f64_e32 v[52:53], v[196:197], v[210:211]
	v_add_f64 v[10:11], v[2:3], v[10:11]
	v_add_f64 v[52:53], v[4:5], v[52:53]
	scratch_load_dwordx4 v[2:5], off, s15
	s_add_i32 s15, s14, 0x1b0
	s_waitcnt vmcnt(0) lgkmcnt(2)
	v_mul_f64 v[194:195], v[200:201], v[4:5]
	v_mul_f64 v[4:5], v[198:199], v[4:5]
	v_fmac_f64_e32 v[4:5], v[200:201], v[2:3]
	v_fma_f64 v[194:195], v[198:199], v[2:3], -v[194:195]
	v_add_f64 v[52:53], v[52:53], v[4:5]
	scratch_load_dwordx4 v[2:5], off, s15
	v_add_f64 v[10:11], v[10:11], v[194:195]
	s_add_i32 s15, s14, 0x1c0
	s_waitcnt vmcnt(0) lgkmcnt(1)
	v_mul_f64 v[194:195], v[204:205], v[4:5]
	v_mul_f64 v[4:5], v[202:203], v[4:5]
	v_fmac_f64_e32 v[4:5], v[204:205], v[2:3]
	v_fma_f64 v[194:195], v[202:203], v[2:3], -v[194:195]
	v_add_f64 v[52:53], v[52:53], v[4:5]
	scratch_load_dwordx4 v[2:5], off, s15
	v_add_f64 v[10:11], v[10:11], v[194:195]
	s_add_i32 s15, s14, 0x1d0
	s_waitcnt vmcnt(0) lgkmcnt(0)
	v_mul_f64 v[194:195], v[208:209], v[4:5]
	v_fma_f64 v[194:195], v[206:207], v[2:3], -v[194:195]
	v_add_f64 v[10:11], v[10:11], v[194:195]
	scratch_load_dwordx4 v[194:197], off, s15
	v_mul_f64 v[4:5], v[206:207], v[4:5]
	v_fmac_f64_e32 v[4:5], v[208:209], v[2:3]
	v_add_f64 v[52:53], v[52:53], v[4:5]
	ds_read_b128 v[2:5], v49 offset:1440
	s_add_i32 s15, s14, 0x1e0
	s_waitcnt vmcnt(0) lgkmcnt(0)
	v_mul_f64 v[198:199], v[4:5], v[196:197]
	v_fma_f64 v[198:199], v[2:3], v[194:195], -v[198:199]
	v_mul_f64 v[2:3], v[2:3], v[196:197]
	v_fmac_f64_e32 v[2:3], v[4:5], v[194:195]
	scratch_load_dwordx4 v[194:197], off, s15
	v_add_f64 v[52:53], v[52:53], v[2:3]
	ds_read_b128 v[2:5], v49 offset:1456
	v_add_f64 v[10:11], v[10:11], v[198:199]
	s_add_i32 s15, s14, 0x1f0
	s_addk_i32 s14, 0x200
	s_waitcnt vmcnt(0) lgkmcnt(0)
	v_mul_f64 v[198:199], v[4:5], v[196:197]
	v_fma_f64 v[198:199], v[2:3], v[194:195], -v[198:199]
	v_mul_f64 v[2:3], v[2:3], v[196:197]
	v_fmac_f64_e32 v[2:3], v[4:5], v[194:195]
	scratch_load_dwordx4 v[194:197], off, s15
	v_add_f64 v[52:53], v[52:53], v[2:3]
	ds_read_b128 v[2:5], v49 offset:1472
	v_add_f64 v[10:11], v[10:11], v[198:199]
	s_waitcnt vmcnt(0) lgkmcnt(0)
	v_mul_f64 v[198:199], v[4:5], v[196:197]
	v_fma_f64 v[198:199], v[2:3], v[194:195], -v[198:199]
	v_mul_f64 v[2:3], v[2:3], v[196:197]
	v_fmac_f64_e32 v[2:3], v[4:5], v[194:195]
	scratch_load_dwordx4 v[194:197], off, s14
	v_add_f64 v[52:53], v[52:53], v[2:3]
	ds_read_b128 v[2:5], v49 offset:1488
	v_add_f64 v[10:11], v[10:11], v[198:199]
	s_add_i32 s14, s13, 8
	v_cmp_eq_u32_e32 vcc, s14, v7
	s_add_i32 s13, s13, 33
	s_or_b64 s[10:11], vcc, s[10:11]
	v_mov_b32_e32 v193, s13
	s_mov_b32 s13, s14
	s_waitcnt vmcnt(0) lgkmcnt(0)
	v_mul_f64 v[198:199], v[4:5], v[196:197]
	v_mul_f64 v[196:197], v[2:3], v[196:197]
	v_fma_f64 v[198:199], v[2:3], v[194:195], -v[198:199]
	v_fmac_f64_e32 v[196:197], v[4:5], v[194:195]
	v_add_f64 v[2:3], v[10:11], v[198:199]
	v_add_f64 v[4:5], v[52:53], v[196:197]
	s_andn2_b64 exec, exec, s[10:11]
	s_cbranch_execnz .LBB124_487
; %bb.488:
	s_or_b64 exec, exec, s[10:11]
.LBB124_489:
	s_or_b64 exec, exec, s[2:3]
	v_and_b32_e32 v6, 7, v6
	v_cmp_ne_u32_e32 vcc, 0, v6
	s_and_saveexec_b64 s[2:3], vcc
	s_cbranch_execz .LBB124_493
; %bb.490:
	v_lshlrev_b32_e32 v10, 4, v193
	v_add_u32_e32 v7, 0x3d0, v10
	v_add_u32_e32 v192, 0, v10
	s_mov_b64 s[10:11], 0
.LBB124_491:                            ; =>This Inner Loop Header: Depth=1
	scratch_load_dwordx4 v[194:197], v192, off
	ds_read_b128 v[198:201], v7
	v_add_u32_e32 v6, -1, v6
	v_cmp_eq_u32_e32 vcc, 0, v6
	v_add_u32_e32 v7, 16, v7
	v_add_u32_e32 v192, 16, v192
	s_or_b64 s[10:11], vcc, s[10:11]
	s_waitcnt vmcnt(0) lgkmcnt(0)
	v_mul_f64 v[10:11], v[200:201], v[196:197]
	v_mul_f64 v[52:53], v[198:199], v[196:197]
	v_fma_f64 v[10:11], v[198:199], v[194:195], -v[10:11]
	v_fmac_f64_e32 v[52:53], v[200:201], v[194:195]
	v_add_f64 v[2:3], v[2:3], v[10:11]
	v_add_f64 v[4:5], v[4:5], v[52:53]
	s_andn2_b64 exec, exec, s[10:11]
	s_cbranch_execnz .LBB124_491
; %bb.492:
	s_or_b64 exec, exec, s[10:11]
.LBB124_493:
	s_or_b64 exec, exec, s[2:3]
.LBB124_494:
	s_or_b64 exec, exec, s[8:9]
	v_mov_b32_e32 v6, 0
	ds_read_b128 v[192:195], v6 offset:384
	s_waitcnt lgkmcnt(0)
	v_mul_f64 v[6:7], v[4:5], v[194:195]
	v_mul_f64 v[196:197], v[2:3], v[194:195]
	v_fma_f64 v[194:195], v[2:3], v[192:193], -v[6:7]
	v_fmac_f64_e32 v[196:197], v[4:5], v[192:193]
	scratch_store_dwordx4 off, v[194:197], off offset:384
.LBB124_495:
	s_or_b64 exec, exec, s[4:5]
	scratch_load_dwordx4 v[2:5], v169, off
	v_cmp_lt_u32_e64 s[2:3], 23, v0
	s_waitcnt vmcnt(0)
	ds_write_b128 v9, v[2:5]
	s_waitcnt lgkmcnt(0)
	; wave barrier
	s_waitcnt lgkmcnt(0)
	s_and_saveexec_b64 s[4:5], s[2:3]
	s_cbranch_execz .LBB124_509
; %bb.496:
	ds_read_b128 v[2:5], v9
	s_andn2_b64 vcc, exec, s[6:7]
	s_cbranch_vccnz .LBB124_498
; %bb.497:
	scratch_load_dwordx4 v[192:195], v8, off
	s_waitcnt vmcnt(0) lgkmcnt(0)
	v_mul_f64 v[10:11], v[2:3], v[194:195]
	v_mul_f64 v[6:7], v[4:5], v[194:195]
	v_fmac_f64_e32 v[10:11], v[4:5], v[192:193]
	v_fma_f64 v[2:3], v[2:3], v[192:193], -v[6:7]
	v_mov_b64_e32 v[4:5], v[10:11]
.LBB124_498:
	s_and_saveexec_b64 s[8:9], s[0:1]
	s_cbranch_execz .LBB124_508
; %bb.499:
	v_subrev_u32_e32 v6, 25, v0
	v_cmp_lt_u32_e32 vcc, 6, v6
	v_mov_b32_e32 v6, 24
	s_and_saveexec_b64 s[0:1], vcc
	s_cbranch_execz .LBB124_503
; %bb.500:
	v_and_b32_e32 v6, 56, v0
	s_mov_b32 s12, 24
	s_mov_b32 s13, 0
	s_mov_b64 s[10:11], 0
	v_mov_b32_e32 v7, 0
.LBB124_501:                            ; =>This Inner Loop Header: Depth=1
	s_nop 0
	v_readfirstlane_b32 s14, v7
	s_add_i32 s14, s14, s13
	s_add_i32 s15, s14, 0x180
	v_mov_b32_e32 v49, s13
	ds_read_b128 v[192:195], v49 offset:1360
	ds_read_b128 v[196:199], v49 offset:1376
	;; [unrolled: 1-line block ×4, first 2 shown]
	scratch_load_dwordx4 v[208:211], off, s15
	s_add_i32 s15, s14, 0x190
	s_add_i32 s12, s12, 8
	s_addk_i32 s13, 0x80
	v_cmp_eq_u32_e32 vcc, s12, v6
	s_waitcnt vmcnt(0) lgkmcnt(3)
	v_mul_f64 v[10:11], v[194:195], v[210:211]
	v_mul_f64 v[52:53], v[192:193], v[210:211]
	v_fma_f64 v[10:11], v[192:193], v[208:209], -v[10:11]
	v_fmac_f64_e32 v[52:53], v[194:195], v[208:209]
	v_add_f64 v[10:11], v[2:3], v[10:11]
	v_add_f64 v[52:53], v[4:5], v[52:53]
	scratch_load_dwordx4 v[2:5], off, s15
	s_add_i32 s15, s14, 0x1a0
	s_waitcnt vmcnt(0) lgkmcnt(2)
	v_mul_f64 v[192:193], v[198:199], v[4:5]
	v_mul_f64 v[4:5], v[196:197], v[4:5]
	v_fmac_f64_e32 v[4:5], v[198:199], v[2:3]
	v_fma_f64 v[192:193], v[196:197], v[2:3], -v[192:193]
	v_add_f64 v[52:53], v[52:53], v[4:5]
	scratch_load_dwordx4 v[2:5], off, s15
	v_add_f64 v[10:11], v[10:11], v[192:193]
	s_add_i32 s15, s14, 0x1b0
	s_waitcnt vmcnt(0) lgkmcnt(1)
	v_mul_f64 v[192:193], v[202:203], v[4:5]
	v_mul_f64 v[4:5], v[200:201], v[4:5]
	v_fmac_f64_e32 v[4:5], v[202:203], v[2:3]
	v_fma_f64 v[192:193], v[200:201], v[2:3], -v[192:193]
	v_add_f64 v[52:53], v[52:53], v[4:5]
	scratch_load_dwordx4 v[2:5], off, s15
	v_add_f64 v[10:11], v[10:11], v[192:193]
	s_add_i32 s15, s14, 0x1c0
	s_waitcnt vmcnt(0) lgkmcnt(0)
	v_mul_f64 v[192:193], v[206:207], v[4:5]
	v_fma_f64 v[192:193], v[204:205], v[2:3], -v[192:193]
	v_add_f64 v[10:11], v[10:11], v[192:193]
	scratch_load_dwordx4 v[192:195], off, s15
	v_mul_f64 v[4:5], v[204:205], v[4:5]
	v_fmac_f64_e32 v[4:5], v[206:207], v[2:3]
	v_add_f64 v[52:53], v[52:53], v[4:5]
	ds_read_b128 v[2:5], v49 offset:1424
	s_add_i32 s15, s14, 0x1d0
	s_waitcnt vmcnt(0) lgkmcnt(0)
	v_mul_f64 v[196:197], v[4:5], v[194:195]
	v_fma_f64 v[196:197], v[2:3], v[192:193], -v[196:197]
	v_mul_f64 v[2:3], v[2:3], v[194:195]
	v_fmac_f64_e32 v[2:3], v[4:5], v[192:193]
	scratch_load_dwordx4 v[192:195], off, s15
	v_add_f64 v[52:53], v[52:53], v[2:3]
	ds_read_b128 v[2:5], v49 offset:1440
	v_add_f64 v[10:11], v[10:11], v[196:197]
	s_add_i32 s15, s14, 0x1e0
	s_addk_i32 s14, 0x1f0
	s_or_b64 s[10:11], vcc, s[10:11]
	s_waitcnt vmcnt(0) lgkmcnt(0)
	v_mul_f64 v[196:197], v[4:5], v[194:195]
	v_fma_f64 v[196:197], v[2:3], v[192:193], -v[196:197]
	v_mul_f64 v[2:3], v[2:3], v[194:195]
	v_fmac_f64_e32 v[2:3], v[4:5], v[192:193]
	scratch_load_dwordx4 v[192:195], off, s15
	v_add_f64 v[52:53], v[52:53], v[2:3]
	ds_read_b128 v[2:5], v49 offset:1456
	v_add_f64 v[10:11], v[10:11], v[196:197]
	s_waitcnt vmcnt(0) lgkmcnt(0)
	v_mul_f64 v[196:197], v[4:5], v[194:195]
	v_fma_f64 v[196:197], v[2:3], v[192:193], -v[196:197]
	v_mul_f64 v[2:3], v[2:3], v[194:195]
	v_fmac_f64_e32 v[2:3], v[4:5], v[192:193]
	scratch_load_dwordx4 v[192:195], off, s14
	v_add_f64 v[52:53], v[52:53], v[2:3]
	ds_read_b128 v[2:5], v49 offset:1472
	v_add_f64 v[10:11], v[10:11], v[196:197]
	s_waitcnt vmcnt(0) lgkmcnt(0)
	v_mul_f64 v[196:197], v[4:5], v[194:195]
	v_mul_f64 v[194:195], v[2:3], v[194:195]
	v_fma_f64 v[196:197], v[2:3], v[192:193], -v[196:197]
	v_fmac_f64_e32 v[194:195], v[4:5], v[192:193]
	v_add_f64 v[2:3], v[10:11], v[196:197]
	v_add_f64 v[4:5], v[52:53], v[194:195]
	s_andn2_b64 exec, exec, s[10:11]
	s_cbranch_execnz .LBB124_501
; %bb.502:
	s_or_b64 exec, exec, s[10:11]
.LBB124_503:
	s_or_b64 exec, exec, s[0:1]
	v_and_b32_e32 v7, 7, v0
	v_cmp_ne_u32_e32 vcc, 0, v7
	s_and_saveexec_b64 s[0:1], vcc
	s_cbranch_execz .LBB124_507
; %bb.504:
	v_lshlrev_b32_e32 v10, 4, v6
	v_add_u32_e32 v6, 0x3d0, v10
	v_add_u32_e32 v192, 0, v10
	s_mov_b64 s[10:11], 0
.LBB124_505:                            ; =>This Inner Loop Header: Depth=1
	scratch_load_dwordx4 v[194:197], v192, off
	ds_read_b128 v[198:201], v6
	v_add_u32_e32 v7, -1, v7
	v_cmp_eq_u32_e32 vcc, 0, v7
	v_add_u32_e32 v6, 16, v6
	v_add_u32_e32 v192, 16, v192
	s_or_b64 s[10:11], vcc, s[10:11]
	s_waitcnt vmcnt(0) lgkmcnt(0)
	v_mul_f64 v[10:11], v[200:201], v[196:197]
	v_mul_f64 v[52:53], v[198:199], v[196:197]
	v_fma_f64 v[10:11], v[198:199], v[194:195], -v[10:11]
	v_fmac_f64_e32 v[52:53], v[200:201], v[194:195]
	v_add_f64 v[2:3], v[2:3], v[10:11]
	v_add_f64 v[4:5], v[4:5], v[52:53]
	s_andn2_b64 exec, exec, s[10:11]
	s_cbranch_execnz .LBB124_505
; %bb.506:
	s_or_b64 exec, exec, s[10:11]
.LBB124_507:
	s_or_b64 exec, exec, s[0:1]
.LBB124_508:
	s_or_b64 exec, exec, s[8:9]
	v_mov_b32_e32 v6, 0
	ds_read_b128 v[192:195], v6 offset:368
	s_waitcnt lgkmcnt(0)
	v_mul_f64 v[6:7], v[4:5], v[194:195]
	v_mul_f64 v[196:197], v[2:3], v[194:195]
	v_fma_f64 v[194:195], v[2:3], v[192:193], -v[6:7]
	v_fmac_f64_e32 v[196:197], v[4:5], v[192:193]
	scratch_store_dwordx4 off, v[194:197], off offset:368
.LBB124_509:
	s_or_b64 exec, exec, s[4:5]
	scratch_load_dwordx4 v[2:5], v170, off
	v_cmp_lt_u32_e64 s[0:1], 22, v0
	s_waitcnt vmcnt(0)
	ds_write_b128 v9, v[2:5]
	s_waitcnt lgkmcnt(0)
	; wave barrier
	s_waitcnt lgkmcnt(0)
	s_and_saveexec_b64 s[4:5], s[0:1]
	s_cbranch_execz .LBB124_523
; %bb.510:
	ds_read_b128 v[2:5], v9
	s_andn2_b64 vcc, exec, s[6:7]
	s_cbranch_vccnz .LBB124_512
; %bb.511:
	scratch_load_dwordx4 v[192:195], v8, off
	s_waitcnt vmcnt(0) lgkmcnt(0)
	v_mul_f64 v[10:11], v[2:3], v[194:195]
	v_mul_f64 v[6:7], v[4:5], v[194:195]
	v_fmac_f64_e32 v[10:11], v[4:5], v[192:193]
	v_fma_f64 v[2:3], v[2:3], v[192:193], -v[6:7]
	v_mov_b64_e32 v[4:5], v[10:11]
.LBB124_512:
	s_and_saveexec_b64 s[8:9], s[2:3]
	s_cbranch_execz .LBB124_522
; %bb.513:
	v_subrev_u32_e32 v7, 24, v0
	v_subrev_u32_e32 v6, 23, v0
	v_cmp_lt_u32_e32 vcc, 6, v7
	v_mov_b32_e32 v193, 23
	s_and_saveexec_b64 s[2:3], vcc
	s_cbranch_execz .LBB124_517
; %bb.514:
	v_and_b32_e32 v7, -8, v6
	s_mov_b32 s12, 0
	s_mov_b64 s[10:11], 0
	v_mov_b32_e32 v192, 0
	s_mov_b32 s13, 0
.LBB124_515:                            ; =>This Inner Loop Header: Depth=1
	v_readfirstlane_b32 s14, v192
	s_add_i32 s14, s14, s12
	s_add_i32 s15, s14, 0x170
	v_mov_b32_e32 v49, s12
	ds_read_b128 v[194:197], v49 offset:1344
	ds_read_b128 v[198:201], v49 offset:1360
	ds_read_b128 v[202:205], v49 offset:1376
	ds_read_b128 v[206:209], v49 offset:1392
	scratch_load_dwordx4 v[210:213], off, s15
	s_add_i32 s15, s14, 0x180
	s_addk_i32 s12, 0x80
	s_waitcnt vmcnt(0) lgkmcnt(3)
	v_mul_f64 v[10:11], v[196:197], v[212:213]
	v_mul_f64 v[52:53], v[194:195], v[212:213]
	v_fma_f64 v[10:11], v[194:195], v[210:211], -v[10:11]
	v_fmac_f64_e32 v[52:53], v[196:197], v[210:211]
	v_add_f64 v[10:11], v[2:3], v[10:11]
	v_add_f64 v[52:53], v[4:5], v[52:53]
	scratch_load_dwordx4 v[2:5], off, s15
	s_add_i32 s15, s14, 0x190
	s_waitcnt vmcnt(0) lgkmcnt(2)
	v_mul_f64 v[194:195], v[200:201], v[4:5]
	v_mul_f64 v[4:5], v[198:199], v[4:5]
	v_fmac_f64_e32 v[4:5], v[200:201], v[2:3]
	v_fma_f64 v[194:195], v[198:199], v[2:3], -v[194:195]
	v_add_f64 v[52:53], v[52:53], v[4:5]
	scratch_load_dwordx4 v[2:5], off, s15
	v_add_f64 v[10:11], v[10:11], v[194:195]
	s_add_i32 s15, s14, 0x1a0
	s_waitcnt vmcnt(0) lgkmcnt(1)
	v_mul_f64 v[194:195], v[204:205], v[4:5]
	v_mul_f64 v[4:5], v[202:203], v[4:5]
	v_fmac_f64_e32 v[4:5], v[204:205], v[2:3]
	v_fma_f64 v[194:195], v[202:203], v[2:3], -v[194:195]
	v_add_f64 v[52:53], v[52:53], v[4:5]
	scratch_load_dwordx4 v[2:5], off, s15
	v_add_f64 v[10:11], v[10:11], v[194:195]
	s_add_i32 s15, s14, 0x1b0
	s_waitcnt vmcnt(0) lgkmcnt(0)
	v_mul_f64 v[194:195], v[208:209], v[4:5]
	v_fma_f64 v[194:195], v[206:207], v[2:3], -v[194:195]
	v_add_f64 v[10:11], v[10:11], v[194:195]
	scratch_load_dwordx4 v[194:197], off, s15
	v_mul_f64 v[4:5], v[206:207], v[4:5]
	v_fmac_f64_e32 v[4:5], v[208:209], v[2:3]
	v_add_f64 v[52:53], v[52:53], v[4:5]
	ds_read_b128 v[2:5], v49 offset:1408
	s_add_i32 s15, s14, 0x1c0
	s_waitcnt vmcnt(0) lgkmcnt(0)
	v_mul_f64 v[198:199], v[4:5], v[196:197]
	v_fma_f64 v[198:199], v[2:3], v[194:195], -v[198:199]
	v_mul_f64 v[2:3], v[2:3], v[196:197]
	v_fmac_f64_e32 v[2:3], v[4:5], v[194:195]
	scratch_load_dwordx4 v[194:197], off, s15
	v_add_f64 v[52:53], v[52:53], v[2:3]
	ds_read_b128 v[2:5], v49 offset:1424
	v_add_f64 v[10:11], v[10:11], v[198:199]
	s_add_i32 s15, s14, 0x1d0
	s_addk_i32 s14, 0x1e0
	s_waitcnt vmcnt(0) lgkmcnt(0)
	v_mul_f64 v[198:199], v[4:5], v[196:197]
	v_fma_f64 v[198:199], v[2:3], v[194:195], -v[198:199]
	v_mul_f64 v[2:3], v[2:3], v[196:197]
	v_fmac_f64_e32 v[2:3], v[4:5], v[194:195]
	scratch_load_dwordx4 v[194:197], off, s15
	v_add_f64 v[52:53], v[52:53], v[2:3]
	ds_read_b128 v[2:5], v49 offset:1440
	v_add_f64 v[10:11], v[10:11], v[198:199]
	s_waitcnt vmcnt(0) lgkmcnt(0)
	v_mul_f64 v[198:199], v[4:5], v[196:197]
	v_fma_f64 v[198:199], v[2:3], v[194:195], -v[198:199]
	v_mul_f64 v[2:3], v[2:3], v[196:197]
	v_fmac_f64_e32 v[2:3], v[4:5], v[194:195]
	scratch_load_dwordx4 v[194:197], off, s14
	v_add_f64 v[52:53], v[52:53], v[2:3]
	ds_read_b128 v[2:5], v49 offset:1456
	v_add_f64 v[10:11], v[10:11], v[198:199]
	s_add_i32 s14, s13, 8
	v_cmp_eq_u32_e32 vcc, s14, v7
	s_add_i32 s13, s13, 31
	s_or_b64 s[10:11], vcc, s[10:11]
	v_mov_b32_e32 v193, s13
	s_mov_b32 s13, s14
	s_waitcnt vmcnt(0) lgkmcnt(0)
	v_mul_f64 v[198:199], v[4:5], v[196:197]
	v_mul_f64 v[196:197], v[2:3], v[196:197]
	v_fma_f64 v[198:199], v[2:3], v[194:195], -v[198:199]
	v_fmac_f64_e32 v[196:197], v[4:5], v[194:195]
	v_add_f64 v[2:3], v[10:11], v[198:199]
	v_add_f64 v[4:5], v[52:53], v[196:197]
	s_andn2_b64 exec, exec, s[10:11]
	s_cbranch_execnz .LBB124_515
; %bb.516:
	s_or_b64 exec, exec, s[10:11]
.LBB124_517:
	s_or_b64 exec, exec, s[2:3]
	v_and_b32_e32 v6, 7, v6
	v_cmp_ne_u32_e32 vcc, 0, v6
	s_and_saveexec_b64 s[2:3], vcc
	s_cbranch_execz .LBB124_521
; %bb.518:
	v_lshlrev_b32_e32 v10, 4, v193
	v_add_u32_e32 v7, 0x3d0, v10
	v_add_u32_e32 v192, 0, v10
	s_mov_b64 s[10:11], 0
.LBB124_519:                            ; =>This Inner Loop Header: Depth=1
	scratch_load_dwordx4 v[194:197], v192, off
	ds_read_b128 v[198:201], v7
	v_add_u32_e32 v6, -1, v6
	v_cmp_eq_u32_e32 vcc, 0, v6
	v_add_u32_e32 v7, 16, v7
	v_add_u32_e32 v192, 16, v192
	s_or_b64 s[10:11], vcc, s[10:11]
	s_waitcnt vmcnt(0) lgkmcnt(0)
	v_mul_f64 v[10:11], v[200:201], v[196:197]
	v_mul_f64 v[52:53], v[198:199], v[196:197]
	v_fma_f64 v[10:11], v[198:199], v[194:195], -v[10:11]
	v_fmac_f64_e32 v[52:53], v[200:201], v[194:195]
	v_add_f64 v[2:3], v[2:3], v[10:11]
	v_add_f64 v[4:5], v[4:5], v[52:53]
	s_andn2_b64 exec, exec, s[10:11]
	s_cbranch_execnz .LBB124_519
; %bb.520:
	s_or_b64 exec, exec, s[10:11]
.LBB124_521:
	s_or_b64 exec, exec, s[2:3]
.LBB124_522:
	s_or_b64 exec, exec, s[8:9]
	v_mov_b32_e32 v6, 0
	ds_read_b128 v[192:195], v6 offset:352
	s_waitcnt lgkmcnt(0)
	v_mul_f64 v[6:7], v[4:5], v[194:195]
	v_mul_f64 v[196:197], v[2:3], v[194:195]
	v_fma_f64 v[194:195], v[2:3], v[192:193], -v[6:7]
	v_fmac_f64_e32 v[196:197], v[4:5], v[192:193]
	scratch_store_dwordx4 off, v[194:197], off offset:352
.LBB124_523:
	s_or_b64 exec, exec, s[4:5]
	scratch_load_dwordx4 v[2:5], v171, off
	v_cmp_lt_u32_e64 s[2:3], 21, v0
	s_waitcnt vmcnt(0)
	ds_write_b128 v9, v[2:5]
	s_waitcnt lgkmcnt(0)
	; wave barrier
	s_waitcnt lgkmcnt(0)
	s_and_saveexec_b64 s[4:5], s[2:3]
	s_cbranch_execz .LBB124_537
; %bb.524:
	ds_read_b128 v[2:5], v9
	s_andn2_b64 vcc, exec, s[6:7]
	s_cbranch_vccnz .LBB124_526
; %bb.525:
	scratch_load_dwordx4 v[192:195], v8, off
	s_waitcnt vmcnt(0) lgkmcnt(0)
	v_mul_f64 v[10:11], v[2:3], v[194:195]
	v_mul_f64 v[6:7], v[4:5], v[194:195]
	v_fmac_f64_e32 v[10:11], v[4:5], v[192:193]
	v_fma_f64 v[2:3], v[2:3], v[192:193], -v[6:7]
	v_mov_b64_e32 v[4:5], v[10:11]
.LBB124_526:
	s_and_saveexec_b64 s[8:9], s[0:1]
	s_cbranch_execz .LBB124_536
; %bb.527:
	v_subrev_u32_e32 v7, 23, v0
	v_subrev_u32_e32 v6, 22, v0
	v_cmp_lt_u32_e32 vcc, 6, v7
	v_mov_b32_e32 v193, 22
	s_and_saveexec_b64 s[0:1], vcc
	s_cbranch_execz .LBB124_531
; %bb.528:
	v_and_b32_e32 v7, -8, v6
	s_mov_b32 s12, 0
	s_mov_b64 s[10:11], 0
	v_mov_b32_e32 v192, 0
	s_mov_b32 s13, 0
.LBB124_529:                            ; =>This Inner Loop Header: Depth=1
	v_readfirstlane_b32 s14, v192
	s_add_i32 s14, s14, s12
	s_add_i32 s15, s14, 0x160
	v_mov_b32_e32 v49, s12
	ds_read_b128 v[194:197], v49 offset:1328
	ds_read_b128 v[198:201], v49 offset:1344
	;; [unrolled: 1-line block ×4, first 2 shown]
	scratch_load_dwordx4 v[210:213], off, s15
	s_add_i32 s15, s14, 0x170
	s_addk_i32 s12, 0x80
	s_waitcnt vmcnt(0) lgkmcnt(3)
	v_mul_f64 v[10:11], v[196:197], v[212:213]
	v_mul_f64 v[52:53], v[194:195], v[212:213]
	v_fma_f64 v[10:11], v[194:195], v[210:211], -v[10:11]
	v_fmac_f64_e32 v[52:53], v[196:197], v[210:211]
	v_add_f64 v[10:11], v[2:3], v[10:11]
	v_add_f64 v[52:53], v[4:5], v[52:53]
	scratch_load_dwordx4 v[2:5], off, s15
	s_add_i32 s15, s14, 0x180
	s_waitcnt vmcnt(0) lgkmcnt(2)
	v_mul_f64 v[194:195], v[200:201], v[4:5]
	v_mul_f64 v[4:5], v[198:199], v[4:5]
	v_fmac_f64_e32 v[4:5], v[200:201], v[2:3]
	v_fma_f64 v[194:195], v[198:199], v[2:3], -v[194:195]
	v_add_f64 v[52:53], v[52:53], v[4:5]
	scratch_load_dwordx4 v[2:5], off, s15
	v_add_f64 v[10:11], v[10:11], v[194:195]
	s_add_i32 s15, s14, 0x190
	s_waitcnt vmcnt(0) lgkmcnt(1)
	v_mul_f64 v[194:195], v[204:205], v[4:5]
	v_mul_f64 v[4:5], v[202:203], v[4:5]
	v_fmac_f64_e32 v[4:5], v[204:205], v[2:3]
	v_fma_f64 v[194:195], v[202:203], v[2:3], -v[194:195]
	v_add_f64 v[52:53], v[52:53], v[4:5]
	scratch_load_dwordx4 v[2:5], off, s15
	v_add_f64 v[10:11], v[10:11], v[194:195]
	s_add_i32 s15, s14, 0x1a0
	s_waitcnt vmcnt(0) lgkmcnt(0)
	v_mul_f64 v[194:195], v[208:209], v[4:5]
	v_fma_f64 v[194:195], v[206:207], v[2:3], -v[194:195]
	v_add_f64 v[10:11], v[10:11], v[194:195]
	scratch_load_dwordx4 v[194:197], off, s15
	v_mul_f64 v[4:5], v[206:207], v[4:5]
	v_fmac_f64_e32 v[4:5], v[208:209], v[2:3]
	v_add_f64 v[52:53], v[52:53], v[4:5]
	ds_read_b128 v[2:5], v49 offset:1392
	s_add_i32 s15, s14, 0x1b0
	s_waitcnt vmcnt(0) lgkmcnt(0)
	v_mul_f64 v[198:199], v[4:5], v[196:197]
	v_fma_f64 v[198:199], v[2:3], v[194:195], -v[198:199]
	v_mul_f64 v[2:3], v[2:3], v[196:197]
	v_fmac_f64_e32 v[2:3], v[4:5], v[194:195]
	scratch_load_dwordx4 v[194:197], off, s15
	v_add_f64 v[52:53], v[52:53], v[2:3]
	ds_read_b128 v[2:5], v49 offset:1408
	v_add_f64 v[10:11], v[10:11], v[198:199]
	s_add_i32 s15, s14, 0x1c0
	s_addk_i32 s14, 0x1d0
	s_waitcnt vmcnt(0) lgkmcnt(0)
	v_mul_f64 v[198:199], v[4:5], v[196:197]
	v_fma_f64 v[198:199], v[2:3], v[194:195], -v[198:199]
	v_mul_f64 v[2:3], v[2:3], v[196:197]
	v_fmac_f64_e32 v[2:3], v[4:5], v[194:195]
	scratch_load_dwordx4 v[194:197], off, s15
	v_add_f64 v[52:53], v[52:53], v[2:3]
	ds_read_b128 v[2:5], v49 offset:1424
	v_add_f64 v[10:11], v[10:11], v[198:199]
	s_waitcnt vmcnt(0) lgkmcnt(0)
	v_mul_f64 v[198:199], v[4:5], v[196:197]
	v_fma_f64 v[198:199], v[2:3], v[194:195], -v[198:199]
	v_mul_f64 v[2:3], v[2:3], v[196:197]
	v_fmac_f64_e32 v[2:3], v[4:5], v[194:195]
	scratch_load_dwordx4 v[194:197], off, s14
	v_add_f64 v[52:53], v[52:53], v[2:3]
	ds_read_b128 v[2:5], v49 offset:1440
	v_add_f64 v[10:11], v[10:11], v[198:199]
	s_add_i32 s14, s13, 8
	v_cmp_eq_u32_e32 vcc, s14, v7
	s_add_i32 s13, s13, 30
	s_or_b64 s[10:11], vcc, s[10:11]
	v_mov_b32_e32 v193, s13
	s_mov_b32 s13, s14
	s_waitcnt vmcnt(0) lgkmcnt(0)
	v_mul_f64 v[198:199], v[4:5], v[196:197]
	v_mul_f64 v[196:197], v[2:3], v[196:197]
	v_fma_f64 v[198:199], v[2:3], v[194:195], -v[198:199]
	v_fmac_f64_e32 v[196:197], v[4:5], v[194:195]
	v_add_f64 v[2:3], v[10:11], v[198:199]
	v_add_f64 v[4:5], v[52:53], v[196:197]
	s_andn2_b64 exec, exec, s[10:11]
	s_cbranch_execnz .LBB124_529
; %bb.530:
	s_or_b64 exec, exec, s[10:11]
.LBB124_531:
	s_or_b64 exec, exec, s[0:1]
	v_and_b32_e32 v6, 7, v6
	v_cmp_ne_u32_e32 vcc, 0, v6
	s_and_saveexec_b64 s[0:1], vcc
	s_cbranch_execz .LBB124_535
; %bb.532:
	v_lshlrev_b32_e32 v10, 4, v193
	v_add_u32_e32 v7, 0x3d0, v10
	v_add_u32_e32 v192, 0, v10
	s_mov_b64 s[10:11], 0
.LBB124_533:                            ; =>This Inner Loop Header: Depth=1
	scratch_load_dwordx4 v[194:197], v192, off
	ds_read_b128 v[198:201], v7
	v_add_u32_e32 v6, -1, v6
	v_cmp_eq_u32_e32 vcc, 0, v6
	v_add_u32_e32 v7, 16, v7
	v_add_u32_e32 v192, 16, v192
	s_or_b64 s[10:11], vcc, s[10:11]
	s_waitcnt vmcnt(0) lgkmcnt(0)
	v_mul_f64 v[10:11], v[200:201], v[196:197]
	v_mul_f64 v[52:53], v[198:199], v[196:197]
	v_fma_f64 v[10:11], v[198:199], v[194:195], -v[10:11]
	v_fmac_f64_e32 v[52:53], v[200:201], v[194:195]
	v_add_f64 v[2:3], v[2:3], v[10:11]
	v_add_f64 v[4:5], v[4:5], v[52:53]
	s_andn2_b64 exec, exec, s[10:11]
	s_cbranch_execnz .LBB124_533
; %bb.534:
	s_or_b64 exec, exec, s[10:11]
.LBB124_535:
	s_or_b64 exec, exec, s[0:1]
.LBB124_536:
	s_or_b64 exec, exec, s[8:9]
	v_mov_b32_e32 v6, 0
	ds_read_b128 v[192:195], v6 offset:336
	s_waitcnt lgkmcnt(0)
	v_mul_f64 v[6:7], v[4:5], v[194:195]
	v_mul_f64 v[196:197], v[2:3], v[194:195]
	v_fma_f64 v[194:195], v[2:3], v[192:193], -v[6:7]
	v_fmac_f64_e32 v[196:197], v[4:5], v[192:193]
	scratch_store_dwordx4 off, v[194:197], off offset:336
.LBB124_537:
	s_or_b64 exec, exec, s[4:5]
	scratch_load_dwordx4 v[2:5], v172, off
	v_cmp_lt_u32_e64 s[0:1], 20, v0
	s_waitcnt vmcnt(0)
	ds_write_b128 v9, v[2:5]
	s_waitcnt lgkmcnt(0)
	; wave barrier
	s_waitcnt lgkmcnt(0)
	s_and_saveexec_b64 s[4:5], s[0:1]
	s_cbranch_execz .LBB124_551
; %bb.538:
	ds_read_b128 v[2:5], v9
	s_andn2_b64 vcc, exec, s[6:7]
	s_cbranch_vccnz .LBB124_540
; %bb.539:
	scratch_load_dwordx4 v[192:195], v8, off
	s_waitcnt vmcnt(0) lgkmcnt(0)
	v_mul_f64 v[10:11], v[2:3], v[194:195]
	v_mul_f64 v[6:7], v[4:5], v[194:195]
	v_fmac_f64_e32 v[10:11], v[4:5], v[192:193]
	v_fma_f64 v[2:3], v[2:3], v[192:193], -v[6:7]
	v_mov_b64_e32 v[4:5], v[10:11]
.LBB124_540:
	s_and_saveexec_b64 s[8:9], s[2:3]
	s_cbranch_execz .LBB124_550
; %bb.541:
	v_subrev_u32_e32 v7, 22, v0
	v_subrev_u32_e32 v6, 21, v0
	v_cmp_lt_u32_e32 vcc, 6, v7
	v_mov_b32_e32 v193, 21
	s_and_saveexec_b64 s[2:3], vcc
	s_cbranch_execz .LBB124_545
; %bb.542:
	v_and_b32_e32 v7, -8, v6
	s_mov_b32 s12, 0
	s_mov_b64 s[10:11], 0
	v_mov_b32_e32 v192, 0
	s_mov_b32 s13, 0
.LBB124_543:                            ; =>This Inner Loop Header: Depth=1
	v_readfirstlane_b32 s14, v192
	s_add_i32 s14, s14, s12
	s_add_i32 s15, s14, 0x150
	v_mov_b32_e32 v49, s12
	ds_read_b128 v[194:197], v49 offset:1312
	ds_read_b128 v[198:201], v49 offset:1328
	;; [unrolled: 1-line block ×4, first 2 shown]
	scratch_load_dwordx4 v[210:213], off, s15
	s_add_i32 s15, s14, 0x160
	s_addk_i32 s12, 0x80
	s_waitcnt vmcnt(0) lgkmcnt(3)
	v_mul_f64 v[10:11], v[196:197], v[212:213]
	v_mul_f64 v[52:53], v[194:195], v[212:213]
	v_fma_f64 v[10:11], v[194:195], v[210:211], -v[10:11]
	v_fmac_f64_e32 v[52:53], v[196:197], v[210:211]
	v_add_f64 v[10:11], v[2:3], v[10:11]
	v_add_f64 v[52:53], v[4:5], v[52:53]
	scratch_load_dwordx4 v[2:5], off, s15
	s_add_i32 s15, s14, 0x170
	s_waitcnt vmcnt(0) lgkmcnt(2)
	v_mul_f64 v[194:195], v[200:201], v[4:5]
	v_mul_f64 v[4:5], v[198:199], v[4:5]
	v_fmac_f64_e32 v[4:5], v[200:201], v[2:3]
	v_fma_f64 v[194:195], v[198:199], v[2:3], -v[194:195]
	v_add_f64 v[52:53], v[52:53], v[4:5]
	scratch_load_dwordx4 v[2:5], off, s15
	v_add_f64 v[10:11], v[10:11], v[194:195]
	s_add_i32 s15, s14, 0x180
	s_waitcnt vmcnt(0) lgkmcnt(1)
	v_mul_f64 v[194:195], v[204:205], v[4:5]
	v_mul_f64 v[4:5], v[202:203], v[4:5]
	v_fmac_f64_e32 v[4:5], v[204:205], v[2:3]
	v_fma_f64 v[194:195], v[202:203], v[2:3], -v[194:195]
	v_add_f64 v[52:53], v[52:53], v[4:5]
	scratch_load_dwordx4 v[2:5], off, s15
	v_add_f64 v[10:11], v[10:11], v[194:195]
	s_add_i32 s15, s14, 0x190
	s_waitcnt vmcnt(0) lgkmcnt(0)
	v_mul_f64 v[194:195], v[208:209], v[4:5]
	v_fma_f64 v[194:195], v[206:207], v[2:3], -v[194:195]
	v_add_f64 v[10:11], v[10:11], v[194:195]
	scratch_load_dwordx4 v[194:197], off, s15
	v_mul_f64 v[4:5], v[206:207], v[4:5]
	v_fmac_f64_e32 v[4:5], v[208:209], v[2:3]
	v_add_f64 v[52:53], v[52:53], v[4:5]
	ds_read_b128 v[2:5], v49 offset:1376
	s_add_i32 s15, s14, 0x1a0
	s_waitcnt vmcnt(0) lgkmcnt(0)
	v_mul_f64 v[198:199], v[4:5], v[196:197]
	v_fma_f64 v[198:199], v[2:3], v[194:195], -v[198:199]
	v_mul_f64 v[2:3], v[2:3], v[196:197]
	v_fmac_f64_e32 v[2:3], v[4:5], v[194:195]
	scratch_load_dwordx4 v[194:197], off, s15
	v_add_f64 v[52:53], v[52:53], v[2:3]
	ds_read_b128 v[2:5], v49 offset:1392
	v_add_f64 v[10:11], v[10:11], v[198:199]
	s_add_i32 s15, s14, 0x1b0
	s_addk_i32 s14, 0x1c0
	s_waitcnt vmcnt(0) lgkmcnt(0)
	v_mul_f64 v[198:199], v[4:5], v[196:197]
	v_fma_f64 v[198:199], v[2:3], v[194:195], -v[198:199]
	v_mul_f64 v[2:3], v[2:3], v[196:197]
	v_fmac_f64_e32 v[2:3], v[4:5], v[194:195]
	scratch_load_dwordx4 v[194:197], off, s15
	v_add_f64 v[52:53], v[52:53], v[2:3]
	ds_read_b128 v[2:5], v49 offset:1408
	v_add_f64 v[10:11], v[10:11], v[198:199]
	s_waitcnt vmcnt(0) lgkmcnt(0)
	v_mul_f64 v[198:199], v[4:5], v[196:197]
	v_fma_f64 v[198:199], v[2:3], v[194:195], -v[198:199]
	v_mul_f64 v[2:3], v[2:3], v[196:197]
	v_fmac_f64_e32 v[2:3], v[4:5], v[194:195]
	scratch_load_dwordx4 v[194:197], off, s14
	v_add_f64 v[52:53], v[52:53], v[2:3]
	ds_read_b128 v[2:5], v49 offset:1424
	v_add_f64 v[10:11], v[10:11], v[198:199]
	s_add_i32 s14, s13, 8
	v_cmp_eq_u32_e32 vcc, s14, v7
	s_add_i32 s13, s13, 29
	s_or_b64 s[10:11], vcc, s[10:11]
	v_mov_b32_e32 v193, s13
	s_mov_b32 s13, s14
	s_waitcnt vmcnt(0) lgkmcnt(0)
	v_mul_f64 v[198:199], v[4:5], v[196:197]
	v_mul_f64 v[196:197], v[2:3], v[196:197]
	v_fma_f64 v[198:199], v[2:3], v[194:195], -v[198:199]
	v_fmac_f64_e32 v[196:197], v[4:5], v[194:195]
	v_add_f64 v[2:3], v[10:11], v[198:199]
	v_add_f64 v[4:5], v[52:53], v[196:197]
	s_andn2_b64 exec, exec, s[10:11]
	s_cbranch_execnz .LBB124_543
; %bb.544:
	s_or_b64 exec, exec, s[10:11]
.LBB124_545:
	s_or_b64 exec, exec, s[2:3]
	v_and_b32_e32 v6, 7, v6
	v_cmp_ne_u32_e32 vcc, 0, v6
	s_and_saveexec_b64 s[2:3], vcc
	s_cbranch_execz .LBB124_549
; %bb.546:
	v_lshlrev_b32_e32 v10, 4, v193
	v_add_u32_e32 v7, 0x3d0, v10
	v_add_u32_e32 v192, 0, v10
	s_mov_b64 s[10:11], 0
.LBB124_547:                            ; =>This Inner Loop Header: Depth=1
	scratch_load_dwordx4 v[194:197], v192, off
	ds_read_b128 v[198:201], v7
	v_add_u32_e32 v6, -1, v6
	v_cmp_eq_u32_e32 vcc, 0, v6
	v_add_u32_e32 v7, 16, v7
	v_add_u32_e32 v192, 16, v192
	s_or_b64 s[10:11], vcc, s[10:11]
	s_waitcnt vmcnt(0) lgkmcnt(0)
	v_mul_f64 v[10:11], v[200:201], v[196:197]
	v_mul_f64 v[52:53], v[198:199], v[196:197]
	v_fma_f64 v[10:11], v[198:199], v[194:195], -v[10:11]
	v_fmac_f64_e32 v[52:53], v[200:201], v[194:195]
	v_add_f64 v[2:3], v[2:3], v[10:11]
	v_add_f64 v[4:5], v[4:5], v[52:53]
	s_andn2_b64 exec, exec, s[10:11]
	s_cbranch_execnz .LBB124_547
; %bb.548:
	s_or_b64 exec, exec, s[10:11]
.LBB124_549:
	s_or_b64 exec, exec, s[2:3]
.LBB124_550:
	s_or_b64 exec, exec, s[8:9]
	v_mov_b32_e32 v6, 0
	ds_read_b128 v[192:195], v6 offset:320
	s_waitcnt lgkmcnt(0)
	v_mul_f64 v[6:7], v[4:5], v[194:195]
	v_mul_f64 v[196:197], v[2:3], v[194:195]
	v_fma_f64 v[194:195], v[2:3], v[192:193], -v[6:7]
	v_fmac_f64_e32 v[196:197], v[4:5], v[192:193]
	scratch_store_dwordx4 off, v[194:197], off offset:320
.LBB124_551:
	s_or_b64 exec, exec, s[4:5]
	scratch_load_dwordx4 v[2:5], v173, off
	v_cmp_lt_u32_e64 s[2:3], 19, v0
	s_waitcnt vmcnt(0)
	ds_write_b128 v9, v[2:5]
	s_waitcnt lgkmcnt(0)
	; wave barrier
	s_waitcnt lgkmcnt(0)
	s_and_saveexec_b64 s[4:5], s[2:3]
	s_cbranch_execz .LBB124_565
; %bb.552:
	ds_read_b128 v[2:5], v9
	s_andn2_b64 vcc, exec, s[6:7]
	s_cbranch_vccnz .LBB124_554
; %bb.553:
	scratch_load_dwordx4 v[192:195], v8, off
	s_waitcnt vmcnt(0) lgkmcnt(0)
	v_mul_f64 v[10:11], v[2:3], v[194:195]
	v_mul_f64 v[6:7], v[4:5], v[194:195]
	v_fmac_f64_e32 v[10:11], v[4:5], v[192:193]
	v_fma_f64 v[2:3], v[2:3], v[192:193], -v[6:7]
	v_mov_b64_e32 v[4:5], v[10:11]
.LBB124_554:
	s_and_saveexec_b64 s[8:9], s[0:1]
	s_cbranch_execz .LBB124_564
; %bb.555:
	v_subrev_u32_e32 v7, 21, v0
	v_subrev_u32_e32 v6, 20, v0
	v_cmp_lt_u32_e32 vcc, 6, v7
	v_mov_b32_e32 v193, 20
	s_and_saveexec_b64 s[0:1], vcc
	s_cbranch_execz .LBB124_559
; %bb.556:
	v_and_b32_e32 v7, -8, v6
	s_mov_b32 s12, 0
	s_mov_b64 s[10:11], 0
	v_mov_b32_e32 v192, 0
	s_mov_b32 s13, 0
.LBB124_557:                            ; =>This Inner Loop Header: Depth=1
	v_readfirstlane_b32 s14, v192
	s_add_i32 s14, s14, s12
	s_add_i32 s15, s14, 0x140
	v_mov_b32_e32 v49, s12
	ds_read_b128 v[194:197], v49 offset:1296
	ds_read_b128 v[198:201], v49 offset:1312
	;; [unrolled: 1-line block ×4, first 2 shown]
	scratch_load_dwordx4 v[210:213], off, s15
	s_add_i32 s15, s14, 0x150
	s_addk_i32 s12, 0x80
	s_waitcnt vmcnt(0) lgkmcnt(3)
	v_mul_f64 v[10:11], v[196:197], v[212:213]
	v_mul_f64 v[52:53], v[194:195], v[212:213]
	v_fma_f64 v[10:11], v[194:195], v[210:211], -v[10:11]
	v_fmac_f64_e32 v[52:53], v[196:197], v[210:211]
	v_add_f64 v[10:11], v[2:3], v[10:11]
	v_add_f64 v[52:53], v[4:5], v[52:53]
	scratch_load_dwordx4 v[2:5], off, s15
	s_add_i32 s15, s14, 0x160
	s_waitcnt vmcnt(0) lgkmcnt(2)
	v_mul_f64 v[194:195], v[200:201], v[4:5]
	v_mul_f64 v[4:5], v[198:199], v[4:5]
	v_fmac_f64_e32 v[4:5], v[200:201], v[2:3]
	v_fma_f64 v[194:195], v[198:199], v[2:3], -v[194:195]
	v_add_f64 v[52:53], v[52:53], v[4:5]
	scratch_load_dwordx4 v[2:5], off, s15
	v_add_f64 v[10:11], v[10:11], v[194:195]
	s_add_i32 s15, s14, 0x170
	s_waitcnt vmcnt(0) lgkmcnt(1)
	v_mul_f64 v[194:195], v[204:205], v[4:5]
	v_mul_f64 v[4:5], v[202:203], v[4:5]
	v_fmac_f64_e32 v[4:5], v[204:205], v[2:3]
	v_fma_f64 v[194:195], v[202:203], v[2:3], -v[194:195]
	v_add_f64 v[52:53], v[52:53], v[4:5]
	scratch_load_dwordx4 v[2:5], off, s15
	v_add_f64 v[10:11], v[10:11], v[194:195]
	s_add_i32 s15, s14, 0x180
	s_waitcnt vmcnt(0) lgkmcnt(0)
	v_mul_f64 v[194:195], v[208:209], v[4:5]
	v_fma_f64 v[194:195], v[206:207], v[2:3], -v[194:195]
	v_add_f64 v[10:11], v[10:11], v[194:195]
	scratch_load_dwordx4 v[194:197], off, s15
	v_mul_f64 v[4:5], v[206:207], v[4:5]
	v_fmac_f64_e32 v[4:5], v[208:209], v[2:3]
	v_add_f64 v[52:53], v[52:53], v[4:5]
	ds_read_b128 v[2:5], v49 offset:1360
	s_add_i32 s15, s14, 0x190
	s_waitcnt vmcnt(0) lgkmcnt(0)
	v_mul_f64 v[198:199], v[4:5], v[196:197]
	v_fma_f64 v[198:199], v[2:3], v[194:195], -v[198:199]
	v_mul_f64 v[2:3], v[2:3], v[196:197]
	v_fmac_f64_e32 v[2:3], v[4:5], v[194:195]
	scratch_load_dwordx4 v[194:197], off, s15
	v_add_f64 v[52:53], v[52:53], v[2:3]
	ds_read_b128 v[2:5], v49 offset:1376
	v_add_f64 v[10:11], v[10:11], v[198:199]
	s_add_i32 s15, s14, 0x1a0
	s_addk_i32 s14, 0x1b0
	s_waitcnt vmcnt(0) lgkmcnt(0)
	v_mul_f64 v[198:199], v[4:5], v[196:197]
	v_fma_f64 v[198:199], v[2:3], v[194:195], -v[198:199]
	v_mul_f64 v[2:3], v[2:3], v[196:197]
	v_fmac_f64_e32 v[2:3], v[4:5], v[194:195]
	scratch_load_dwordx4 v[194:197], off, s15
	v_add_f64 v[52:53], v[52:53], v[2:3]
	ds_read_b128 v[2:5], v49 offset:1392
	v_add_f64 v[10:11], v[10:11], v[198:199]
	s_waitcnt vmcnt(0) lgkmcnt(0)
	v_mul_f64 v[198:199], v[4:5], v[196:197]
	v_fma_f64 v[198:199], v[2:3], v[194:195], -v[198:199]
	v_mul_f64 v[2:3], v[2:3], v[196:197]
	v_fmac_f64_e32 v[2:3], v[4:5], v[194:195]
	scratch_load_dwordx4 v[194:197], off, s14
	v_add_f64 v[52:53], v[52:53], v[2:3]
	ds_read_b128 v[2:5], v49 offset:1408
	v_add_f64 v[10:11], v[10:11], v[198:199]
	s_add_i32 s14, s13, 8
	v_cmp_eq_u32_e32 vcc, s14, v7
	s_add_i32 s13, s13, 28
	s_or_b64 s[10:11], vcc, s[10:11]
	v_mov_b32_e32 v193, s13
	s_mov_b32 s13, s14
	s_waitcnt vmcnt(0) lgkmcnt(0)
	v_mul_f64 v[198:199], v[4:5], v[196:197]
	v_mul_f64 v[196:197], v[2:3], v[196:197]
	v_fma_f64 v[198:199], v[2:3], v[194:195], -v[198:199]
	v_fmac_f64_e32 v[196:197], v[4:5], v[194:195]
	v_add_f64 v[2:3], v[10:11], v[198:199]
	v_add_f64 v[4:5], v[52:53], v[196:197]
	s_andn2_b64 exec, exec, s[10:11]
	s_cbranch_execnz .LBB124_557
; %bb.558:
	s_or_b64 exec, exec, s[10:11]
.LBB124_559:
	s_or_b64 exec, exec, s[0:1]
	v_and_b32_e32 v6, 7, v6
	v_cmp_ne_u32_e32 vcc, 0, v6
	s_and_saveexec_b64 s[0:1], vcc
	s_cbranch_execz .LBB124_563
; %bb.560:
	v_lshlrev_b32_e32 v10, 4, v193
	v_add_u32_e32 v7, 0x3d0, v10
	v_add_u32_e32 v192, 0, v10
	s_mov_b64 s[10:11], 0
.LBB124_561:                            ; =>This Inner Loop Header: Depth=1
	scratch_load_dwordx4 v[194:197], v192, off
	ds_read_b128 v[198:201], v7
	v_add_u32_e32 v6, -1, v6
	v_cmp_eq_u32_e32 vcc, 0, v6
	v_add_u32_e32 v7, 16, v7
	v_add_u32_e32 v192, 16, v192
	s_or_b64 s[10:11], vcc, s[10:11]
	s_waitcnt vmcnt(0) lgkmcnt(0)
	v_mul_f64 v[10:11], v[200:201], v[196:197]
	v_mul_f64 v[52:53], v[198:199], v[196:197]
	v_fma_f64 v[10:11], v[198:199], v[194:195], -v[10:11]
	v_fmac_f64_e32 v[52:53], v[200:201], v[194:195]
	v_add_f64 v[2:3], v[2:3], v[10:11]
	v_add_f64 v[4:5], v[4:5], v[52:53]
	s_andn2_b64 exec, exec, s[10:11]
	s_cbranch_execnz .LBB124_561
; %bb.562:
	s_or_b64 exec, exec, s[10:11]
.LBB124_563:
	s_or_b64 exec, exec, s[0:1]
.LBB124_564:
	s_or_b64 exec, exec, s[8:9]
	v_mov_b32_e32 v6, 0
	ds_read_b128 v[192:195], v6 offset:304
	s_waitcnt lgkmcnt(0)
	v_mul_f64 v[6:7], v[4:5], v[194:195]
	v_mul_f64 v[196:197], v[2:3], v[194:195]
	v_fma_f64 v[194:195], v[2:3], v[192:193], -v[6:7]
	v_fmac_f64_e32 v[196:197], v[4:5], v[192:193]
	scratch_store_dwordx4 off, v[194:197], off offset:304
.LBB124_565:
	s_or_b64 exec, exec, s[4:5]
	scratch_load_dwordx4 v[2:5], v174, off
	v_cmp_lt_u32_e64 s[0:1], 18, v0
	s_waitcnt vmcnt(0)
	ds_write_b128 v9, v[2:5]
	s_waitcnt lgkmcnt(0)
	; wave barrier
	s_waitcnt lgkmcnt(0)
	s_and_saveexec_b64 s[4:5], s[0:1]
	s_cbranch_execz .LBB124_579
; %bb.566:
	ds_read_b128 v[2:5], v9
	s_andn2_b64 vcc, exec, s[6:7]
	s_cbranch_vccnz .LBB124_568
; %bb.567:
	scratch_load_dwordx4 v[192:195], v8, off
	s_waitcnt vmcnt(0) lgkmcnt(0)
	v_mul_f64 v[10:11], v[2:3], v[194:195]
	v_mul_f64 v[6:7], v[4:5], v[194:195]
	v_fmac_f64_e32 v[10:11], v[4:5], v[192:193]
	v_fma_f64 v[2:3], v[2:3], v[192:193], -v[6:7]
	v_mov_b64_e32 v[4:5], v[10:11]
.LBB124_568:
	s_and_saveexec_b64 s[8:9], s[2:3]
	s_cbranch_execz .LBB124_578
; %bb.569:
	v_subrev_u32_e32 v7, 20, v0
	v_subrev_u32_e32 v6, 19, v0
	v_cmp_lt_u32_e32 vcc, 6, v7
	v_mov_b32_e32 v193, 19
	s_and_saveexec_b64 s[2:3], vcc
	s_cbranch_execz .LBB124_573
; %bb.570:
	v_and_b32_e32 v7, -8, v6
	s_mov_b32 s12, 0
	s_mov_b64 s[10:11], 0
	v_mov_b32_e32 v192, 0
	s_mov_b32 s13, 0
.LBB124_571:                            ; =>This Inner Loop Header: Depth=1
	v_readfirstlane_b32 s14, v192
	s_add_i32 s14, s14, s12
	s_add_i32 s15, s14, 0x130
	v_mov_b32_e32 v49, s12
	ds_read_b128 v[194:197], v49 offset:1280
	ds_read_b128 v[198:201], v49 offset:1296
	;; [unrolled: 1-line block ×4, first 2 shown]
	scratch_load_dwordx4 v[210:213], off, s15
	s_add_i32 s15, s14, 0x140
	s_addk_i32 s12, 0x80
	s_waitcnt vmcnt(0) lgkmcnt(3)
	v_mul_f64 v[10:11], v[196:197], v[212:213]
	v_mul_f64 v[52:53], v[194:195], v[212:213]
	v_fma_f64 v[10:11], v[194:195], v[210:211], -v[10:11]
	v_fmac_f64_e32 v[52:53], v[196:197], v[210:211]
	v_add_f64 v[10:11], v[2:3], v[10:11]
	v_add_f64 v[52:53], v[4:5], v[52:53]
	scratch_load_dwordx4 v[2:5], off, s15
	s_add_i32 s15, s14, 0x150
	s_waitcnt vmcnt(0) lgkmcnt(2)
	v_mul_f64 v[194:195], v[200:201], v[4:5]
	v_mul_f64 v[4:5], v[198:199], v[4:5]
	v_fmac_f64_e32 v[4:5], v[200:201], v[2:3]
	v_fma_f64 v[194:195], v[198:199], v[2:3], -v[194:195]
	v_add_f64 v[52:53], v[52:53], v[4:5]
	scratch_load_dwordx4 v[2:5], off, s15
	v_add_f64 v[10:11], v[10:11], v[194:195]
	s_add_i32 s15, s14, 0x160
	s_waitcnt vmcnt(0) lgkmcnt(1)
	v_mul_f64 v[194:195], v[204:205], v[4:5]
	v_mul_f64 v[4:5], v[202:203], v[4:5]
	v_fmac_f64_e32 v[4:5], v[204:205], v[2:3]
	v_fma_f64 v[194:195], v[202:203], v[2:3], -v[194:195]
	v_add_f64 v[52:53], v[52:53], v[4:5]
	scratch_load_dwordx4 v[2:5], off, s15
	v_add_f64 v[10:11], v[10:11], v[194:195]
	s_add_i32 s15, s14, 0x170
	s_waitcnt vmcnt(0) lgkmcnt(0)
	v_mul_f64 v[194:195], v[208:209], v[4:5]
	v_fma_f64 v[194:195], v[206:207], v[2:3], -v[194:195]
	v_add_f64 v[10:11], v[10:11], v[194:195]
	scratch_load_dwordx4 v[194:197], off, s15
	v_mul_f64 v[4:5], v[206:207], v[4:5]
	v_fmac_f64_e32 v[4:5], v[208:209], v[2:3]
	v_add_f64 v[52:53], v[52:53], v[4:5]
	ds_read_b128 v[2:5], v49 offset:1344
	s_add_i32 s15, s14, 0x180
	s_waitcnt vmcnt(0) lgkmcnt(0)
	v_mul_f64 v[198:199], v[4:5], v[196:197]
	v_fma_f64 v[198:199], v[2:3], v[194:195], -v[198:199]
	v_mul_f64 v[2:3], v[2:3], v[196:197]
	v_fmac_f64_e32 v[2:3], v[4:5], v[194:195]
	scratch_load_dwordx4 v[194:197], off, s15
	v_add_f64 v[52:53], v[52:53], v[2:3]
	ds_read_b128 v[2:5], v49 offset:1360
	v_add_f64 v[10:11], v[10:11], v[198:199]
	s_add_i32 s15, s14, 0x190
	s_addk_i32 s14, 0x1a0
	s_waitcnt vmcnt(0) lgkmcnt(0)
	v_mul_f64 v[198:199], v[4:5], v[196:197]
	v_fma_f64 v[198:199], v[2:3], v[194:195], -v[198:199]
	v_mul_f64 v[2:3], v[2:3], v[196:197]
	v_fmac_f64_e32 v[2:3], v[4:5], v[194:195]
	scratch_load_dwordx4 v[194:197], off, s15
	v_add_f64 v[52:53], v[52:53], v[2:3]
	ds_read_b128 v[2:5], v49 offset:1376
	v_add_f64 v[10:11], v[10:11], v[198:199]
	s_waitcnt vmcnt(0) lgkmcnt(0)
	v_mul_f64 v[198:199], v[4:5], v[196:197]
	v_fma_f64 v[198:199], v[2:3], v[194:195], -v[198:199]
	v_mul_f64 v[2:3], v[2:3], v[196:197]
	v_fmac_f64_e32 v[2:3], v[4:5], v[194:195]
	scratch_load_dwordx4 v[194:197], off, s14
	v_add_f64 v[52:53], v[52:53], v[2:3]
	ds_read_b128 v[2:5], v49 offset:1392
	v_add_f64 v[10:11], v[10:11], v[198:199]
	s_add_i32 s14, s13, 8
	v_cmp_eq_u32_e32 vcc, s14, v7
	s_add_i32 s13, s13, 27
	s_or_b64 s[10:11], vcc, s[10:11]
	v_mov_b32_e32 v193, s13
	s_mov_b32 s13, s14
	s_waitcnt vmcnt(0) lgkmcnt(0)
	v_mul_f64 v[198:199], v[4:5], v[196:197]
	v_mul_f64 v[196:197], v[2:3], v[196:197]
	v_fma_f64 v[198:199], v[2:3], v[194:195], -v[198:199]
	v_fmac_f64_e32 v[196:197], v[4:5], v[194:195]
	v_add_f64 v[2:3], v[10:11], v[198:199]
	v_add_f64 v[4:5], v[52:53], v[196:197]
	s_andn2_b64 exec, exec, s[10:11]
	s_cbranch_execnz .LBB124_571
; %bb.572:
	s_or_b64 exec, exec, s[10:11]
.LBB124_573:
	s_or_b64 exec, exec, s[2:3]
	v_and_b32_e32 v6, 7, v6
	v_cmp_ne_u32_e32 vcc, 0, v6
	s_and_saveexec_b64 s[2:3], vcc
	s_cbranch_execz .LBB124_577
; %bb.574:
	v_lshlrev_b32_e32 v10, 4, v193
	v_add_u32_e32 v7, 0x3d0, v10
	v_add_u32_e32 v192, 0, v10
	s_mov_b64 s[10:11], 0
.LBB124_575:                            ; =>This Inner Loop Header: Depth=1
	scratch_load_dwordx4 v[194:197], v192, off
	ds_read_b128 v[198:201], v7
	v_add_u32_e32 v6, -1, v6
	v_cmp_eq_u32_e32 vcc, 0, v6
	v_add_u32_e32 v7, 16, v7
	v_add_u32_e32 v192, 16, v192
	s_or_b64 s[10:11], vcc, s[10:11]
	s_waitcnt vmcnt(0) lgkmcnt(0)
	v_mul_f64 v[10:11], v[200:201], v[196:197]
	v_mul_f64 v[52:53], v[198:199], v[196:197]
	v_fma_f64 v[10:11], v[198:199], v[194:195], -v[10:11]
	v_fmac_f64_e32 v[52:53], v[200:201], v[194:195]
	v_add_f64 v[2:3], v[2:3], v[10:11]
	v_add_f64 v[4:5], v[4:5], v[52:53]
	s_andn2_b64 exec, exec, s[10:11]
	s_cbranch_execnz .LBB124_575
; %bb.576:
	s_or_b64 exec, exec, s[10:11]
.LBB124_577:
	s_or_b64 exec, exec, s[2:3]
.LBB124_578:
	s_or_b64 exec, exec, s[8:9]
	v_mov_b32_e32 v6, 0
	ds_read_b128 v[192:195], v6 offset:288
	s_waitcnt lgkmcnt(0)
	v_mul_f64 v[6:7], v[4:5], v[194:195]
	v_mul_f64 v[196:197], v[2:3], v[194:195]
	v_fma_f64 v[194:195], v[2:3], v[192:193], -v[6:7]
	v_fmac_f64_e32 v[196:197], v[4:5], v[192:193]
	scratch_store_dwordx4 off, v[194:197], off offset:288
.LBB124_579:
	s_or_b64 exec, exec, s[4:5]
	scratch_load_dwordx4 v[2:5], v175, off
	v_cmp_lt_u32_e64 s[2:3], 17, v0
	s_waitcnt vmcnt(0)
	ds_write_b128 v9, v[2:5]
	s_waitcnt lgkmcnt(0)
	; wave barrier
	s_waitcnt lgkmcnt(0)
	s_and_saveexec_b64 s[4:5], s[2:3]
	s_cbranch_execz .LBB124_593
; %bb.580:
	ds_read_b128 v[2:5], v9
	s_andn2_b64 vcc, exec, s[6:7]
	s_cbranch_vccnz .LBB124_582
; %bb.581:
	scratch_load_dwordx4 v[192:195], v8, off
	s_waitcnt vmcnt(0) lgkmcnt(0)
	v_mul_f64 v[10:11], v[2:3], v[194:195]
	v_mul_f64 v[6:7], v[4:5], v[194:195]
	v_fmac_f64_e32 v[10:11], v[4:5], v[192:193]
	v_fma_f64 v[2:3], v[2:3], v[192:193], -v[6:7]
	v_mov_b64_e32 v[4:5], v[10:11]
.LBB124_582:
	s_and_saveexec_b64 s[8:9], s[0:1]
	s_cbranch_execz .LBB124_592
; %bb.583:
	v_subrev_u32_e32 v7, 19, v0
	v_subrev_u32_e32 v6, 18, v0
	v_cmp_lt_u32_e32 vcc, 6, v7
	v_mov_b32_e32 v193, 18
	s_and_saveexec_b64 s[0:1], vcc
	s_cbranch_execz .LBB124_587
; %bb.584:
	v_and_b32_e32 v7, -8, v6
	s_mov_b32 s12, 0
	s_mov_b64 s[10:11], 0
	v_mov_b32_e32 v192, 0
	s_mov_b32 s13, 0
.LBB124_585:                            ; =>This Inner Loop Header: Depth=1
	v_readfirstlane_b32 s14, v192
	s_add_i32 s14, s14, s12
	s_add_i32 s15, s14, 0x120
	v_mov_b32_e32 v49, s12
	ds_read_b128 v[194:197], v49 offset:1264
	ds_read_b128 v[198:201], v49 offset:1280
	;; [unrolled: 1-line block ×4, first 2 shown]
	scratch_load_dwordx4 v[210:213], off, s15
	s_add_i32 s15, s14, 0x130
	s_addk_i32 s12, 0x80
	s_waitcnt vmcnt(0) lgkmcnt(3)
	v_mul_f64 v[10:11], v[196:197], v[212:213]
	v_mul_f64 v[52:53], v[194:195], v[212:213]
	v_fma_f64 v[10:11], v[194:195], v[210:211], -v[10:11]
	v_fmac_f64_e32 v[52:53], v[196:197], v[210:211]
	v_add_f64 v[10:11], v[2:3], v[10:11]
	v_add_f64 v[52:53], v[4:5], v[52:53]
	scratch_load_dwordx4 v[2:5], off, s15
	s_add_i32 s15, s14, 0x140
	s_waitcnt vmcnt(0) lgkmcnt(2)
	v_mul_f64 v[194:195], v[200:201], v[4:5]
	v_mul_f64 v[4:5], v[198:199], v[4:5]
	v_fmac_f64_e32 v[4:5], v[200:201], v[2:3]
	v_fma_f64 v[194:195], v[198:199], v[2:3], -v[194:195]
	v_add_f64 v[52:53], v[52:53], v[4:5]
	scratch_load_dwordx4 v[2:5], off, s15
	v_add_f64 v[10:11], v[10:11], v[194:195]
	s_add_i32 s15, s14, 0x150
	s_waitcnt vmcnt(0) lgkmcnt(1)
	v_mul_f64 v[194:195], v[204:205], v[4:5]
	v_mul_f64 v[4:5], v[202:203], v[4:5]
	v_fmac_f64_e32 v[4:5], v[204:205], v[2:3]
	v_fma_f64 v[194:195], v[202:203], v[2:3], -v[194:195]
	v_add_f64 v[52:53], v[52:53], v[4:5]
	scratch_load_dwordx4 v[2:5], off, s15
	v_add_f64 v[10:11], v[10:11], v[194:195]
	s_add_i32 s15, s14, 0x160
	s_waitcnt vmcnt(0) lgkmcnt(0)
	v_mul_f64 v[194:195], v[208:209], v[4:5]
	v_fma_f64 v[194:195], v[206:207], v[2:3], -v[194:195]
	v_add_f64 v[10:11], v[10:11], v[194:195]
	scratch_load_dwordx4 v[194:197], off, s15
	v_mul_f64 v[4:5], v[206:207], v[4:5]
	v_fmac_f64_e32 v[4:5], v[208:209], v[2:3]
	v_add_f64 v[52:53], v[52:53], v[4:5]
	ds_read_b128 v[2:5], v49 offset:1328
	s_add_i32 s15, s14, 0x170
	s_waitcnt vmcnt(0) lgkmcnt(0)
	v_mul_f64 v[198:199], v[4:5], v[196:197]
	v_fma_f64 v[198:199], v[2:3], v[194:195], -v[198:199]
	v_mul_f64 v[2:3], v[2:3], v[196:197]
	v_fmac_f64_e32 v[2:3], v[4:5], v[194:195]
	scratch_load_dwordx4 v[194:197], off, s15
	v_add_f64 v[52:53], v[52:53], v[2:3]
	ds_read_b128 v[2:5], v49 offset:1344
	v_add_f64 v[10:11], v[10:11], v[198:199]
	s_add_i32 s15, s14, 0x180
	s_addk_i32 s14, 0x190
	s_waitcnt vmcnt(0) lgkmcnt(0)
	v_mul_f64 v[198:199], v[4:5], v[196:197]
	v_fma_f64 v[198:199], v[2:3], v[194:195], -v[198:199]
	v_mul_f64 v[2:3], v[2:3], v[196:197]
	v_fmac_f64_e32 v[2:3], v[4:5], v[194:195]
	scratch_load_dwordx4 v[194:197], off, s15
	v_add_f64 v[52:53], v[52:53], v[2:3]
	ds_read_b128 v[2:5], v49 offset:1360
	v_add_f64 v[10:11], v[10:11], v[198:199]
	s_waitcnt vmcnt(0) lgkmcnt(0)
	v_mul_f64 v[198:199], v[4:5], v[196:197]
	v_fma_f64 v[198:199], v[2:3], v[194:195], -v[198:199]
	v_mul_f64 v[2:3], v[2:3], v[196:197]
	v_fmac_f64_e32 v[2:3], v[4:5], v[194:195]
	scratch_load_dwordx4 v[194:197], off, s14
	v_add_f64 v[52:53], v[52:53], v[2:3]
	ds_read_b128 v[2:5], v49 offset:1376
	v_add_f64 v[10:11], v[10:11], v[198:199]
	s_add_i32 s14, s13, 8
	v_cmp_eq_u32_e32 vcc, s14, v7
	s_add_i32 s13, s13, 26
	s_or_b64 s[10:11], vcc, s[10:11]
	v_mov_b32_e32 v193, s13
	s_mov_b32 s13, s14
	s_waitcnt vmcnt(0) lgkmcnt(0)
	v_mul_f64 v[198:199], v[4:5], v[196:197]
	v_mul_f64 v[196:197], v[2:3], v[196:197]
	v_fma_f64 v[198:199], v[2:3], v[194:195], -v[198:199]
	v_fmac_f64_e32 v[196:197], v[4:5], v[194:195]
	v_add_f64 v[2:3], v[10:11], v[198:199]
	v_add_f64 v[4:5], v[52:53], v[196:197]
	s_andn2_b64 exec, exec, s[10:11]
	s_cbranch_execnz .LBB124_585
; %bb.586:
	s_or_b64 exec, exec, s[10:11]
.LBB124_587:
	s_or_b64 exec, exec, s[0:1]
	v_and_b32_e32 v6, 7, v6
	v_cmp_ne_u32_e32 vcc, 0, v6
	s_and_saveexec_b64 s[0:1], vcc
	s_cbranch_execz .LBB124_591
; %bb.588:
	v_lshlrev_b32_e32 v10, 4, v193
	v_add_u32_e32 v7, 0x3d0, v10
	v_add_u32_e32 v192, 0, v10
	s_mov_b64 s[10:11], 0
.LBB124_589:                            ; =>This Inner Loop Header: Depth=1
	scratch_load_dwordx4 v[194:197], v192, off
	ds_read_b128 v[198:201], v7
	v_add_u32_e32 v6, -1, v6
	v_cmp_eq_u32_e32 vcc, 0, v6
	v_add_u32_e32 v7, 16, v7
	v_add_u32_e32 v192, 16, v192
	s_or_b64 s[10:11], vcc, s[10:11]
	s_waitcnt vmcnt(0) lgkmcnt(0)
	v_mul_f64 v[10:11], v[200:201], v[196:197]
	v_mul_f64 v[52:53], v[198:199], v[196:197]
	v_fma_f64 v[10:11], v[198:199], v[194:195], -v[10:11]
	v_fmac_f64_e32 v[52:53], v[200:201], v[194:195]
	v_add_f64 v[2:3], v[2:3], v[10:11]
	v_add_f64 v[4:5], v[4:5], v[52:53]
	s_andn2_b64 exec, exec, s[10:11]
	s_cbranch_execnz .LBB124_589
; %bb.590:
	s_or_b64 exec, exec, s[10:11]
.LBB124_591:
	s_or_b64 exec, exec, s[0:1]
.LBB124_592:
	s_or_b64 exec, exec, s[8:9]
	v_mov_b32_e32 v6, 0
	ds_read_b128 v[192:195], v6 offset:272
	s_waitcnt lgkmcnt(0)
	v_mul_f64 v[6:7], v[4:5], v[194:195]
	v_mul_f64 v[196:197], v[2:3], v[194:195]
	v_fma_f64 v[194:195], v[2:3], v[192:193], -v[6:7]
	v_fmac_f64_e32 v[196:197], v[4:5], v[192:193]
	scratch_store_dwordx4 off, v[194:197], off offset:272
.LBB124_593:
	s_or_b64 exec, exec, s[4:5]
	scratch_load_dwordx4 v[2:5], v176, off
	v_cmp_lt_u32_e64 s[0:1], 16, v0
	s_waitcnt vmcnt(0)
	ds_write_b128 v9, v[2:5]
	s_waitcnt lgkmcnt(0)
	; wave barrier
	s_waitcnt lgkmcnt(0)
	s_and_saveexec_b64 s[4:5], s[0:1]
	s_cbranch_execz .LBB124_607
; %bb.594:
	ds_read_b128 v[2:5], v9
	s_andn2_b64 vcc, exec, s[6:7]
	s_cbranch_vccnz .LBB124_596
; %bb.595:
	scratch_load_dwordx4 v[192:195], v8, off
	s_waitcnt vmcnt(0) lgkmcnt(0)
	v_mul_f64 v[10:11], v[2:3], v[194:195]
	v_mul_f64 v[6:7], v[4:5], v[194:195]
	v_fmac_f64_e32 v[10:11], v[4:5], v[192:193]
	v_fma_f64 v[2:3], v[2:3], v[192:193], -v[6:7]
	v_mov_b64_e32 v[4:5], v[10:11]
.LBB124_596:
	s_and_saveexec_b64 s[8:9], s[2:3]
	s_cbranch_execz .LBB124_606
; %bb.597:
	v_subrev_u32_e32 v7, 18, v0
	v_subrev_u32_e32 v6, 17, v0
	v_cmp_lt_u32_e32 vcc, 6, v7
	v_mov_b32_e32 v193, 17
	s_and_saveexec_b64 s[2:3], vcc
	s_cbranch_execz .LBB124_601
; %bb.598:
	v_and_b32_e32 v7, -8, v6
	s_mov_b32 s12, 0
	s_mov_b64 s[10:11], 0
	v_mov_b32_e32 v192, 0
	s_mov_b32 s13, 0
.LBB124_599:                            ; =>This Inner Loop Header: Depth=1
	v_readfirstlane_b32 s14, v192
	s_add_i32 s14, s14, s12
	s_add_i32 s15, s14, 0x110
	v_mov_b32_e32 v49, s12
	ds_read_b128 v[194:197], v49 offset:1248
	ds_read_b128 v[198:201], v49 offset:1264
	;; [unrolled: 1-line block ×4, first 2 shown]
	scratch_load_dwordx4 v[210:213], off, s15
	s_add_i32 s15, s14, 0x120
	s_addk_i32 s12, 0x80
	s_waitcnt vmcnt(0) lgkmcnt(3)
	v_mul_f64 v[10:11], v[196:197], v[212:213]
	v_mul_f64 v[52:53], v[194:195], v[212:213]
	v_fma_f64 v[10:11], v[194:195], v[210:211], -v[10:11]
	v_fmac_f64_e32 v[52:53], v[196:197], v[210:211]
	v_add_f64 v[10:11], v[2:3], v[10:11]
	v_add_f64 v[52:53], v[4:5], v[52:53]
	scratch_load_dwordx4 v[2:5], off, s15
	s_add_i32 s15, s14, 0x130
	s_waitcnt vmcnt(0) lgkmcnt(2)
	v_mul_f64 v[194:195], v[200:201], v[4:5]
	v_mul_f64 v[4:5], v[198:199], v[4:5]
	v_fmac_f64_e32 v[4:5], v[200:201], v[2:3]
	v_fma_f64 v[194:195], v[198:199], v[2:3], -v[194:195]
	v_add_f64 v[52:53], v[52:53], v[4:5]
	scratch_load_dwordx4 v[2:5], off, s15
	v_add_f64 v[10:11], v[10:11], v[194:195]
	s_add_i32 s15, s14, 0x140
	s_waitcnt vmcnt(0) lgkmcnt(1)
	v_mul_f64 v[194:195], v[204:205], v[4:5]
	v_mul_f64 v[4:5], v[202:203], v[4:5]
	v_fmac_f64_e32 v[4:5], v[204:205], v[2:3]
	v_fma_f64 v[194:195], v[202:203], v[2:3], -v[194:195]
	v_add_f64 v[52:53], v[52:53], v[4:5]
	scratch_load_dwordx4 v[2:5], off, s15
	v_add_f64 v[10:11], v[10:11], v[194:195]
	s_add_i32 s15, s14, 0x150
	s_waitcnt vmcnt(0) lgkmcnt(0)
	v_mul_f64 v[194:195], v[208:209], v[4:5]
	v_fma_f64 v[194:195], v[206:207], v[2:3], -v[194:195]
	v_add_f64 v[10:11], v[10:11], v[194:195]
	scratch_load_dwordx4 v[194:197], off, s15
	v_mul_f64 v[4:5], v[206:207], v[4:5]
	v_fmac_f64_e32 v[4:5], v[208:209], v[2:3]
	v_add_f64 v[52:53], v[52:53], v[4:5]
	ds_read_b128 v[2:5], v49 offset:1312
	s_add_i32 s15, s14, 0x160
	s_waitcnt vmcnt(0) lgkmcnt(0)
	v_mul_f64 v[198:199], v[4:5], v[196:197]
	v_fma_f64 v[198:199], v[2:3], v[194:195], -v[198:199]
	v_mul_f64 v[2:3], v[2:3], v[196:197]
	v_fmac_f64_e32 v[2:3], v[4:5], v[194:195]
	scratch_load_dwordx4 v[194:197], off, s15
	v_add_f64 v[52:53], v[52:53], v[2:3]
	ds_read_b128 v[2:5], v49 offset:1328
	v_add_f64 v[10:11], v[10:11], v[198:199]
	s_add_i32 s15, s14, 0x170
	s_addk_i32 s14, 0x180
	s_waitcnt vmcnt(0) lgkmcnt(0)
	v_mul_f64 v[198:199], v[4:5], v[196:197]
	v_fma_f64 v[198:199], v[2:3], v[194:195], -v[198:199]
	v_mul_f64 v[2:3], v[2:3], v[196:197]
	v_fmac_f64_e32 v[2:3], v[4:5], v[194:195]
	scratch_load_dwordx4 v[194:197], off, s15
	v_add_f64 v[52:53], v[52:53], v[2:3]
	ds_read_b128 v[2:5], v49 offset:1344
	v_add_f64 v[10:11], v[10:11], v[198:199]
	s_waitcnt vmcnt(0) lgkmcnt(0)
	v_mul_f64 v[198:199], v[4:5], v[196:197]
	v_fma_f64 v[198:199], v[2:3], v[194:195], -v[198:199]
	v_mul_f64 v[2:3], v[2:3], v[196:197]
	v_fmac_f64_e32 v[2:3], v[4:5], v[194:195]
	scratch_load_dwordx4 v[194:197], off, s14
	v_add_f64 v[52:53], v[52:53], v[2:3]
	ds_read_b128 v[2:5], v49 offset:1360
	v_add_f64 v[10:11], v[10:11], v[198:199]
	s_add_i32 s14, s13, 8
	v_cmp_eq_u32_e32 vcc, s14, v7
	s_add_i32 s13, s13, 25
	s_or_b64 s[10:11], vcc, s[10:11]
	v_mov_b32_e32 v193, s13
	s_mov_b32 s13, s14
	s_waitcnt vmcnt(0) lgkmcnt(0)
	v_mul_f64 v[198:199], v[4:5], v[196:197]
	v_mul_f64 v[196:197], v[2:3], v[196:197]
	v_fma_f64 v[198:199], v[2:3], v[194:195], -v[198:199]
	v_fmac_f64_e32 v[196:197], v[4:5], v[194:195]
	v_add_f64 v[2:3], v[10:11], v[198:199]
	v_add_f64 v[4:5], v[52:53], v[196:197]
	s_andn2_b64 exec, exec, s[10:11]
	s_cbranch_execnz .LBB124_599
; %bb.600:
	s_or_b64 exec, exec, s[10:11]
.LBB124_601:
	s_or_b64 exec, exec, s[2:3]
	v_and_b32_e32 v6, 7, v6
	v_cmp_ne_u32_e32 vcc, 0, v6
	s_and_saveexec_b64 s[2:3], vcc
	s_cbranch_execz .LBB124_605
; %bb.602:
	v_lshlrev_b32_e32 v10, 4, v193
	v_add_u32_e32 v7, 0x3d0, v10
	v_add_u32_e32 v192, 0, v10
	s_mov_b64 s[10:11], 0
.LBB124_603:                            ; =>This Inner Loop Header: Depth=1
	scratch_load_dwordx4 v[194:197], v192, off
	ds_read_b128 v[198:201], v7
	v_add_u32_e32 v6, -1, v6
	v_cmp_eq_u32_e32 vcc, 0, v6
	v_add_u32_e32 v7, 16, v7
	v_add_u32_e32 v192, 16, v192
	s_or_b64 s[10:11], vcc, s[10:11]
	s_waitcnt vmcnt(0) lgkmcnt(0)
	v_mul_f64 v[10:11], v[200:201], v[196:197]
	v_mul_f64 v[52:53], v[198:199], v[196:197]
	v_fma_f64 v[10:11], v[198:199], v[194:195], -v[10:11]
	v_fmac_f64_e32 v[52:53], v[200:201], v[194:195]
	v_add_f64 v[2:3], v[2:3], v[10:11]
	v_add_f64 v[4:5], v[4:5], v[52:53]
	s_andn2_b64 exec, exec, s[10:11]
	s_cbranch_execnz .LBB124_603
; %bb.604:
	s_or_b64 exec, exec, s[10:11]
.LBB124_605:
	s_or_b64 exec, exec, s[2:3]
.LBB124_606:
	s_or_b64 exec, exec, s[8:9]
	v_mov_b32_e32 v6, 0
	ds_read_b128 v[192:195], v6 offset:256
	s_waitcnt lgkmcnt(0)
	v_mul_f64 v[6:7], v[4:5], v[194:195]
	v_mul_f64 v[196:197], v[2:3], v[194:195]
	v_fma_f64 v[194:195], v[2:3], v[192:193], -v[6:7]
	v_fmac_f64_e32 v[196:197], v[4:5], v[192:193]
	scratch_store_dwordx4 off, v[194:197], off offset:256
.LBB124_607:
	s_or_b64 exec, exec, s[4:5]
	scratch_load_dwordx4 v[2:5], v177, off
	v_cmp_lt_u32_e64 s[2:3], 15, v0
	s_waitcnt vmcnt(0)
	ds_write_b128 v9, v[2:5]
	s_waitcnt lgkmcnt(0)
	; wave barrier
	s_waitcnt lgkmcnt(0)
	s_and_saveexec_b64 s[4:5], s[2:3]
	s_cbranch_execz .LBB124_621
; %bb.608:
	ds_read_b128 v[2:5], v9
	s_andn2_b64 vcc, exec, s[6:7]
	s_cbranch_vccnz .LBB124_610
; %bb.609:
	scratch_load_dwordx4 v[192:195], v8, off
	s_waitcnt vmcnt(0) lgkmcnt(0)
	v_mul_f64 v[10:11], v[2:3], v[194:195]
	v_mul_f64 v[6:7], v[4:5], v[194:195]
	v_fmac_f64_e32 v[10:11], v[4:5], v[192:193]
	v_fma_f64 v[2:3], v[2:3], v[192:193], -v[6:7]
	v_mov_b64_e32 v[4:5], v[10:11]
.LBB124_610:
	s_and_saveexec_b64 s[8:9], s[0:1]
	s_cbranch_execz .LBB124_620
; %bb.611:
	v_subrev_u32_e32 v6, 17, v0
	v_cmp_lt_u32_e32 vcc, 6, v6
	v_mov_b32_e32 v6, 16
	s_and_saveexec_b64 s[0:1], vcc
	s_cbranch_execz .LBB124_615
; %bb.612:
	v_and_b32_e32 v6, 56, v0
	s_mov_b32 s12, 16
	s_mov_b32 s13, 0
	s_mov_b64 s[10:11], 0
	v_mov_b32_e32 v7, 0
.LBB124_613:                            ; =>This Inner Loop Header: Depth=1
	s_nop 0
	v_readfirstlane_b32 s14, v7
	s_add_i32 s14, s14, s13
	s_add_i32 s15, s14, 0x100
	v_mov_b32_e32 v49, s13
	ds_read_b128 v[192:195], v49 offset:1232
	ds_read_b128 v[196:199], v49 offset:1248
	ds_read_b128 v[200:203], v49 offset:1264
	ds_read_b128 v[204:207], v49 offset:1280
	scratch_load_dwordx4 v[208:211], off, s15
	s_add_i32 s15, s14, 0x110
	s_add_i32 s12, s12, 8
	s_addk_i32 s13, 0x80
	v_cmp_eq_u32_e32 vcc, s12, v6
	s_waitcnt vmcnt(0) lgkmcnt(3)
	v_mul_f64 v[10:11], v[194:195], v[210:211]
	v_mul_f64 v[52:53], v[192:193], v[210:211]
	v_fma_f64 v[10:11], v[192:193], v[208:209], -v[10:11]
	v_fmac_f64_e32 v[52:53], v[194:195], v[208:209]
	v_add_f64 v[10:11], v[2:3], v[10:11]
	v_add_f64 v[52:53], v[4:5], v[52:53]
	scratch_load_dwordx4 v[2:5], off, s15
	s_add_i32 s15, s14, 0x120
	s_waitcnt vmcnt(0) lgkmcnt(2)
	v_mul_f64 v[192:193], v[198:199], v[4:5]
	v_mul_f64 v[4:5], v[196:197], v[4:5]
	v_fmac_f64_e32 v[4:5], v[198:199], v[2:3]
	v_fma_f64 v[192:193], v[196:197], v[2:3], -v[192:193]
	v_add_f64 v[52:53], v[52:53], v[4:5]
	scratch_load_dwordx4 v[2:5], off, s15
	v_add_f64 v[10:11], v[10:11], v[192:193]
	s_add_i32 s15, s14, 0x130
	s_waitcnt vmcnt(0) lgkmcnt(1)
	v_mul_f64 v[192:193], v[202:203], v[4:5]
	v_mul_f64 v[4:5], v[200:201], v[4:5]
	v_fmac_f64_e32 v[4:5], v[202:203], v[2:3]
	v_fma_f64 v[192:193], v[200:201], v[2:3], -v[192:193]
	v_add_f64 v[52:53], v[52:53], v[4:5]
	scratch_load_dwordx4 v[2:5], off, s15
	v_add_f64 v[10:11], v[10:11], v[192:193]
	s_add_i32 s15, s14, 0x140
	s_waitcnt vmcnt(0) lgkmcnt(0)
	v_mul_f64 v[192:193], v[206:207], v[4:5]
	v_fma_f64 v[192:193], v[204:205], v[2:3], -v[192:193]
	v_add_f64 v[10:11], v[10:11], v[192:193]
	scratch_load_dwordx4 v[192:195], off, s15
	v_mul_f64 v[4:5], v[204:205], v[4:5]
	v_fmac_f64_e32 v[4:5], v[206:207], v[2:3]
	v_add_f64 v[52:53], v[52:53], v[4:5]
	ds_read_b128 v[2:5], v49 offset:1296
	s_add_i32 s15, s14, 0x150
	s_waitcnt vmcnt(0) lgkmcnt(0)
	v_mul_f64 v[196:197], v[4:5], v[194:195]
	v_fma_f64 v[196:197], v[2:3], v[192:193], -v[196:197]
	v_mul_f64 v[2:3], v[2:3], v[194:195]
	v_fmac_f64_e32 v[2:3], v[4:5], v[192:193]
	scratch_load_dwordx4 v[192:195], off, s15
	v_add_f64 v[52:53], v[52:53], v[2:3]
	ds_read_b128 v[2:5], v49 offset:1312
	v_add_f64 v[10:11], v[10:11], v[196:197]
	s_add_i32 s15, s14, 0x160
	s_addk_i32 s14, 0x170
	s_or_b64 s[10:11], vcc, s[10:11]
	s_waitcnt vmcnt(0) lgkmcnt(0)
	v_mul_f64 v[196:197], v[4:5], v[194:195]
	v_fma_f64 v[196:197], v[2:3], v[192:193], -v[196:197]
	v_mul_f64 v[2:3], v[2:3], v[194:195]
	v_fmac_f64_e32 v[2:3], v[4:5], v[192:193]
	scratch_load_dwordx4 v[192:195], off, s15
	v_add_f64 v[52:53], v[52:53], v[2:3]
	ds_read_b128 v[2:5], v49 offset:1328
	v_add_f64 v[10:11], v[10:11], v[196:197]
	s_waitcnt vmcnt(0) lgkmcnt(0)
	v_mul_f64 v[196:197], v[4:5], v[194:195]
	v_fma_f64 v[196:197], v[2:3], v[192:193], -v[196:197]
	v_mul_f64 v[2:3], v[2:3], v[194:195]
	v_fmac_f64_e32 v[2:3], v[4:5], v[192:193]
	scratch_load_dwordx4 v[192:195], off, s14
	v_add_f64 v[52:53], v[52:53], v[2:3]
	ds_read_b128 v[2:5], v49 offset:1344
	v_add_f64 v[10:11], v[10:11], v[196:197]
	s_waitcnt vmcnt(0) lgkmcnt(0)
	v_mul_f64 v[196:197], v[4:5], v[194:195]
	v_mul_f64 v[194:195], v[2:3], v[194:195]
	v_fma_f64 v[196:197], v[2:3], v[192:193], -v[196:197]
	v_fmac_f64_e32 v[194:195], v[4:5], v[192:193]
	v_add_f64 v[2:3], v[10:11], v[196:197]
	v_add_f64 v[4:5], v[52:53], v[194:195]
	s_andn2_b64 exec, exec, s[10:11]
	s_cbranch_execnz .LBB124_613
; %bb.614:
	s_or_b64 exec, exec, s[10:11]
.LBB124_615:
	s_or_b64 exec, exec, s[0:1]
	v_and_b32_e32 v7, 7, v0
	v_cmp_ne_u32_e32 vcc, 0, v7
	s_and_saveexec_b64 s[0:1], vcc
	s_cbranch_execz .LBB124_619
; %bb.616:
	v_lshlrev_b32_e32 v10, 4, v6
	v_add_u32_e32 v6, 0x3d0, v10
	v_add_u32_e32 v192, 0, v10
	s_mov_b64 s[10:11], 0
.LBB124_617:                            ; =>This Inner Loop Header: Depth=1
	scratch_load_dwordx4 v[194:197], v192, off
	ds_read_b128 v[198:201], v6
	v_add_u32_e32 v7, -1, v7
	v_cmp_eq_u32_e32 vcc, 0, v7
	v_add_u32_e32 v6, 16, v6
	v_add_u32_e32 v192, 16, v192
	s_or_b64 s[10:11], vcc, s[10:11]
	s_waitcnt vmcnt(0) lgkmcnt(0)
	v_mul_f64 v[10:11], v[200:201], v[196:197]
	v_mul_f64 v[52:53], v[198:199], v[196:197]
	v_fma_f64 v[10:11], v[198:199], v[194:195], -v[10:11]
	v_fmac_f64_e32 v[52:53], v[200:201], v[194:195]
	v_add_f64 v[2:3], v[2:3], v[10:11]
	v_add_f64 v[4:5], v[4:5], v[52:53]
	s_andn2_b64 exec, exec, s[10:11]
	s_cbranch_execnz .LBB124_617
; %bb.618:
	s_or_b64 exec, exec, s[10:11]
.LBB124_619:
	s_or_b64 exec, exec, s[0:1]
.LBB124_620:
	s_or_b64 exec, exec, s[8:9]
	v_mov_b32_e32 v6, 0
	ds_read_b128 v[192:195], v6 offset:240
	s_waitcnt lgkmcnt(0)
	v_mul_f64 v[6:7], v[4:5], v[194:195]
	v_mul_f64 v[196:197], v[2:3], v[194:195]
	v_fma_f64 v[194:195], v[2:3], v[192:193], -v[6:7]
	v_fmac_f64_e32 v[196:197], v[4:5], v[192:193]
	scratch_store_dwordx4 off, v[194:197], off offset:240
.LBB124_621:
	s_or_b64 exec, exec, s[4:5]
	scratch_load_dwordx4 v[2:5], v178, off
	v_cmp_lt_u32_e64 s[0:1], 14, v0
	s_waitcnt vmcnt(0)
	ds_write_b128 v9, v[2:5]
	s_waitcnt lgkmcnt(0)
	; wave barrier
	s_waitcnt lgkmcnt(0)
	s_and_saveexec_b64 s[4:5], s[0:1]
	s_cbranch_execz .LBB124_635
; %bb.622:
	ds_read_b128 v[2:5], v9
	s_andn2_b64 vcc, exec, s[6:7]
	s_cbranch_vccnz .LBB124_624
; %bb.623:
	scratch_load_dwordx4 v[192:195], v8, off
	s_waitcnt vmcnt(0) lgkmcnt(0)
	v_mul_f64 v[10:11], v[2:3], v[194:195]
	v_mul_f64 v[6:7], v[4:5], v[194:195]
	v_fmac_f64_e32 v[10:11], v[4:5], v[192:193]
	v_fma_f64 v[2:3], v[2:3], v[192:193], -v[6:7]
	v_mov_b64_e32 v[4:5], v[10:11]
.LBB124_624:
	s_and_saveexec_b64 s[8:9], s[2:3]
	s_cbranch_execz .LBB124_634
; %bb.625:
	v_add_u32_e32 v7, -16, v0
	v_add_u32_e32 v6, -15, v0
	v_cmp_lt_u32_e32 vcc, 6, v7
	v_mov_b32_e32 v193, 15
	s_and_saveexec_b64 s[2:3], vcc
	s_cbranch_execz .LBB124_629
; %bb.626:
	v_and_b32_e32 v7, -8, v6
	s_mov_b32 s12, 0
	s_mov_b64 s[10:11], 0
	v_mov_b32_e32 v192, 0
	s_mov_b32 s13, 0
.LBB124_627:                            ; =>This Inner Loop Header: Depth=1
	v_readfirstlane_b32 s14, v192
	s_add_i32 s14, s14, s12
	s_add_i32 s15, s14, 0xf0
	v_mov_b32_e32 v49, s12
	ds_read_b128 v[194:197], v49 offset:1216
	ds_read_b128 v[198:201], v49 offset:1232
	;; [unrolled: 1-line block ×4, first 2 shown]
	scratch_load_dwordx4 v[210:213], off, s15
	s_add_i32 s15, s14, 0x100
	s_addk_i32 s12, 0x80
	s_waitcnt vmcnt(0) lgkmcnt(3)
	v_mul_f64 v[10:11], v[196:197], v[212:213]
	v_mul_f64 v[52:53], v[194:195], v[212:213]
	v_fma_f64 v[10:11], v[194:195], v[210:211], -v[10:11]
	v_fmac_f64_e32 v[52:53], v[196:197], v[210:211]
	v_add_f64 v[10:11], v[2:3], v[10:11]
	v_add_f64 v[52:53], v[4:5], v[52:53]
	scratch_load_dwordx4 v[2:5], off, s15
	s_add_i32 s15, s14, 0x110
	s_waitcnt vmcnt(0) lgkmcnt(2)
	v_mul_f64 v[194:195], v[200:201], v[4:5]
	v_mul_f64 v[4:5], v[198:199], v[4:5]
	v_fmac_f64_e32 v[4:5], v[200:201], v[2:3]
	v_fma_f64 v[194:195], v[198:199], v[2:3], -v[194:195]
	v_add_f64 v[52:53], v[52:53], v[4:5]
	scratch_load_dwordx4 v[2:5], off, s15
	v_add_f64 v[10:11], v[10:11], v[194:195]
	s_add_i32 s15, s14, 0x120
	s_waitcnt vmcnt(0) lgkmcnt(1)
	v_mul_f64 v[194:195], v[204:205], v[4:5]
	v_mul_f64 v[4:5], v[202:203], v[4:5]
	v_fmac_f64_e32 v[4:5], v[204:205], v[2:3]
	v_fma_f64 v[194:195], v[202:203], v[2:3], -v[194:195]
	v_add_f64 v[52:53], v[52:53], v[4:5]
	scratch_load_dwordx4 v[2:5], off, s15
	v_add_f64 v[10:11], v[10:11], v[194:195]
	s_add_i32 s15, s14, 0x130
	s_waitcnt vmcnt(0) lgkmcnt(0)
	v_mul_f64 v[194:195], v[208:209], v[4:5]
	v_fma_f64 v[194:195], v[206:207], v[2:3], -v[194:195]
	v_add_f64 v[10:11], v[10:11], v[194:195]
	scratch_load_dwordx4 v[194:197], off, s15
	v_mul_f64 v[4:5], v[206:207], v[4:5]
	v_fmac_f64_e32 v[4:5], v[208:209], v[2:3]
	v_add_f64 v[52:53], v[52:53], v[4:5]
	ds_read_b128 v[2:5], v49 offset:1280
	s_add_i32 s15, s14, 0x140
	s_waitcnt vmcnt(0) lgkmcnt(0)
	v_mul_f64 v[198:199], v[4:5], v[196:197]
	v_fma_f64 v[198:199], v[2:3], v[194:195], -v[198:199]
	v_mul_f64 v[2:3], v[2:3], v[196:197]
	v_fmac_f64_e32 v[2:3], v[4:5], v[194:195]
	scratch_load_dwordx4 v[194:197], off, s15
	v_add_f64 v[52:53], v[52:53], v[2:3]
	ds_read_b128 v[2:5], v49 offset:1296
	v_add_f64 v[10:11], v[10:11], v[198:199]
	s_add_i32 s15, s14, 0x150
	s_addk_i32 s14, 0x160
	s_waitcnt vmcnt(0) lgkmcnt(0)
	v_mul_f64 v[198:199], v[4:5], v[196:197]
	v_fma_f64 v[198:199], v[2:3], v[194:195], -v[198:199]
	v_mul_f64 v[2:3], v[2:3], v[196:197]
	v_fmac_f64_e32 v[2:3], v[4:5], v[194:195]
	scratch_load_dwordx4 v[194:197], off, s15
	v_add_f64 v[52:53], v[52:53], v[2:3]
	ds_read_b128 v[2:5], v49 offset:1312
	v_add_f64 v[10:11], v[10:11], v[198:199]
	s_waitcnt vmcnt(0) lgkmcnt(0)
	v_mul_f64 v[198:199], v[4:5], v[196:197]
	v_fma_f64 v[198:199], v[2:3], v[194:195], -v[198:199]
	v_mul_f64 v[2:3], v[2:3], v[196:197]
	v_fmac_f64_e32 v[2:3], v[4:5], v[194:195]
	scratch_load_dwordx4 v[194:197], off, s14
	v_add_f64 v[52:53], v[52:53], v[2:3]
	ds_read_b128 v[2:5], v49 offset:1328
	v_add_f64 v[10:11], v[10:11], v[198:199]
	s_add_i32 s14, s13, 8
	v_cmp_eq_u32_e32 vcc, s14, v7
	s_add_i32 s13, s13, 23
	s_or_b64 s[10:11], vcc, s[10:11]
	v_mov_b32_e32 v193, s13
	s_mov_b32 s13, s14
	s_waitcnt vmcnt(0) lgkmcnt(0)
	v_mul_f64 v[198:199], v[4:5], v[196:197]
	v_mul_f64 v[196:197], v[2:3], v[196:197]
	v_fma_f64 v[198:199], v[2:3], v[194:195], -v[198:199]
	v_fmac_f64_e32 v[196:197], v[4:5], v[194:195]
	v_add_f64 v[2:3], v[10:11], v[198:199]
	v_add_f64 v[4:5], v[52:53], v[196:197]
	s_andn2_b64 exec, exec, s[10:11]
	s_cbranch_execnz .LBB124_627
; %bb.628:
	s_or_b64 exec, exec, s[10:11]
.LBB124_629:
	s_or_b64 exec, exec, s[2:3]
	v_and_b32_e32 v6, 7, v6
	v_cmp_ne_u32_e32 vcc, 0, v6
	s_and_saveexec_b64 s[2:3], vcc
	s_cbranch_execz .LBB124_633
; %bb.630:
	v_lshlrev_b32_e32 v10, 4, v193
	v_add_u32_e32 v7, 0x3d0, v10
	v_add_u32_e32 v192, 0, v10
	s_mov_b64 s[10:11], 0
.LBB124_631:                            ; =>This Inner Loop Header: Depth=1
	scratch_load_dwordx4 v[194:197], v192, off
	ds_read_b128 v[198:201], v7
	v_add_u32_e32 v6, -1, v6
	v_cmp_eq_u32_e32 vcc, 0, v6
	v_add_u32_e32 v7, 16, v7
	v_add_u32_e32 v192, 16, v192
	s_or_b64 s[10:11], vcc, s[10:11]
	s_waitcnt vmcnt(0) lgkmcnt(0)
	v_mul_f64 v[10:11], v[200:201], v[196:197]
	v_mul_f64 v[52:53], v[198:199], v[196:197]
	v_fma_f64 v[10:11], v[198:199], v[194:195], -v[10:11]
	v_fmac_f64_e32 v[52:53], v[200:201], v[194:195]
	v_add_f64 v[2:3], v[2:3], v[10:11]
	v_add_f64 v[4:5], v[4:5], v[52:53]
	s_andn2_b64 exec, exec, s[10:11]
	s_cbranch_execnz .LBB124_631
; %bb.632:
	s_or_b64 exec, exec, s[10:11]
.LBB124_633:
	s_or_b64 exec, exec, s[2:3]
.LBB124_634:
	s_or_b64 exec, exec, s[8:9]
	v_mov_b32_e32 v6, 0
	ds_read_b128 v[192:195], v6 offset:224
	s_waitcnt lgkmcnt(0)
	v_mul_f64 v[6:7], v[4:5], v[194:195]
	v_mul_f64 v[196:197], v[2:3], v[194:195]
	v_fma_f64 v[194:195], v[2:3], v[192:193], -v[6:7]
	v_fmac_f64_e32 v[196:197], v[4:5], v[192:193]
	scratch_store_dwordx4 off, v[194:197], off offset:224
.LBB124_635:
	s_or_b64 exec, exec, s[4:5]
	scratch_load_dwordx4 v[2:5], v179, off
	v_cmp_lt_u32_e64 s[2:3], 13, v0
	s_waitcnt vmcnt(0)
	ds_write_b128 v9, v[2:5]
	s_waitcnt lgkmcnt(0)
	; wave barrier
	s_waitcnt lgkmcnt(0)
	s_and_saveexec_b64 s[4:5], s[2:3]
	s_cbranch_execz .LBB124_649
; %bb.636:
	ds_read_b128 v[2:5], v9
	s_andn2_b64 vcc, exec, s[6:7]
	s_cbranch_vccnz .LBB124_638
; %bb.637:
	scratch_load_dwordx4 v[192:195], v8, off
	s_waitcnt vmcnt(0) lgkmcnt(0)
	v_mul_f64 v[10:11], v[2:3], v[194:195]
	v_mul_f64 v[6:7], v[4:5], v[194:195]
	v_fmac_f64_e32 v[10:11], v[4:5], v[192:193]
	v_fma_f64 v[2:3], v[2:3], v[192:193], -v[6:7]
	v_mov_b64_e32 v[4:5], v[10:11]
.LBB124_638:
	s_and_saveexec_b64 s[8:9], s[0:1]
	s_cbranch_execz .LBB124_648
; %bb.639:
	v_add_u32_e32 v7, -15, v0
	v_add_u32_e32 v6, -14, v0
	v_cmp_lt_u32_e32 vcc, 6, v7
	v_mov_b32_e32 v193, 14
	s_and_saveexec_b64 s[0:1], vcc
	s_cbranch_execz .LBB124_643
; %bb.640:
	v_and_b32_e32 v7, -8, v6
	s_mov_b32 s12, 0
	s_mov_b64 s[10:11], 0
	v_mov_b32_e32 v192, 0
	s_mov_b32 s13, 0
.LBB124_641:                            ; =>This Inner Loop Header: Depth=1
	v_readfirstlane_b32 s14, v192
	s_add_i32 s14, s14, s12
	s_add_i32 s15, s14, 0xe0
	v_mov_b32_e32 v49, s12
	ds_read_b128 v[194:197], v49 offset:1200
	ds_read_b128 v[198:201], v49 offset:1216
	;; [unrolled: 1-line block ×4, first 2 shown]
	scratch_load_dwordx4 v[210:213], off, s15
	s_add_i32 s15, s14, 0xf0
	s_addk_i32 s12, 0x80
	s_waitcnt vmcnt(0) lgkmcnt(3)
	v_mul_f64 v[10:11], v[196:197], v[212:213]
	v_mul_f64 v[52:53], v[194:195], v[212:213]
	v_fma_f64 v[10:11], v[194:195], v[210:211], -v[10:11]
	v_fmac_f64_e32 v[52:53], v[196:197], v[210:211]
	v_add_f64 v[10:11], v[2:3], v[10:11]
	v_add_f64 v[52:53], v[4:5], v[52:53]
	scratch_load_dwordx4 v[2:5], off, s15
	s_add_i32 s15, s14, 0x100
	s_waitcnt vmcnt(0) lgkmcnt(2)
	v_mul_f64 v[194:195], v[200:201], v[4:5]
	v_mul_f64 v[4:5], v[198:199], v[4:5]
	v_fmac_f64_e32 v[4:5], v[200:201], v[2:3]
	v_fma_f64 v[194:195], v[198:199], v[2:3], -v[194:195]
	v_add_f64 v[52:53], v[52:53], v[4:5]
	scratch_load_dwordx4 v[2:5], off, s15
	v_add_f64 v[10:11], v[10:11], v[194:195]
	s_add_i32 s15, s14, 0x110
	s_waitcnt vmcnt(0) lgkmcnt(1)
	v_mul_f64 v[194:195], v[204:205], v[4:5]
	v_mul_f64 v[4:5], v[202:203], v[4:5]
	v_fmac_f64_e32 v[4:5], v[204:205], v[2:3]
	v_fma_f64 v[194:195], v[202:203], v[2:3], -v[194:195]
	v_add_f64 v[52:53], v[52:53], v[4:5]
	scratch_load_dwordx4 v[2:5], off, s15
	v_add_f64 v[10:11], v[10:11], v[194:195]
	s_add_i32 s15, s14, 0x120
	s_waitcnt vmcnt(0) lgkmcnt(0)
	v_mul_f64 v[194:195], v[208:209], v[4:5]
	v_fma_f64 v[194:195], v[206:207], v[2:3], -v[194:195]
	v_add_f64 v[10:11], v[10:11], v[194:195]
	scratch_load_dwordx4 v[194:197], off, s15
	v_mul_f64 v[4:5], v[206:207], v[4:5]
	v_fmac_f64_e32 v[4:5], v[208:209], v[2:3]
	v_add_f64 v[52:53], v[52:53], v[4:5]
	ds_read_b128 v[2:5], v49 offset:1264
	s_add_i32 s15, s14, 0x130
	s_waitcnt vmcnt(0) lgkmcnt(0)
	v_mul_f64 v[198:199], v[4:5], v[196:197]
	v_fma_f64 v[198:199], v[2:3], v[194:195], -v[198:199]
	v_mul_f64 v[2:3], v[2:3], v[196:197]
	v_fmac_f64_e32 v[2:3], v[4:5], v[194:195]
	scratch_load_dwordx4 v[194:197], off, s15
	v_add_f64 v[52:53], v[52:53], v[2:3]
	ds_read_b128 v[2:5], v49 offset:1280
	v_add_f64 v[10:11], v[10:11], v[198:199]
	s_add_i32 s15, s14, 0x140
	s_addk_i32 s14, 0x150
	s_waitcnt vmcnt(0) lgkmcnt(0)
	v_mul_f64 v[198:199], v[4:5], v[196:197]
	v_fma_f64 v[198:199], v[2:3], v[194:195], -v[198:199]
	v_mul_f64 v[2:3], v[2:3], v[196:197]
	v_fmac_f64_e32 v[2:3], v[4:5], v[194:195]
	scratch_load_dwordx4 v[194:197], off, s15
	v_add_f64 v[52:53], v[52:53], v[2:3]
	ds_read_b128 v[2:5], v49 offset:1296
	v_add_f64 v[10:11], v[10:11], v[198:199]
	s_waitcnt vmcnt(0) lgkmcnt(0)
	v_mul_f64 v[198:199], v[4:5], v[196:197]
	v_fma_f64 v[198:199], v[2:3], v[194:195], -v[198:199]
	v_mul_f64 v[2:3], v[2:3], v[196:197]
	v_fmac_f64_e32 v[2:3], v[4:5], v[194:195]
	scratch_load_dwordx4 v[194:197], off, s14
	v_add_f64 v[52:53], v[52:53], v[2:3]
	ds_read_b128 v[2:5], v49 offset:1312
	v_add_f64 v[10:11], v[10:11], v[198:199]
	s_add_i32 s14, s13, 8
	v_cmp_eq_u32_e32 vcc, s14, v7
	s_add_i32 s13, s13, 22
	s_or_b64 s[10:11], vcc, s[10:11]
	v_mov_b32_e32 v193, s13
	s_mov_b32 s13, s14
	s_waitcnt vmcnt(0) lgkmcnt(0)
	v_mul_f64 v[198:199], v[4:5], v[196:197]
	v_mul_f64 v[196:197], v[2:3], v[196:197]
	v_fma_f64 v[198:199], v[2:3], v[194:195], -v[198:199]
	v_fmac_f64_e32 v[196:197], v[4:5], v[194:195]
	v_add_f64 v[2:3], v[10:11], v[198:199]
	v_add_f64 v[4:5], v[52:53], v[196:197]
	s_andn2_b64 exec, exec, s[10:11]
	s_cbranch_execnz .LBB124_641
; %bb.642:
	s_or_b64 exec, exec, s[10:11]
.LBB124_643:
	s_or_b64 exec, exec, s[0:1]
	v_and_b32_e32 v6, 7, v6
	v_cmp_ne_u32_e32 vcc, 0, v6
	s_and_saveexec_b64 s[0:1], vcc
	s_cbranch_execz .LBB124_647
; %bb.644:
	v_lshlrev_b32_e32 v10, 4, v193
	v_add_u32_e32 v7, 0x3d0, v10
	v_add_u32_e32 v192, 0, v10
	s_mov_b64 s[10:11], 0
.LBB124_645:                            ; =>This Inner Loop Header: Depth=1
	scratch_load_dwordx4 v[194:197], v192, off
	ds_read_b128 v[198:201], v7
	v_add_u32_e32 v6, -1, v6
	v_cmp_eq_u32_e32 vcc, 0, v6
	v_add_u32_e32 v7, 16, v7
	v_add_u32_e32 v192, 16, v192
	s_or_b64 s[10:11], vcc, s[10:11]
	s_waitcnt vmcnt(0) lgkmcnt(0)
	v_mul_f64 v[10:11], v[200:201], v[196:197]
	v_mul_f64 v[52:53], v[198:199], v[196:197]
	v_fma_f64 v[10:11], v[198:199], v[194:195], -v[10:11]
	v_fmac_f64_e32 v[52:53], v[200:201], v[194:195]
	v_add_f64 v[2:3], v[2:3], v[10:11]
	v_add_f64 v[4:5], v[4:5], v[52:53]
	s_andn2_b64 exec, exec, s[10:11]
	s_cbranch_execnz .LBB124_645
; %bb.646:
	s_or_b64 exec, exec, s[10:11]
.LBB124_647:
	s_or_b64 exec, exec, s[0:1]
.LBB124_648:
	s_or_b64 exec, exec, s[8:9]
	v_mov_b32_e32 v6, 0
	ds_read_b128 v[192:195], v6 offset:208
	s_waitcnt lgkmcnt(0)
	v_mul_f64 v[6:7], v[4:5], v[194:195]
	v_mul_f64 v[196:197], v[2:3], v[194:195]
	v_fma_f64 v[194:195], v[2:3], v[192:193], -v[6:7]
	v_fmac_f64_e32 v[196:197], v[4:5], v[192:193]
	scratch_store_dwordx4 off, v[194:197], off offset:208
.LBB124_649:
	s_or_b64 exec, exec, s[4:5]
	scratch_load_dwordx4 v[2:5], v180, off
	v_cmp_lt_u32_e64 s[0:1], 12, v0
	s_waitcnt vmcnt(0)
	ds_write_b128 v9, v[2:5]
	s_waitcnt lgkmcnt(0)
	; wave barrier
	s_waitcnt lgkmcnt(0)
	s_and_saveexec_b64 s[4:5], s[0:1]
	s_cbranch_execz .LBB124_663
; %bb.650:
	ds_read_b128 v[2:5], v9
	s_andn2_b64 vcc, exec, s[6:7]
	s_cbranch_vccnz .LBB124_652
; %bb.651:
	scratch_load_dwordx4 v[192:195], v8, off
	s_waitcnt vmcnt(0) lgkmcnt(0)
	v_mul_f64 v[10:11], v[2:3], v[194:195]
	v_mul_f64 v[6:7], v[4:5], v[194:195]
	v_fmac_f64_e32 v[10:11], v[4:5], v[192:193]
	v_fma_f64 v[2:3], v[2:3], v[192:193], -v[6:7]
	v_mov_b64_e32 v[4:5], v[10:11]
.LBB124_652:
	s_and_saveexec_b64 s[8:9], s[2:3]
	s_cbranch_execz .LBB124_662
; %bb.653:
	v_add_u32_e32 v7, -14, v0
	v_add_u32_e32 v6, -13, v0
	v_cmp_lt_u32_e32 vcc, 6, v7
	v_mov_b32_e32 v193, 13
	s_and_saveexec_b64 s[2:3], vcc
	s_cbranch_execz .LBB124_657
; %bb.654:
	v_and_b32_e32 v7, -8, v6
	s_mov_b32 s12, 0
	s_mov_b64 s[10:11], 0
	v_mov_b32_e32 v192, 0
	s_mov_b32 s13, 0
.LBB124_655:                            ; =>This Inner Loop Header: Depth=1
	v_readfirstlane_b32 s14, v192
	s_add_i32 s14, s14, s12
	s_add_i32 s15, s14, 0xd0
	v_mov_b32_e32 v49, s12
	ds_read_b128 v[194:197], v49 offset:1184
	ds_read_b128 v[198:201], v49 offset:1200
	;; [unrolled: 1-line block ×4, first 2 shown]
	scratch_load_dwordx4 v[210:213], off, s15
	s_add_i32 s15, s14, 0xe0
	s_addk_i32 s12, 0x80
	s_waitcnt vmcnt(0) lgkmcnt(3)
	v_mul_f64 v[10:11], v[196:197], v[212:213]
	v_mul_f64 v[52:53], v[194:195], v[212:213]
	v_fma_f64 v[10:11], v[194:195], v[210:211], -v[10:11]
	v_fmac_f64_e32 v[52:53], v[196:197], v[210:211]
	v_add_f64 v[10:11], v[2:3], v[10:11]
	v_add_f64 v[52:53], v[4:5], v[52:53]
	scratch_load_dwordx4 v[2:5], off, s15
	s_add_i32 s15, s14, 0xf0
	s_waitcnt vmcnt(0) lgkmcnt(2)
	v_mul_f64 v[194:195], v[200:201], v[4:5]
	v_mul_f64 v[4:5], v[198:199], v[4:5]
	v_fmac_f64_e32 v[4:5], v[200:201], v[2:3]
	v_fma_f64 v[194:195], v[198:199], v[2:3], -v[194:195]
	v_add_f64 v[52:53], v[52:53], v[4:5]
	scratch_load_dwordx4 v[2:5], off, s15
	v_add_f64 v[10:11], v[10:11], v[194:195]
	s_add_i32 s15, s14, 0x100
	s_waitcnt vmcnt(0) lgkmcnt(1)
	v_mul_f64 v[194:195], v[204:205], v[4:5]
	v_mul_f64 v[4:5], v[202:203], v[4:5]
	v_fmac_f64_e32 v[4:5], v[204:205], v[2:3]
	v_fma_f64 v[194:195], v[202:203], v[2:3], -v[194:195]
	v_add_f64 v[52:53], v[52:53], v[4:5]
	scratch_load_dwordx4 v[2:5], off, s15
	v_add_f64 v[10:11], v[10:11], v[194:195]
	s_add_i32 s15, s14, 0x110
	s_waitcnt vmcnt(0) lgkmcnt(0)
	v_mul_f64 v[194:195], v[208:209], v[4:5]
	v_fma_f64 v[194:195], v[206:207], v[2:3], -v[194:195]
	v_add_f64 v[10:11], v[10:11], v[194:195]
	scratch_load_dwordx4 v[194:197], off, s15
	v_mul_f64 v[4:5], v[206:207], v[4:5]
	v_fmac_f64_e32 v[4:5], v[208:209], v[2:3]
	v_add_f64 v[52:53], v[52:53], v[4:5]
	ds_read_b128 v[2:5], v49 offset:1248
	s_add_i32 s15, s14, 0x120
	s_waitcnt vmcnt(0) lgkmcnt(0)
	v_mul_f64 v[198:199], v[4:5], v[196:197]
	v_fma_f64 v[198:199], v[2:3], v[194:195], -v[198:199]
	v_mul_f64 v[2:3], v[2:3], v[196:197]
	v_fmac_f64_e32 v[2:3], v[4:5], v[194:195]
	scratch_load_dwordx4 v[194:197], off, s15
	v_add_f64 v[52:53], v[52:53], v[2:3]
	ds_read_b128 v[2:5], v49 offset:1264
	v_add_f64 v[10:11], v[10:11], v[198:199]
	s_add_i32 s15, s14, 0x130
	s_addk_i32 s14, 0x140
	s_waitcnt vmcnt(0) lgkmcnt(0)
	v_mul_f64 v[198:199], v[4:5], v[196:197]
	v_fma_f64 v[198:199], v[2:3], v[194:195], -v[198:199]
	v_mul_f64 v[2:3], v[2:3], v[196:197]
	v_fmac_f64_e32 v[2:3], v[4:5], v[194:195]
	scratch_load_dwordx4 v[194:197], off, s15
	v_add_f64 v[52:53], v[52:53], v[2:3]
	ds_read_b128 v[2:5], v49 offset:1280
	v_add_f64 v[10:11], v[10:11], v[198:199]
	s_waitcnt vmcnt(0) lgkmcnt(0)
	v_mul_f64 v[198:199], v[4:5], v[196:197]
	v_fma_f64 v[198:199], v[2:3], v[194:195], -v[198:199]
	v_mul_f64 v[2:3], v[2:3], v[196:197]
	v_fmac_f64_e32 v[2:3], v[4:5], v[194:195]
	scratch_load_dwordx4 v[194:197], off, s14
	v_add_f64 v[52:53], v[52:53], v[2:3]
	ds_read_b128 v[2:5], v49 offset:1296
	v_add_f64 v[10:11], v[10:11], v[198:199]
	s_add_i32 s14, s13, 8
	v_cmp_eq_u32_e32 vcc, s14, v7
	s_add_i32 s13, s13, 21
	s_or_b64 s[10:11], vcc, s[10:11]
	v_mov_b32_e32 v193, s13
	s_mov_b32 s13, s14
	s_waitcnt vmcnt(0) lgkmcnt(0)
	v_mul_f64 v[198:199], v[4:5], v[196:197]
	v_mul_f64 v[196:197], v[2:3], v[196:197]
	v_fma_f64 v[198:199], v[2:3], v[194:195], -v[198:199]
	v_fmac_f64_e32 v[196:197], v[4:5], v[194:195]
	v_add_f64 v[2:3], v[10:11], v[198:199]
	v_add_f64 v[4:5], v[52:53], v[196:197]
	s_andn2_b64 exec, exec, s[10:11]
	s_cbranch_execnz .LBB124_655
; %bb.656:
	s_or_b64 exec, exec, s[10:11]
.LBB124_657:
	s_or_b64 exec, exec, s[2:3]
	v_and_b32_e32 v6, 7, v6
	v_cmp_ne_u32_e32 vcc, 0, v6
	s_and_saveexec_b64 s[2:3], vcc
	s_cbranch_execz .LBB124_661
; %bb.658:
	v_lshlrev_b32_e32 v10, 4, v193
	v_add_u32_e32 v7, 0x3d0, v10
	v_add_u32_e32 v192, 0, v10
	s_mov_b64 s[10:11], 0
.LBB124_659:                            ; =>This Inner Loop Header: Depth=1
	scratch_load_dwordx4 v[194:197], v192, off
	ds_read_b128 v[198:201], v7
	v_add_u32_e32 v6, -1, v6
	v_cmp_eq_u32_e32 vcc, 0, v6
	v_add_u32_e32 v7, 16, v7
	v_add_u32_e32 v192, 16, v192
	s_or_b64 s[10:11], vcc, s[10:11]
	s_waitcnt vmcnt(0) lgkmcnt(0)
	v_mul_f64 v[10:11], v[200:201], v[196:197]
	v_mul_f64 v[52:53], v[198:199], v[196:197]
	v_fma_f64 v[10:11], v[198:199], v[194:195], -v[10:11]
	v_fmac_f64_e32 v[52:53], v[200:201], v[194:195]
	v_add_f64 v[2:3], v[2:3], v[10:11]
	v_add_f64 v[4:5], v[4:5], v[52:53]
	s_andn2_b64 exec, exec, s[10:11]
	s_cbranch_execnz .LBB124_659
; %bb.660:
	s_or_b64 exec, exec, s[10:11]
.LBB124_661:
	s_or_b64 exec, exec, s[2:3]
.LBB124_662:
	s_or_b64 exec, exec, s[8:9]
	v_mov_b32_e32 v6, 0
	ds_read_b128 v[192:195], v6 offset:192
	s_waitcnt lgkmcnt(0)
	v_mul_f64 v[6:7], v[4:5], v[194:195]
	v_mul_f64 v[196:197], v[2:3], v[194:195]
	v_fma_f64 v[194:195], v[2:3], v[192:193], -v[6:7]
	v_fmac_f64_e32 v[196:197], v[4:5], v[192:193]
	scratch_store_dwordx4 off, v[194:197], off offset:192
.LBB124_663:
	s_or_b64 exec, exec, s[4:5]
	scratch_load_dwordx4 v[2:5], v181, off
	v_cmp_lt_u32_e64 s[2:3], 11, v0
	s_waitcnt vmcnt(0)
	ds_write_b128 v9, v[2:5]
	s_waitcnt lgkmcnt(0)
	; wave barrier
	s_waitcnt lgkmcnt(0)
	s_and_saveexec_b64 s[4:5], s[2:3]
	s_cbranch_execz .LBB124_677
; %bb.664:
	ds_read_b128 v[2:5], v9
	s_andn2_b64 vcc, exec, s[6:7]
	s_cbranch_vccnz .LBB124_666
; %bb.665:
	scratch_load_dwordx4 v[192:195], v8, off
	s_waitcnt vmcnt(0) lgkmcnt(0)
	v_mul_f64 v[10:11], v[2:3], v[194:195]
	v_mul_f64 v[6:7], v[4:5], v[194:195]
	v_fmac_f64_e32 v[10:11], v[4:5], v[192:193]
	v_fma_f64 v[2:3], v[2:3], v[192:193], -v[6:7]
	v_mov_b64_e32 v[4:5], v[10:11]
.LBB124_666:
	s_and_saveexec_b64 s[8:9], s[0:1]
	s_cbranch_execz .LBB124_676
; %bb.667:
	v_add_u32_e32 v7, -13, v0
	v_add_u32_e32 v6, -12, v0
	v_cmp_lt_u32_e32 vcc, 6, v7
	v_mov_b32_e32 v193, 12
	s_and_saveexec_b64 s[0:1], vcc
	s_cbranch_execz .LBB124_671
; %bb.668:
	v_and_b32_e32 v7, -8, v6
	s_mov_b32 s12, 0
	s_mov_b64 s[10:11], 0
	v_mov_b32_e32 v192, 0
	s_mov_b32 s13, 0
.LBB124_669:                            ; =>This Inner Loop Header: Depth=1
	v_readfirstlane_b32 s14, v192
	s_add_i32 s14, s14, s12
	s_add_i32 s15, s14, 0xc0
	v_mov_b32_e32 v49, s12
	ds_read_b128 v[194:197], v49 offset:1168
	ds_read_b128 v[198:201], v49 offset:1184
	;; [unrolled: 1-line block ×4, first 2 shown]
	scratch_load_dwordx4 v[210:213], off, s15
	s_add_i32 s15, s14, 0xd0
	s_addk_i32 s12, 0x80
	s_waitcnt vmcnt(0) lgkmcnt(3)
	v_mul_f64 v[10:11], v[196:197], v[212:213]
	v_mul_f64 v[52:53], v[194:195], v[212:213]
	v_fma_f64 v[10:11], v[194:195], v[210:211], -v[10:11]
	v_fmac_f64_e32 v[52:53], v[196:197], v[210:211]
	v_add_f64 v[10:11], v[2:3], v[10:11]
	v_add_f64 v[52:53], v[4:5], v[52:53]
	scratch_load_dwordx4 v[2:5], off, s15
	s_add_i32 s15, s14, 0xe0
	s_waitcnt vmcnt(0) lgkmcnt(2)
	v_mul_f64 v[194:195], v[200:201], v[4:5]
	v_mul_f64 v[4:5], v[198:199], v[4:5]
	v_fmac_f64_e32 v[4:5], v[200:201], v[2:3]
	v_fma_f64 v[194:195], v[198:199], v[2:3], -v[194:195]
	v_add_f64 v[52:53], v[52:53], v[4:5]
	scratch_load_dwordx4 v[2:5], off, s15
	v_add_f64 v[10:11], v[10:11], v[194:195]
	s_add_i32 s15, s14, 0xf0
	s_waitcnt vmcnt(0) lgkmcnt(1)
	v_mul_f64 v[194:195], v[204:205], v[4:5]
	v_mul_f64 v[4:5], v[202:203], v[4:5]
	v_fmac_f64_e32 v[4:5], v[204:205], v[2:3]
	v_fma_f64 v[194:195], v[202:203], v[2:3], -v[194:195]
	v_add_f64 v[52:53], v[52:53], v[4:5]
	scratch_load_dwordx4 v[2:5], off, s15
	v_add_f64 v[10:11], v[10:11], v[194:195]
	s_add_i32 s15, s14, 0x100
	s_waitcnt vmcnt(0) lgkmcnt(0)
	v_mul_f64 v[194:195], v[208:209], v[4:5]
	v_fma_f64 v[194:195], v[206:207], v[2:3], -v[194:195]
	v_add_f64 v[10:11], v[10:11], v[194:195]
	scratch_load_dwordx4 v[194:197], off, s15
	v_mul_f64 v[4:5], v[206:207], v[4:5]
	v_fmac_f64_e32 v[4:5], v[208:209], v[2:3]
	v_add_f64 v[52:53], v[52:53], v[4:5]
	ds_read_b128 v[2:5], v49 offset:1232
	s_add_i32 s15, s14, 0x110
	s_waitcnt vmcnt(0) lgkmcnt(0)
	v_mul_f64 v[198:199], v[4:5], v[196:197]
	v_fma_f64 v[198:199], v[2:3], v[194:195], -v[198:199]
	v_mul_f64 v[2:3], v[2:3], v[196:197]
	v_fmac_f64_e32 v[2:3], v[4:5], v[194:195]
	scratch_load_dwordx4 v[194:197], off, s15
	v_add_f64 v[52:53], v[52:53], v[2:3]
	ds_read_b128 v[2:5], v49 offset:1248
	v_add_f64 v[10:11], v[10:11], v[198:199]
	s_add_i32 s15, s14, 0x120
	s_addk_i32 s14, 0x130
	s_waitcnt vmcnt(0) lgkmcnt(0)
	v_mul_f64 v[198:199], v[4:5], v[196:197]
	v_fma_f64 v[198:199], v[2:3], v[194:195], -v[198:199]
	v_mul_f64 v[2:3], v[2:3], v[196:197]
	v_fmac_f64_e32 v[2:3], v[4:5], v[194:195]
	scratch_load_dwordx4 v[194:197], off, s15
	v_add_f64 v[52:53], v[52:53], v[2:3]
	ds_read_b128 v[2:5], v49 offset:1264
	v_add_f64 v[10:11], v[10:11], v[198:199]
	s_waitcnt vmcnt(0) lgkmcnt(0)
	v_mul_f64 v[198:199], v[4:5], v[196:197]
	v_fma_f64 v[198:199], v[2:3], v[194:195], -v[198:199]
	v_mul_f64 v[2:3], v[2:3], v[196:197]
	v_fmac_f64_e32 v[2:3], v[4:5], v[194:195]
	scratch_load_dwordx4 v[194:197], off, s14
	v_add_f64 v[52:53], v[52:53], v[2:3]
	ds_read_b128 v[2:5], v49 offset:1280
	v_add_f64 v[10:11], v[10:11], v[198:199]
	s_add_i32 s14, s13, 8
	v_cmp_eq_u32_e32 vcc, s14, v7
	s_add_i32 s13, s13, 20
	s_or_b64 s[10:11], vcc, s[10:11]
	v_mov_b32_e32 v193, s13
	s_mov_b32 s13, s14
	s_waitcnt vmcnt(0) lgkmcnt(0)
	v_mul_f64 v[198:199], v[4:5], v[196:197]
	v_mul_f64 v[196:197], v[2:3], v[196:197]
	v_fma_f64 v[198:199], v[2:3], v[194:195], -v[198:199]
	v_fmac_f64_e32 v[196:197], v[4:5], v[194:195]
	v_add_f64 v[2:3], v[10:11], v[198:199]
	v_add_f64 v[4:5], v[52:53], v[196:197]
	s_andn2_b64 exec, exec, s[10:11]
	s_cbranch_execnz .LBB124_669
; %bb.670:
	s_or_b64 exec, exec, s[10:11]
.LBB124_671:
	s_or_b64 exec, exec, s[0:1]
	v_and_b32_e32 v6, 7, v6
	v_cmp_ne_u32_e32 vcc, 0, v6
	s_and_saveexec_b64 s[0:1], vcc
	s_cbranch_execz .LBB124_675
; %bb.672:
	v_lshlrev_b32_e32 v10, 4, v193
	v_add_u32_e32 v7, 0x3d0, v10
	v_add_u32_e32 v192, 0, v10
	s_mov_b64 s[10:11], 0
.LBB124_673:                            ; =>This Inner Loop Header: Depth=1
	scratch_load_dwordx4 v[194:197], v192, off
	ds_read_b128 v[198:201], v7
	v_add_u32_e32 v6, -1, v6
	v_cmp_eq_u32_e32 vcc, 0, v6
	v_add_u32_e32 v7, 16, v7
	v_add_u32_e32 v192, 16, v192
	s_or_b64 s[10:11], vcc, s[10:11]
	s_waitcnt vmcnt(0) lgkmcnt(0)
	v_mul_f64 v[10:11], v[200:201], v[196:197]
	v_mul_f64 v[52:53], v[198:199], v[196:197]
	v_fma_f64 v[10:11], v[198:199], v[194:195], -v[10:11]
	v_fmac_f64_e32 v[52:53], v[200:201], v[194:195]
	v_add_f64 v[2:3], v[2:3], v[10:11]
	v_add_f64 v[4:5], v[4:5], v[52:53]
	s_andn2_b64 exec, exec, s[10:11]
	s_cbranch_execnz .LBB124_673
; %bb.674:
	s_or_b64 exec, exec, s[10:11]
.LBB124_675:
	s_or_b64 exec, exec, s[0:1]
.LBB124_676:
	s_or_b64 exec, exec, s[8:9]
	v_mov_b32_e32 v6, 0
	ds_read_b128 v[192:195], v6 offset:176
	s_waitcnt lgkmcnt(0)
	v_mul_f64 v[6:7], v[4:5], v[194:195]
	v_mul_f64 v[196:197], v[2:3], v[194:195]
	v_fma_f64 v[194:195], v[2:3], v[192:193], -v[6:7]
	v_fmac_f64_e32 v[196:197], v[4:5], v[192:193]
	scratch_store_dwordx4 off, v[194:197], off offset:176
.LBB124_677:
	s_or_b64 exec, exec, s[4:5]
	scratch_load_dwordx4 v[2:5], v182, off
	v_cmp_lt_u32_e64 s[0:1], 10, v0
	s_waitcnt vmcnt(0)
	ds_write_b128 v9, v[2:5]
	s_waitcnt lgkmcnt(0)
	; wave barrier
	s_waitcnt lgkmcnt(0)
	s_and_saveexec_b64 s[4:5], s[0:1]
	s_cbranch_execz .LBB124_691
; %bb.678:
	ds_read_b128 v[2:5], v9
	s_andn2_b64 vcc, exec, s[6:7]
	s_cbranch_vccnz .LBB124_680
; %bb.679:
	scratch_load_dwordx4 v[192:195], v8, off
	s_waitcnt vmcnt(0) lgkmcnt(0)
	v_mul_f64 v[10:11], v[2:3], v[194:195]
	v_mul_f64 v[6:7], v[4:5], v[194:195]
	v_fmac_f64_e32 v[10:11], v[4:5], v[192:193]
	v_fma_f64 v[2:3], v[2:3], v[192:193], -v[6:7]
	v_mov_b64_e32 v[4:5], v[10:11]
.LBB124_680:
	s_and_saveexec_b64 s[8:9], s[2:3]
	s_cbranch_execz .LBB124_690
; %bb.681:
	v_add_u32_e32 v7, -12, v0
	v_add_u32_e32 v6, -11, v0
	v_cmp_lt_u32_e32 vcc, 6, v7
	v_mov_b32_e32 v193, 11
	s_and_saveexec_b64 s[2:3], vcc
	s_cbranch_execz .LBB124_685
; %bb.682:
	v_and_b32_e32 v7, -8, v6
	s_mov_b32 s12, 0
	s_mov_b64 s[10:11], 0
	v_mov_b32_e32 v192, 0
	s_mov_b32 s13, 0
.LBB124_683:                            ; =>This Inner Loop Header: Depth=1
	v_readfirstlane_b32 s14, v192
	s_add_i32 s14, s14, s12
	s_add_i32 s15, s14, 0xb0
	v_mov_b32_e32 v49, s12
	ds_read_b128 v[194:197], v49 offset:1152
	ds_read_b128 v[198:201], v49 offset:1168
	;; [unrolled: 1-line block ×4, first 2 shown]
	scratch_load_dwordx4 v[210:213], off, s15
	s_add_i32 s15, s14, 0xc0
	s_addk_i32 s12, 0x80
	s_waitcnt vmcnt(0) lgkmcnt(3)
	v_mul_f64 v[10:11], v[196:197], v[212:213]
	v_mul_f64 v[52:53], v[194:195], v[212:213]
	v_fma_f64 v[10:11], v[194:195], v[210:211], -v[10:11]
	v_fmac_f64_e32 v[52:53], v[196:197], v[210:211]
	v_add_f64 v[10:11], v[2:3], v[10:11]
	v_add_f64 v[52:53], v[4:5], v[52:53]
	scratch_load_dwordx4 v[2:5], off, s15
	s_add_i32 s15, s14, 0xd0
	s_waitcnt vmcnt(0) lgkmcnt(2)
	v_mul_f64 v[194:195], v[200:201], v[4:5]
	v_mul_f64 v[4:5], v[198:199], v[4:5]
	v_fmac_f64_e32 v[4:5], v[200:201], v[2:3]
	v_fma_f64 v[194:195], v[198:199], v[2:3], -v[194:195]
	v_add_f64 v[52:53], v[52:53], v[4:5]
	scratch_load_dwordx4 v[2:5], off, s15
	v_add_f64 v[10:11], v[10:11], v[194:195]
	s_add_i32 s15, s14, 0xe0
	s_waitcnt vmcnt(0) lgkmcnt(1)
	v_mul_f64 v[194:195], v[204:205], v[4:5]
	v_mul_f64 v[4:5], v[202:203], v[4:5]
	v_fmac_f64_e32 v[4:5], v[204:205], v[2:3]
	v_fma_f64 v[194:195], v[202:203], v[2:3], -v[194:195]
	v_add_f64 v[52:53], v[52:53], v[4:5]
	scratch_load_dwordx4 v[2:5], off, s15
	v_add_f64 v[10:11], v[10:11], v[194:195]
	s_add_i32 s15, s14, 0xf0
	s_waitcnt vmcnt(0) lgkmcnt(0)
	v_mul_f64 v[194:195], v[208:209], v[4:5]
	v_fma_f64 v[194:195], v[206:207], v[2:3], -v[194:195]
	v_add_f64 v[10:11], v[10:11], v[194:195]
	scratch_load_dwordx4 v[194:197], off, s15
	v_mul_f64 v[4:5], v[206:207], v[4:5]
	v_fmac_f64_e32 v[4:5], v[208:209], v[2:3]
	v_add_f64 v[52:53], v[52:53], v[4:5]
	ds_read_b128 v[2:5], v49 offset:1216
	s_add_i32 s15, s14, 0x100
	s_waitcnt vmcnt(0) lgkmcnt(0)
	v_mul_f64 v[198:199], v[4:5], v[196:197]
	v_fma_f64 v[198:199], v[2:3], v[194:195], -v[198:199]
	v_mul_f64 v[2:3], v[2:3], v[196:197]
	v_fmac_f64_e32 v[2:3], v[4:5], v[194:195]
	scratch_load_dwordx4 v[194:197], off, s15
	v_add_f64 v[52:53], v[52:53], v[2:3]
	ds_read_b128 v[2:5], v49 offset:1232
	v_add_f64 v[10:11], v[10:11], v[198:199]
	s_add_i32 s15, s14, 0x110
	s_addk_i32 s14, 0x120
	s_waitcnt vmcnt(0) lgkmcnt(0)
	v_mul_f64 v[198:199], v[4:5], v[196:197]
	v_fma_f64 v[198:199], v[2:3], v[194:195], -v[198:199]
	v_mul_f64 v[2:3], v[2:3], v[196:197]
	v_fmac_f64_e32 v[2:3], v[4:5], v[194:195]
	scratch_load_dwordx4 v[194:197], off, s15
	v_add_f64 v[52:53], v[52:53], v[2:3]
	ds_read_b128 v[2:5], v49 offset:1248
	v_add_f64 v[10:11], v[10:11], v[198:199]
	s_waitcnt vmcnt(0) lgkmcnt(0)
	v_mul_f64 v[198:199], v[4:5], v[196:197]
	v_fma_f64 v[198:199], v[2:3], v[194:195], -v[198:199]
	v_mul_f64 v[2:3], v[2:3], v[196:197]
	v_fmac_f64_e32 v[2:3], v[4:5], v[194:195]
	scratch_load_dwordx4 v[194:197], off, s14
	v_add_f64 v[52:53], v[52:53], v[2:3]
	ds_read_b128 v[2:5], v49 offset:1264
	v_add_f64 v[10:11], v[10:11], v[198:199]
	s_add_i32 s14, s13, 8
	v_cmp_eq_u32_e32 vcc, s14, v7
	s_add_i32 s13, s13, 19
	s_or_b64 s[10:11], vcc, s[10:11]
	v_mov_b32_e32 v193, s13
	s_mov_b32 s13, s14
	s_waitcnt vmcnt(0) lgkmcnt(0)
	v_mul_f64 v[198:199], v[4:5], v[196:197]
	v_mul_f64 v[196:197], v[2:3], v[196:197]
	v_fma_f64 v[198:199], v[2:3], v[194:195], -v[198:199]
	v_fmac_f64_e32 v[196:197], v[4:5], v[194:195]
	v_add_f64 v[2:3], v[10:11], v[198:199]
	v_add_f64 v[4:5], v[52:53], v[196:197]
	s_andn2_b64 exec, exec, s[10:11]
	s_cbranch_execnz .LBB124_683
; %bb.684:
	s_or_b64 exec, exec, s[10:11]
.LBB124_685:
	s_or_b64 exec, exec, s[2:3]
	v_and_b32_e32 v6, 7, v6
	v_cmp_ne_u32_e32 vcc, 0, v6
	s_and_saveexec_b64 s[2:3], vcc
	s_cbranch_execz .LBB124_689
; %bb.686:
	v_lshlrev_b32_e32 v10, 4, v193
	v_add_u32_e32 v7, 0x3d0, v10
	v_add_u32_e32 v192, 0, v10
	s_mov_b64 s[10:11], 0
.LBB124_687:                            ; =>This Inner Loop Header: Depth=1
	scratch_load_dwordx4 v[194:197], v192, off
	ds_read_b128 v[198:201], v7
	v_add_u32_e32 v6, -1, v6
	v_cmp_eq_u32_e32 vcc, 0, v6
	v_add_u32_e32 v7, 16, v7
	v_add_u32_e32 v192, 16, v192
	s_or_b64 s[10:11], vcc, s[10:11]
	s_waitcnt vmcnt(0) lgkmcnt(0)
	v_mul_f64 v[10:11], v[200:201], v[196:197]
	v_mul_f64 v[52:53], v[198:199], v[196:197]
	v_fma_f64 v[10:11], v[198:199], v[194:195], -v[10:11]
	v_fmac_f64_e32 v[52:53], v[200:201], v[194:195]
	v_add_f64 v[2:3], v[2:3], v[10:11]
	v_add_f64 v[4:5], v[4:5], v[52:53]
	s_andn2_b64 exec, exec, s[10:11]
	s_cbranch_execnz .LBB124_687
; %bb.688:
	s_or_b64 exec, exec, s[10:11]
.LBB124_689:
	s_or_b64 exec, exec, s[2:3]
.LBB124_690:
	s_or_b64 exec, exec, s[8:9]
	v_mov_b32_e32 v6, 0
	ds_read_b128 v[192:195], v6 offset:160
	s_waitcnt lgkmcnt(0)
	v_mul_f64 v[6:7], v[4:5], v[194:195]
	v_mul_f64 v[196:197], v[2:3], v[194:195]
	v_fma_f64 v[194:195], v[2:3], v[192:193], -v[6:7]
	v_fmac_f64_e32 v[196:197], v[4:5], v[192:193]
	scratch_store_dwordx4 off, v[194:197], off offset:160
.LBB124_691:
	s_or_b64 exec, exec, s[4:5]
	scratch_load_dwordx4 v[2:5], v183, off
	v_cmp_lt_u32_e64 s[2:3], 9, v0
	s_waitcnt vmcnt(0)
	ds_write_b128 v9, v[2:5]
	s_waitcnt lgkmcnt(0)
	; wave barrier
	s_waitcnt lgkmcnt(0)
	s_and_saveexec_b64 s[4:5], s[2:3]
	s_cbranch_execz .LBB124_705
; %bb.692:
	ds_read_b128 v[2:5], v9
	s_andn2_b64 vcc, exec, s[6:7]
	s_cbranch_vccnz .LBB124_694
; %bb.693:
	scratch_load_dwordx4 v[192:195], v8, off
	s_waitcnt vmcnt(0) lgkmcnt(0)
	v_mul_f64 v[10:11], v[2:3], v[194:195]
	v_mul_f64 v[6:7], v[4:5], v[194:195]
	v_fmac_f64_e32 v[10:11], v[4:5], v[192:193]
	v_fma_f64 v[2:3], v[2:3], v[192:193], -v[6:7]
	v_mov_b64_e32 v[4:5], v[10:11]
.LBB124_694:
	s_and_saveexec_b64 s[8:9], s[0:1]
	s_cbranch_execz .LBB124_704
; %bb.695:
	v_add_u32_e32 v7, -11, v0
	v_add_u32_e32 v6, -10, v0
	v_cmp_lt_u32_e32 vcc, 6, v7
	v_mov_b32_e32 v193, 10
	s_and_saveexec_b64 s[0:1], vcc
	s_cbranch_execz .LBB124_699
; %bb.696:
	v_and_b32_e32 v7, -8, v6
	s_mov_b32 s12, 0
	s_mov_b64 s[10:11], 0
	v_mov_b32_e32 v192, 0
	s_mov_b32 s13, 0
.LBB124_697:                            ; =>This Inner Loop Header: Depth=1
	v_readfirstlane_b32 s14, v192
	s_add_i32 s14, s14, s12
	s_add_i32 s15, s14, 0xa0
	v_mov_b32_e32 v49, s12
	ds_read_b128 v[194:197], v49 offset:1136
	ds_read_b128 v[198:201], v49 offset:1152
	;; [unrolled: 1-line block ×4, first 2 shown]
	scratch_load_dwordx4 v[210:213], off, s15
	s_add_i32 s15, s14, 0xb0
	s_addk_i32 s12, 0x80
	s_waitcnt vmcnt(0) lgkmcnt(3)
	v_mul_f64 v[10:11], v[196:197], v[212:213]
	v_mul_f64 v[52:53], v[194:195], v[212:213]
	v_fma_f64 v[10:11], v[194:195], v[210:211], -v[10:11]
	v_fmac_f64_e32 v[52:53], v[196:197], v[210:211]
	v_add_f64 v[10:11], v[2:3], v[10:11]
	v_add_f64 v[52:53], v[4:5], v[52:53]
	scratch_load_dwordx4 v[2:5], off, s15
	s_add_i32 s15, s14, 0xc0
	s_waitcnt vmcnt(0) lgkmcnt(2)
	v_mul_f64 v[194:195], v[200:201], v[4:5]
	v_mul_f64 v[4:5], v[198:199], v[4:5]
	v_fmac_f64_e32 v[4:5], v[200:201], v[2:3]
	v_fma_f64 v[194:195], v[198:199], v[2:3], -v[194:195]
	v_add_f64 v[52:53], v[52:53], v[4:5]
	scratch_load_dwordx4 v[2:5], off, s15
	v_add_f64 v[10:11], v[10:11], v[194:195]
	s_add_i32 s15, s14, 0xd0
	s_waitcnt vmcnt(0) lgkmcnt(1)
	v_mul_f64 v[194:195], v[204:205], v[4:5]
	v_mul_f64 v[4:5], v[202:203], v[4:5]
	v_fmac_f64_e32 v[4:5], v[204:205], v[2:3]
	v_fma_f64 v[194:195], v[202:203], v[2:3], -v[194:195]
	v_add_f64 v[52:53], v[52:53], v[4:5]
	scratch_load_dwordx4 v[2:5], off, s15
	v_add_f64 v[10:11], v[10:11], v[194:195]
	s_add_i32 s15, s14, 0xe0
	s_waitcnt vmcnt(0) lgkmcnt(0)
	v_mul_f64 v[194:195], v[208:209], v[4:5]
	v_fma_f64 v[194:195], v[206:207], v[2:3], -v[194:195]
	v_add_f64 v[10:11], v[10:11], v[194:195]
	scratch_load_dwordx4 v[194:197], off, s15
	v_mul_f64 v[4:5], v[206:207], v[4:5]
	v_fmac_f64_e32 v[4:5], v[208:209], v[2:3]
	v_add_f64 v[52:53], v[52:53], v[4:5]
	ds_read_b128 v[2:5], v49 offset:1200
	s_add_i32 s15, s14, 0xf0
	s_waitcnt vmcnt(0) lgkmcnt(0)
	v_mul_f64 v[198:199], v[4:5], v[196:197]
	v_fma_f64 v[198:199], v[2:3], v[194:195], -v[198:199]
	v_mul_f64 v[2:3], v[2:3], v[196:197]
	v_fmac_f64_e32 v[2:3], v[4:5], v[194:195]
	scratch_load_dwordx4 v[194:197], off, s15
	v_add_f64 v[52:53], v[52:53], v[2:3]
	ds_read_b128 v[2:5], v49 offset:1216
	v_add_f64 v[10:11], v[10:11], v[198:199]
	s_add_i32 s15, s14, 0x100
	s_addk_i32 s14, 0x110
	s_waitcnt vmcnt(0) lgkmcnt(0)
	v_mul_f64 v[198:199], v[4:5], v[196:197]
	v_fma_f64 v[198:199], v[2:3], v[194:195], -v[198:199]
	v_mul_f64 v[2:3], v[2:3], v[196:197]
	v_fmac_f64_e32 v[2:3], v[4:5], v[194:195]
	scratch_load_dwordx4 v[194:197], off, s15
	v_add_f64 v[52:53], v[52:53], v[2:3]
	ds_read_b128 v[2:5], v49 offset:1232
	v_add_f64 v[10:11], v[10:11], v[198:199]
	s_waitcnt vmcnt(0) lgkmcnt(0)
	v_mul_f64 v[198:199], v[4:5], v[196:197]
	v_fma_f64 v[198:199], v[2:3], v[194:195], -v[198:199]
	v_mul_f64 v[2:3], v[2:3], v[196:197]
	v_fmac_f64_e32 v[2:3], v[4:5], v[194:195]
	scratch_load_dwordx4 v[194:197], off, s14
	v_add_f64 v[52:53], v[52:53], v[2:3]
	ds_read_b128 v[2:5], v49 offset:1248
	v_add_f64 v[10:11], v[10:11], v[198:199]
	s_add_i32 s14, s13, 8
	v_cmp_eq_u32_e32 vcc, s14, v7
	s_add_i32 s13, s13, 18
	s_or_b64 s[10:11], vcc, s[10:11]
	v_mov_b32_e32 v193, s13
	s_mov_b32 s13, s14
	s_waitcnt vmcnt(0) lgkmcnt(0)
	v_mul_f64 v[198:199], v[4:5], v[196:197]
	v_mul_f64 v[196:197], v[2:3], v[196:197]
	v_fma_f64 v[198:199], v[2:3], v[194:195], -v[198:199]
	v_fmac_f64_e32 v[196:197], v[4:5], v[194:195]
	v_add_f64 v[2:3], v[10:11], v[198:199]
	v_add_f64 v[4:5], v[52:53], v[196:197]
	s_andn2_b64 exec, exec, s[10:11]
	s_cbranch_execnz .LBB124_697
; %bb.698:
	s_or_b64 exec, exec, s[10:11]
.LBB124_699:
	s_or_b64 exec, exec, s[0:1]
	v_and_b32_e32 v6, 7, v6
	v_cmp_ne_u32_e32 vcc, 0, v6
	s_and_saveexec_b64 s[0:1], vcc
	s_cbranch_execz .LBB124_703
; %bb.700:
	v_lshlrev_b32_e32 v10, 4, v193
	v_add_u32_e32 v7, 0x3d0, v10
	v_add_u32_e32 v192, 0, v10
	s_mov_b64 s[10:11], 0
.LBB124_701:                            ; =>This Inner Loop Header: Depth=1
	scratch_load_dwordx4 v[194:197], v192, off
	ds_read_b128 v[198:201], v7
	v_add_u32_e32 v6, -1, v6
	v_cmp_eq_u32_e32 vcc, 0, v6
	v_add_u32_e32 v7, 16, v7
	v_add_u32_e32 v192, 16, v192
	s_or_b64 s[10:11], vcc, s[10:11]
	s_waitcnt vmcnt(0) lgkmcnt(0)
	v_mul_f64 v[10:11], v[200:201], v[196:197]
	v_mul_f64 v[52:53], v[198:199], v[196:197]
	v_fma_f64 v[10:11], v[198:199], v[194:195], -v[10:11]
	v_fmac_f64_e32 v[52:53], v[200:201], v[194:195]
	v_add_f64 v[2:3], v[2:3], v[10:11]
	v_add_f64 v[4:5], v[4:5], v[52:53]
	s_andn2_b64 exec, exec, s[10:11]
	s_cbranch_execnz .LBB124_701
; %bb.702:
	s_or_b64 exec, exec, s[10:11]
.LBB124_703:
	s_or_b64 exec, exec, s[0:1]
.LBB124_704:
	s_or_b64 exec, exec, s[8:9]
	v_mov_b32_e32 v6, 0
	ds_read_b128 v[192:195], v6 offset:144
	s_waitcnt lgkmcnt(0)
	v_mul_f64 v[6:7], v[4:5], v[194:195]
	v_mul_f64 v[196:197], v[2:3], v[194:195]
	v_fma_f64 v[194:195], v[2:3], v[192:193], -v[6:7]
	v_fmac_f64_e32 v[196:197], v[4:5], v[192:193]
	scratch_store_dwordx4 off, v[194:197], off offset:144
.LBB124_705:
	s_or_b64 exec, exec, s[4:5]
	scratch_load_dwordx4 v[2:5], v184, off
	v_cmp_lt_u32_e64 s[0:1], 8, v0
	s_waitcnt vmcnt(0)
	ds_write_b128 v9, v[2:5]
	s_waitcnt lgkmcnt(0)
	; wave barrier
	s_waitcnt lgkmcnt(0)
	s_and_saveexec_b64 s[4:5], s[0:1]
	s_cbranch_execz .LBB124_719
; %bb.706:
	ds_read_b128 v[2:5], v9
	s_andn2_b64 vcc, exec, s[6:7]
	s_cbranch_vccnz .LBB124_708
; %bb.707:
	scratch_load_dwordx4 v[192:195], v8, off
	s_waitcnt vmcnt(0) lgkmcnt(0)
	v_mul_f64 v[10:11], v[2:3], v[194:195]
	v_mul_f64 v[6:7], v[4:5], v[194:195]
	v_fmac_f64_e32 v[10:11], v[4:5], v[192:193]
	v_fma_f64 v[2:3], v[2:3], v[192:193], -v[6:7]
	v_mov_b64_e32 v[4:5], v[10:11]
.LBB124_708:
	s_and_saveexec_b64 s[8:9], s[2:3]
	s_cbranch_execz .LBB124_718
; %bb.709:
	v_add_u32_e32 v7, -10, v0
	v_add_u32_e32 v6, -9, v0
	v_cmp_lt_u32_e32 vcc, 6, v7
	v_mov_b32_e32 v193, 9
	s_and_saveexec_b64 s[2:3], vcc
	s_cbranch_execz .LBB124_713
; %bb.710:
	v_and_b32_e32 v7, -8, v6
	s_mov_b32 s12, 0
	s_mov_b64 s[10:11], 0
	v_mov_b32_e32 v192, 0
	s_mov_b32 s13, 0
.LBB124_711:                            ; =>This Inner Loop Header: Depth=1
	v_readfirstlane_b32 s14, v192
	s_add_i32 s14, s14, s12
	s_add_i32 s15, s14, 0x90
	v_mov_b32_e32 v49, s12
	ds_read_b128 v[194:197], v49 offset:1120
	ds_read_b128 v[198:201], v49 offset:1136
	;; [unrolled: 1-line block ×4, first 2 shown]
	scratch_load_dwordx4 v[210:213], off, s15
	s_add_i32 s15, s14, 0xa0
	s_addk_i32 s12, 0x80
	s_waitcnt vmcnt(0) lgkmcnt(3)
	v_mul_f64 v[10:11], v[196:197], v[212:213]
	v_mul_f64 v[52:53], v[194:195], v[212:213]
	v_fma_f64 v[10:11], v[194:195], v[210:211], -v[10:11]
	v_fmac_f64_e32 v[52:53], v[196:197], v[210:211]
	v_add_f64 v[10:11], v[2:3], v[10:11]
	v_add_f64 v[52:53], v[4:5], v[52:53]
	scratch_load_dwordx4 v[2:5], off, s15
	s_add_i32 s15, s14, 0xb0
	s_waitcnt vmcnt(0) lgkmcnt(2)
	v_mul_f64 v[194:195], v[200:201], v[4:5]
	v_mul_f64 v[4:5], v[198:199], v[4:5]
	v_fmac_f64_e32 v[4:5], v[200:201], v[2:3]
	v_fma_f64 v[194:195], v[198:199], v[2:3], -v[194:195]
	v_add_f64 v[52:53], v[52:53], v[4:5]
	scratch_load_dwordx4 v[2:5], off, s15
	v_add_f64 v[10:11], v[10:11], v[194:195]
	s_add_i32 s15, s14, 0xc0
	s_waitcnt vmcnt(0) lgkmcnt(1)
	v_mul_f64 v[194:195], v[204:205], v[4:5]
	v_mul_f64 v[4:5], v[202:203], v[4:5]
	v_fmac_f64_e32 v[4:5], v[204:205], v[2:3]
	v_fma_f64 v[194:195], v[202:203], v[2:3], -v[194:195]
	v_add_f64 v[52:53], v[52:53], v[4:5]
	scratch_load_dwordx4 v[2:5], off, s15
	v_add_f64 v[10:11], v[10:11], v[194:195]
	s_add_i32 s15, s14, 0xd0
	s_waitcnt vmcnt(0) lgkmcnt(0)
	v_mul_f64 v[194:195], v[208:209], v[4:5]
	v_fma_f64 v[194:195], v[206:207], v[2:3], -v[194:195]
	v_add_f64 v[10:11], v[10:11], v[194:195]
	scratch_load_dwordx4 v[194:197], off, s15
	v_mul_f64 v[4:5], v[206:207], v[4:5]
	v_fmac_f64_e32 v[4:5], v[208:209], v[2:3]
	v_add_f64 v[52:53], v[52:53], v[4:5]
	ds_read_b128 v[2:5], v49 offset:1184
	s_add_i32 s15, s14, 0xe0
	s_waitcnt vmcnt(0) lgkmcnt(0)
	v_mul_f64 v[198:199], v[4:5], v[196:197]
	v_fma_f64 v[198:199], v[2:3], v[194:195], -v[198:199]
	v_mul_f64 v[2:3], v[2:3], v[196:197]
	v_fmac_f64_e32 v[2:3], v[4:5], v[194:195]
	scratch_load_dwordx4 v[194:197], off, s15
	v_add_f64 v[52:53], v[52:53], v[2:3]
	ds_read_b128 v[2:5], v49 offset:1200
	v_add_f64 v[10:11], v[10:11], v[198:199]
	s_add_i32 s15, s14, 0xf0
	s_addk_i32 s14, 0x100
	s_waitcnt vmcnt(0) lgkmcnt(0)
	v_mul_f64 v[198:199], v[4:5], v[196:197]
	v_fma_f64 v[198:199], v[2:3], v[194:195], -v[198:199]
	v_mul_f64 v[2:3], v[2:3], v[196:197]
	v_fmac_f64_e32 v[2:3], v[4:5], v[194:195]
	scratch_load_dwordx4 v[194:197], off, s15
	v_add_f64 v[52:53], v[52:53], v[2:3]
	ds_read_b128 v[2:5], v49 offset:1216
	v_add_f64 v[10:11], v[10:11], v[198:199]
	s_waitcnt vmcnt(0) lgkmcnt(0)
	v_mul_f64 v[198:199], v[4:5], v[196:197]
	v_fma_f64 v[198:199], v[2:3], v[194:195], -v[198:199]
	v_mul_f64 v[2:3], v[2:3], v[196:197]
	v_fmac_f64_e32 v[2:3], v[4:5], v[194:195]
	scratch_load_dwordx4 v[194:197], off, s14
	v_add_f64 v[52:53], v[52:53], v[2:3]
	ds_read_b128 v[2:5], v49 offset:1232
	v_add_f64 v[10:11], v[10:11], v[198:199]
	s_add_i32 s14, s13, 8
	v_cmp_eq_u32_e32 vcc, s14, v7
	s_add_i32 s13, s13, 17
	s_or_b64 s[10:11], vcc, s[10:11]
	v_mov_b32_e32 v193, s13
	s_mov_b32 s13, s14
	s_waitcnt vmcnt(0) lgkmcnt(0)
	v_mul_f64 v[198:199], v[4:5], v[196:197]
	v_mul_f64 v[196:197], v[2:3], v[196:197]
	v_fma_f64 v[198:199], v[2:3], v[194:195], -v[198:199]
	v_fmac_f64_e32 v[196:197], v[4:5], v[194:195]
	v_add_f64 v[2:3], v[10:11], v[198:199]
	v_add_f64 v[4:5], v[52:53], v[196:197]
	s_andn2_b64 exec, exec, s[10:11]
	s_cbranch_execnz .LBB124_711
; %bb.712:
	s_or_b64 exec, exec, s[10:11]
.LBB124_713:
	s_or_b64 exec, exec, s[2:3]
	v_and_b32_e32 v6, 7, v6
	v_cmp_ne_u32_e32 vcc, 0, v6
	s_and_saveexec_b64 s[2:3], vcc
	s_cbranch_execz .LBB124_717
; %bb.714:
	v_lshlrev_b32_e32 v10, 4, v193
	v_add_u32_e32 v7, 0x3d0, v10
	v_add_u32_e32 v192, 0, v10
	s_mov_b64 s[10:11], 0
.LBB124_715:                            ; =>This Inner Loop Header: Depth=1
	scratch_load_dwordx4 v[194:197], v192, off
	ds_read_b128 v[198:201], v7
	v_add_u32_e32 v6, -1, v6
	v_cmp_eq_u32_e32 vcc, 0, v6
	v_add_u32_e32 v7, 16, v7
	v_add_u32_e32 v192, 16, v192
	s_or_b64 s[10:11], vcc, s[10:11]
	s_waitcnt vmcnt(0) lgkmcnt(0)
	v_mul_f64 v[10:11], v[200:201], v[196:197]
	v_mul_f64 v[52:53], v[198:199], v[196:197]
	v_fma_f64 v[10:11], v[198:199], v[194:195], -v[10:11]
	v_fmac_f64_e32 v[52:53], v[200:201], v[194:195]
	v_add_f64 v[2:3], v[2:3], v[10:11]
	v_add_f64 v[4:5], v[4:5], v[52:53]
	s_andn2_b64 exec, exec, s[10:11]
	s_cbranch_execnz .LBB124_715
; %bb.716:
	s_or_b64 exec, exec, s[10:11]
.LBB124_717:
	s_or_b64 exec, exec, s[2:3]
.LBB124_718:
	s_or_b64 exec, exec, s[8:9]
	v_mov_b32_e32 v6, 0
	ds_read_b128 v[192:195], v6 offset:128
	s_waitcnt lgkmcnt(0)
	v_mul_f64 v[6:7], v[4:5], v[194:195]
	v_mul_f64 v[196:197], v[2:3], v[194:195]
	v_fma_f64 v[194:195], v[2:3], v[192:193], -v[6:7]
	v_fmac_f64_e32 v[196:197], v[4:5], v[192:193]
	scratch_store_dwordx4 off, v[194:197], off offset:128
.LBB124_719:
	s_or_b64 exec, exec, s[4:5]
	scratch_load_dwordx4 v[2:5], v185, off
	v_cmp_lt_u32_e64 s[2:3], 7, v0
	s_waitcnt vmcnt(0)
	ds_write_b128 v9, v[2:5]
	s_waitcnt lgkmcnt(0)
	; wave barrier
	s_waitcnt lgkmcnt(0)
	s_and_saveexec_b64 s[4:5], s[2:3]
	s_cbranch_execz .LBB124_733
; %bb.720:
	ds_read_b128 v[2:5], v9
	s_andn2_b64 vcc, exec, s[6:7]
	s_cbranch_vccnz .LBB124_722
; %bb.721:
	scratch_load_dwordx4 v[192:195], v8, off
	s_waitcnt vmcnt(0) lgkmcnt(0)
	v_mul_f64 v[10:11], v[2:3], v[194:195]
	v_mul_f64 v[6:7], v[4:5], v[194:195]
	v_fmac_f64_e32 v[10:11], v[4:5], v[192:193]
	v_fma_f64 v[2:3], v[2:3], v[192:193], -v[6:7]
	v_mov_b64_e32 v[4:5], v[10:11]
.LBB124_722:
	s_and_saveexec_b64 s[8:9], s[0:1]
	s_cbranch_execz .LBB124_732
; %bb.723:
	v_add_u32_e32 v6, -9, v0
	v_cmp_lt_u32_e32 vcc, 6, v6
	v_mov_b32_e32 v6, 8
	s_and_saveexec_b64 s[0:1], vcc
	s_cbranch_execz .LBB124_727
; %bb.724:
	v_and_b32_e32 v6, 56, v0
	s_mov_b32 s12, 8
	s_mov_b32 s13, 0
	s_mov_b64 s[10:11], 0
	v_mov_b32_e32 v7, 0
.LBB124_725:                            ; =>This Inner Loop Header: Depth=1
	s_nop 0
	v_readfirstlane_b32 s14, v7
	s_add_i32 s14, s14, s13
	s_add_i32 s15, s14, 0x80
	v_mov_b32_e32 v49, s13
	ds_read_b128 v[192:195], v49 offset:1104
	ds_read_b128 v[196:199], v49 offset:1120
	;; [unrolled: 1-line block ×4, first 2 shown]
	scratch_load_dwordx4 v[208:211], off, s15
	s_add_i32 s15, s14, 0x90
	s_add_i32 s12, s12, 8
	s_addk_i32 s13, 0x80
	v_cmp_eq_u32_e32 vcc, s12, v6
	s_waitcnt vmcnt(0) lgkmcnt(3)
	v_mul_f64 v[10:11], v[194:195], v[210:211]
	v_mul_f64 v[52:53], v[192:193], v[210:211]
	v_fma_f64 v[10:11], v[192:193], v[208:209], -v[10:11]
	v_fmac_f64_e32 v[52:53], v[194:195], v[208:209]
	v_add_f64 v[10:11], v[2:3], v[10:11]
	v_add_f64 v[52:53], v[4:5], v[52:53]
	scratch_load_dwordx4 v[2:5], off, s15
	s_add_i32 s15, s14, 0xa0
	s_waitcnt vmcnt(0) lgkmcnt(2)
	v_mul_f64 v[192:193], v[198:199], v[4:5]
	v_mul_f64 v[4:5], v[196:197], v[4:5]
	v_fmac_f64_e32 v[4:5], v[198:199], v[2:3]
	v_fma_f64 v[192:193], v[196:197], v[2:3], -v[192:193]
	v_add_f64 v[52:53], v[52:53], v[4:5]
	scratch_load_dwordx4 v[2:5], off, s15
	v_add_f64 v[10:11], v[10:11], v[192:193]
	s_add_i32 s15, s14, 0xb0
	s_waitcnt vmcnt(0) lgkmcnt(1)
	v_mul_f64 v[192:193], v[202:203], v[4:5]
	v_mul_f64 v[4:5], v[200:201], v[4:5]
	v_fmac_f64_e32 v[4:5], v[202:203], v[2:3]
	v_fma_f64 v[192:193], v[200:201], v[2:3], -v[192:193]
	v_add_f64 v[52:53], v[52:53], v[4:5]
	scratch_load_dwordx4 v[2:5], off, s15
	v_add_f64 v[10:11], v[10:11], v[192:193]
	s_add_i32 s15, s14, 0xc0
	s_waitcnt vmcnt(0) lgkmcnt(0)
	v_mul_f64 v[192:193], v[206:207], v[4:5]
	v_fma_f64 v[192:193], v[204:205], v[2:3], -v[192:193]
	v_add_f64 v[10:11], v[10:11], v[192:193]
	scratch_load_dwordx4 v[192:195], off, s15
	v_mul_f64 v[4:5], v[204:205], v[4:5]
	v_fmac_f64_e32 v[4:5], v[206:207], v[2:3]
	v_add_f64 v[52:53], v[52:53], v[4:5]
	ds_read_b128 v[2:5], v49 offset:1168
	s_add_i32 s15, s14, 0xd0
	s_waitcnt vmcnt(0) lgkmcnt(0)
	v_mul_f64 v[196:197], v[4:5], v[194:195]
	v_fma_f64 v[196:197], v[2:3], v[192:193], -v[196:197]
	v_mul_f64 v[2:3], v[2:3], v[194:195]
	v_fmac_f64_e32 v[2:3], v[4:5], v[192:193]
	scratch_load_dwordx4 v[192:195], off, s15
	v_add_f64 v[52:53], v[52:53], v[2:3]
	ds_read_b128 v[2:5], v49 offset:1184
	v_add_f64 v[10:11], v[10:11], v[196:197]
	s_add_i32 s15, s14, 0xe0
	s_addk_i32 s14, 0xf0
	s_or_b64 s[10:11], vcc, s[10:11]
	s_waitcnt vmcnt(0) lgkmcnt(0)
	v_mul_f64 v[196:197], v[4:5], v[194:195]
	v_fma_f64 v[196:197], v[2:3], v[192:193], -v[196:197]
	v_mul_f64 v[2:3], v[2:3], v[194:195]
	v_fmac_f64_e32 v[2:3], v[4:5], v[192:193]
	scratch_load_dwordx4 v[192:195], off, s15
	v_add_f64 v[52:53], v[52:53], v[2:3]
	ds_read_b128 v[2:5], v49 offset:1200
	v_add_f64 v[10:11], v[10:11], v[196:197]
	s_waitcnt vmcnt(0) lgkmcnt(0)
	v_mul_f64 v[196:197], v[4:5], v[194:195]
	v_fma_f64 v[196:197], v[2:3], v[192:193], -v[196:197]
	v_mul_f64 v[2:3], v[2:3], v[194:195]
	v_fmac_f64_e32 v[2:3], v[4:5], v[192:193]
	scratch_load_dwordx4 v[192:195], off, s14
	v_add_f64 v[52:53], v[52:53], v[2:3]
	ds_read_b128 v[2:5], v49 offset:1216
	v_add_f64 v[10:11], v[10:11], v[196:197]
	s_waitcnt vmcnt(0) lgkmcnt(0)
	v_mul_f64 v[196:197], v[4:5], v[194:195]
	v_mul_f64 v[194:195], v[2:3], v[194:195]
	v_fma_f64 v[196:197], v[2:3], v[192:193], -v[196:197]
	v_fmac_f64_e32 v[194:195], v[4:5], v[192:193]
	v_add_f64 v[2:3], v[10:11], v[196:197]
	v_add_f64 v[4:5], v[52:53], v[194:195]
	s_andn2_b64 exec, exec, s[10:11]
	s_cbranch_execnz .LBB124_725
; %bb.726:
	s_or_b64 exec, exec, s[10:11]
.LBB124_727:
	s_or_b64 exec, exec, s[0:1]
	v_and_b32_e32 v7, 7, v0
	v_cmp_ne_u32_e32 vcc, 0, v7
	s_and_saveexec_b64 s[0:1], vcc
	s_cbranch_execz .LBB124_731
; %bb.728:
	v_lshlrev_b32_e32 v10, 4, v6
	v_add_u32_e32 v6, 0x3d0, v10
	v_add_u32_e32 v192, 0, v10
	s_mov_b64 s[10:11], 0
.LBB124_729:                            ; =>This Inner Loop Header: Depth=1
	scratch_load_dwordx4 v[194:197], v192, off
	ds_read_b128 v[198:201], v6
	v_add_u32_e32 v7, -1, v7
	v_cmp_eq_u32_e32 vcc, 0, v7
	v_add_u32_e32 v6, 16, v6
	v_add_u32_e32 v192, 16, v192
	s_or_b64 s[10:11], vcc, s[10:11]
	s_waitcnt vmcnt(0) lgkmcnt(0)
	v_mul_f64 v[10:11], v[200:201], v[196:197]
	v_mul_f64 v[52:53], v[198:199], v[196:197]
	v_fma_f64 v[10:11], v[198:199], v[194:195], -v[10:11]
	v_fmac_f64_e32 v[52:53], v[200:201], v[194:195]
	v_add_f64 v[2:3], v[2:3], v[10:11]
	v_add_f64 v[4:5], v[4:5], v[52:53]
	s_andn2_b64 exec, exec, s[10:11]
	s_cbranch_execnz .LBB124_729
; %bb.730:
	s_or_b64 exec, exec, s[10:11]
.LBB124_731:
	s_or_b64 exec, exec, s[0:1]
.LBB124_732:
	s_or_b64 exec, exec, s[8:9]
	v_mov_b32_e32 v6, 0
	ds_read_b128 v[192:195], v6 offset:112
	s_waitcnt lgkmcnt(0)
	v_mul_f64 v[6:7], v[4:5], v[194:195]
	v_mul_f64 v[196:197], v[2:3], v[194:195]
	v_fma_f64 v[194:195], v[2:3], v[192:193], -v[6:7]
	v_fmac_f64_e32 v[196:197], v[4:5], v[192:193]
	scratch_store_dwordx4 off, v[194:197], off offset:112
.LBB124_733:
	s_or_b64 exec, exec, s[4:5]
	scratch_load_dwordx4 v[2:5], v186, off
	v_cmp_lt_u32_e64 s[0:1], 6, v0
	s_waitcnt vmcnt(0)
	ds_write_b128 v9, v[2:5]
	s_waitcnt lgkmcnt(0)
	; wave barrier
	s_waitcnt lgkmcnt(0)
	s_and_saveexec_b64 s[4:5], s[0:1]
	s_cbranch_execz .LBB124_747
; %bb.734:
	ds_read_b128 v[2:5], v9
	s_andn2_b64 vcc, exec, s[6:7]
	s_cbranch_vccnz .LBB124_736
; %bb.735:
	scratch_load_dwordx4 v[192:195], v8, off
	s_waitcnt vmcnt(0) lgkmcnt(0)
	v_mul_f64 v[10:11], v[2:3], v[194:195]
	v_mul_f64 v[6:7], v[4:5], v[194:195]
	v_fmac_f64_e32 v[10:11], v[4:5], v[192:193]
	v_fma_f64 v[2:3], v[2:3], v[192:193], -v[6:7]
	v_mov_b64_e32 v[4:5], v[10:11]
.LBB124_736:
	s_and_saveexec_b64 s[8:9], s[2:3]
	s_cbranch_execz .LBB124_746
; %bb.737:
	v_add_u32_e32 v7, -8, v0
	v_add_u32_e32 v6, -7, v0
	v_cmp_lt_u32_e32 vcc, 6, v7
	v_mov_b32_e32 v193, 7
	s_and_saveexec_b64 s[2:3], vcc
	s_cbranch_execz .LBB124_741
; %bb.738:
	v_and_b32_e32 v7, -8, v6
	s_mov_b32 s12, 0
	s_mov_b64 s[10:11], 0
	v_mov_b32_e32 v192, 0
	s_mov_b32 s13, 0
.LBB124_739:                            ; =>This Inner Loop Header: Depth=1
	v_readfirstlane_b32 s14, v192
	s_add_i32 s14, s14, s12
	s_add_i32 s15, s14, 0x70
	v_mov_b32_e32 v49, s12
	ds_read_b128 v[194:197], v49 offset:1088
	ds_read_b128 v[198:201], v49 offset:1104
	ds_read_b128 v[202:205], v49 offset:1120
	ds_read_b128 v[206:209], v49 offset:1136
	scratch_load_dwordx4 v[210:213], off, s15
	s_add_i32 s15, s14, 0x80
	s_addk_i32 s12, 0x80
	s_waitcnt vmcnt(0) lgkmcnt(3)
	v_mul_f64 v[10:11], v[196:197], v[212:213]
	v_mul_f64 v[52:53], v[194:195], v[212:213]
	v_fma_f64 v[10:11], v[194:195], v[210:211], -v[10:11]
	v_fmac_f64_e32 v[52:53], v[196:197], v[210:211]
	v_add_f64 v[10:11], v[2:3], v[10:11]
	v_add_f64 v[52:53], v[4:5], v[52:53]
	scratch_load_dwordx4 v[2:5], off, s15
	s_add_i32 s15, s14, 0x90
	s_waitcnt vmcnt(0) lgkmcnt(2)
	v_mul_f64 v[194:195], v[200:201], v[4:5]
	v_mul_f64 v[4:5], v[198:199], v[4:5]
	v_fmac_f64_e32 v[4:5], v[200:201], v[2:3]
	v_fma_f64 v[194:195], v[198:199], v[2:3], -v[194:195]
	v_add_f64 v[52:53], v[52:53], v[4:5]
	scratch_load_dwordx4 v[2:5], off, s15
	v_add_f64 v[10:11], v[10:11], v[194:195]
	s_add_i32 s15, s14, 0xa0
	s_waitcnt vmcnt(0) lgkmcnt(1)
	v_mul_f64 v[194:195], v[204:205], v[4:5]
	v_mul_f64 v[4:5], v[202:203], v[4:5]
	v_fmac_f64_e32 v[4:5], v[204:205], v[2:3]
	v_fma_f64 v[194:195], v[202:203], v[2:3], -v[194:195]
	v_add_f64 v[52:53], v[52:53], v[4:5]
	scratch_load_dwordx4 v[2:5], off, s15
	v_add_f64 v[10:11], v[10:11], v[194:195]
	s_add_i32 s15, s14, 0xb0
	s_waitcnt vmcnt(0) lgkmcnt(0)
	v_mul_f64 v[194:195], v[208:209], v[4:5]
	v_fma_f64 v[194:195], v[206:207], v[2:3], -v[194:195]
	v_add_f64 v[10:11], v[10:11], v[194:195]
	scratch_load_dwordx4 v[194:197], off, s15
	v_mul_f64 v[4:5], v[206:207], v[4:5]
	v_fmac_f64_e32 v[4:5], v[208:209], v[2:3]
	v_add_f64 v[52:53], v[52:53], v[4:5]
	ds_read_b128 v[2:5], v49 offset:1152
	s_add_i32 s15, s14, 0xc0
	s_waitcnt vmcnt(0) lgkmcnt(0)
	v_mul_f64 v[198:199], v[4:5], v[196:197]
	v_fma_f64 v[198:199], v[2:3], v[194:195], -v[198:199]
	v_mul_f64 v[2:3], v[2:3], v[196:197]
	v_fmac_f64_e32 v[2:3], v[4:5], v[194:195]
	scratch_load_dwordx4 v[194:197], off, s15
	v_add_f64 v[52:53], v[52:53], v[2:3]
	ds_read_b128 v[2:5], v49 offset:1168
	v_add_f64 v[10:11], v[10:11], v[198:199]
	s_add_i32 s15, s14, 0xd0
	s_addk_i32 s14, 0xe0
	s_waitcnt vmcnt(0) lgkmcnt(0)
	v_mul_f64 v[198:199], v[4:5], v[196:197]
	v_fma_f64 v[198:199], v[2:3], v[194:195], -v[198:199]
	v_mul_f64 v[2:3], v[2:3], v[196:197]
	v_fmac_f64_e32 v[2:3], v[4:5], v[194:195]
	scratch_load_dwordx4 v[194:197], off, s15
	v_add_f64 v[52:53], v[52:53], v[2:3]
	ds_read_b128 v[2:5], v49 offset:1184
	v_add_f64 v[10:11], v[10:11], v[198:199]
	s_waitcnt vmcnt(0) lgkmcnt(0)
	v_mul_f64 v[198:199], v[4:5], v[196:197]
	v_fma_f64 v[198:199], v[2:3], v[194:195], -v[198:199]
	v_mul_f64 v[2:3], v[2:3], v[196:197]
	v_fmac_f64_e32 v[2:3], v[4:5], v[194:195]
	scratch_load_dwordx4 v[194:197], off, s14
	v_add_f64 v[52:53], v[52:53], v[2:3]
	ds_read_b128 v[2:5], v49 offset:1200
	v_add_f64 v[10:11], v[10:11], v[198:199]
	s_add_i32 s14, s13, 8
	v_cmp_eq_u32_e32 vcc, s14, v7
	s_add_i32 s13, s13, 15
	s_or_b64 s[10:11], vcc, s[10:11]
	v_mov_b32_e32 v193, s13
	s_mov_b32 s13, s14
	s_waitcnt vmcnt(0) lgkmcnt(0)
	v_mul_f64 v[198:199], v[4:5], v[196:197]
	v_mul_f64 v[196:197], v[2:3], v[196:197]
	v_fma_f64 v[198:199], v[2:3], v[194:195], -v[198:199]
	v_fmac_f64_e32 v[196:197], v[4:5], v[194:195]
	v_add_f64 v[2:3], v[10:11], v[198:199]
	v_add_f64 v[4:5], v[52:53], v[196:197]
	s_andn2_b64 exec, exec, s[10:11]
	s_cbranch_execnz .LBB124_739
; %bb.740:
	s_or_b64 exec, exec, s[10:11]
.LBB124_741:
	s_or_b64 exec, exec, s[2:3]
	v_and_b32_e32 v6, 7, v6
	v_cmp_ne_u32_e32 vcc, 0, v6
	s_and_saveexec_b64 s[2:3], vcc
	s_cbranch_execz .LBB124_745
; %bb.742:
	v_lshlrev_b32_e32 v10, 4, v193
	v_add_u32_e32 v7, 0x3d0, v10
	v_add_u32_e32 v192, 0, v10
	s_mov_b64 s[10:11], 0
.LBB124_743:                            ; =>This Inner Loop Header: Depth=1
	scratch_load_dwordx4 v[194:197], v192, off
	ds_read_b128 v[198:201], v7
	v_add_u32_e32 v6, -1, v6
	v_cmp_eq_u32_e32 vcc, 0, v6
	v_add_u32_e32 v7, 16, v7
	v_add_u32_e32 v192, 16, v192
	s_or_b64 s[10:11], vcc, s[10:11]
	s_waitcnt vmcnt(0) lgkmcnt(0)
	v_mul_f64 v[10:11], v[200:201], v[196:197]
	v_mul_f64 v[52:53], v[198:199], v[196:197]
	v_fma_f64 v[10:11], v[198:199], v[194:195], -v[10:11]
	v_fmac_f64_e32 v[52:53], v[200:201], v[194:195]
	v_add_f64 v[2:3], v[2:3], v[10:11]
	v_add_f64 v[4:5], v[4:5], v[52:53]
	s_andn2_b64 exec, exec, s[10:11]
	s_cbranch_execnz .LBB124_743
; %bb.744:
	s_or_b64 exec, exec, s[10:11]
.LBB124_745:
	s_or_b64 exec, exec, s[2:3]
.LBB124_746:
	s_or_b64 exec, exec, s[8:9]
	v_mov_b32_e32 v6, 0
	ds_read_b128 v[192:195], v6 offset:96
	s_waitcnt lgkmcnt(0)
	v_mul_f64 v[6:7], v[4:5], v[194:195]
	v_mul_f64 v[196:197], v[2:3], v[194:195]
	v_fma_f64 v[194:195], v[2:3], v[192:193], -v[6:7]
	v_fmac_f64_e32 v[196:197], v[4:5], v[192:193]
	scratch_store_dwordx4 off, v[194:197], off offset:96
.LBB124_747:
	s_or_b64 exec, exec, s[4:5]
	scratch_load_dwordx4 v[2:5], v187, off
	v_cmp_lt_u32_e64 s[2:3], 5, v0
	s_waitcnt vmcnt(0)
	ds_write_b128 v9, v[2:5]
	s_waitcnt lgkmcnt(0)
	; wave barrier
	s_waitcnt lgkmcnt(0)
	s_and_saveexec_b64 s[4:5], s[2:3]
	s_cbranch_execz .LBB124_761
; %bb.748:
	ds_read_b128 v[2:5], v9
	s_andn2_b64 vcc, exec, s[6:7]
	s_cbranch_vccnz .LBB124_750
; %bb.749:
	scratch_load_dwordx4 v[192:195], v8, off
	s_waitcnt vmcnt(0) lgkmcnt(0)
	v_mul_f64 v[10:11], v[2:3], v[194:195]
	v_mul_f64 v[6:7], v[4:5], v[194:195]
	v_fmac_f64_e32 v[10:11], v[4:5], v[192:193]
	v_fma_f64 v[2:3], v[2:3], v[192:193], -v[6:7]
	v_mov_b64_e32 v[4:5], v[10:11]
.LBB124_750:
	s_and_saveexec_b64 s[8:9], s[0:1]
	s_cbranch_execz .LBB124_760
; %bb.751:
	v_add_u32_e32 v7, -7, v0
	v_add_u32_e32 v6, -6, v0
	v_cmp_lt_u32_e32 vcc, 6, v7
	v_mov_b32_e32 v193, 6
	s_and_saveexec_b64 s[0:1], vcc
	s_cbranch_execz .LBB124_755
; %bb.752:
	v_and_b32_e32 v7, -8, v6
	s_mov_b32 s12, 0
	s_mov_b64 s[10:11], 0
	v_mov_b32_e32 v192, 0
	s_mov_b32 s13, 0
.LBB124_753:                            ; =>This Inner Loop Header: Depth=1
	v_readfirstlane_b32 s14, v192
	s_add_i32 s14, s14, s12
	s_add_i32 s15, s14, 0x60
	v_mov_b32_e32 v49, s12
	ds_read_b128 v[194:197], v49 offset:1072
	ds_read_b128 v[198:201], v49 offset:1088
	;; [unrolled: 1-line block ×4, first 2 shown]
	scratch_load_dwordx4 v[210:213], off, s15
	s_add_i32 s15, s14, 0x70
	s_addk_i32 s12, 0x80
	s_waitcnt vmcnt(0) lgkmcnt(3)
	v_mul_f64 v[10:11], v[196:197], v[212:213]
	v_mul_f64 v[52:53], v[194:195], v[212:213]
	v_fma_f64 v[10:11], v[194:195], v[210:211], -v[10:11]
	v_fmac_f64_e32 v[52:53], v[196:197], v[210:211]
	v_add_f64 v[10:11], v[2:3], v[10:11]
	v_add_f64 v[52:53], v[4:5], v[52:53]
	scratch_load_dwordx4 v[2:5], off, s15
	s_add_i32 s15, s14, 0x80
	s_waitcnt vmcnt(0) lgkmcnt(2)
	v_mul_f64 v[194:195], v[200:201], v[4:5]
	v_mul_f64 v[4:5], v[198:199], v[4:5]
	v_fmac_f64_e32 v[4:5], v[200:201], v[2:3]
	v_fma_f64 v[194:195], v[198:199], v[2:3], -v[194:195]
	v_add_f64 v[52:53], v[52:53], v[4:5]
	scratch_load_dwordx4 v[2:5], off, s15
	v_add_f64 v[10:11], v[10:11], v[194:195]
	s_add_i32 s15, s14, 0x90
	s_waitcnt vmcnt(0) lgkmcnt(1)
	v_mul_f64 v[194:195], v[204:205], v[4:5]
	v_mul_f64 v[4:5], v[202:203], v[4:5]
	v_fmac_f64_e32 v[4:5], v[204:205], v[2:3]
	v_fma_f64 v[194:195], v[202:203], v[2:3], -v[194:195]
	v_add_f64 v[52:53], v[52:53], v[4:5]
	scratch_load_dwordx4 v[2:5], off, s15
	v_add_f64 v[10:11], v[10:11], v[194:195]
	s_add_i32 s15, s14, 0xa0
	s_waitcnt vmcnt(0) lgkmcnt(0)
	v_mul_f64 v[194:195], v[208:209], v[4:5]
	v_fma_f64 v[194:195], v[206:207], v[2:3], -v[194:195]
	v_add_f64 v[10:11], v[10:11], v[194:195]
	scratch_load_dwordx4 v[194:197], off, s15
	v_mul_f64 v[4:5], v[206:207], v[4:5]
	v_fmac_f64_e32 v[4:5], v[208:209], v[2:3]
	v_add_f64 v[52:53], v[52:53], v[4:5]
	ds_read_b128 v[2:5], v49 offset:1136
	s_add_i32 s15, s14, 0xb0
	s_waitcnt vmcnt(0) lgkmcnt(0)
	v_mul_f64 v[198:199], v[4:5], v[196:197]
	v_fma_f64 v[198:199], v[2:3], v[194:195], -v[198:199]
	v_mul_f64 v[2:3], v[2:3], v[196:197]
	v_fmac_f64_e32 v[2:3], v[4:5], v[194:195]
	scratch_load_dwordx4 v[194:197], off, s15
	v_add_f64 v[52:53], v[52:53], v[2:3]
	ds_read_b128 v[2:5], v49 offset:1152
	v_add_f64 v[10:11], v[10:11], v[198:199]
	s_add_i32 s15, s14, 0xc0
	s_addk_i32 s14, 0xd0
	s_waitcnt vmcnt(0) lgkmcnt(0)
	v_mul_f64 v[198:199], v[4:5], v[196:197]
	v_fma_f64 v[198:199], v[2:3], v[194:195], -v[198:199]
	v_mul_f64 v[2:3], v[2:3], v[196:197]
	v_fmac_f64_e32 v[2:3], v[4:5], v[194:195]
	scratch_load_dwordx4 v[194:197], off, s15
	v_add_f64 v[52:53], v[52:53], v[2:3]
	ds_read_b128 v[2:5], v49 offset:1168
	v_add_f64 v[10:11], v[10:11], v[198:199]
	s_waitcnt vmcnt(0) lgkmcnt(0)
	v_mul_f64 v[198:199], v[4:5], v[196:197]
	v_fma_f64 v[198:199], v[2:3], v[194:195], -v[198:199]
	v_mul_f64 v[2:3], v[2:3], v[196:197]
	v_fmac_f64_e32 v[2:3], v[4:5], v[194:195]
	scratch_load_dwordx4 v[194:197], off, s14
	v_add_f64 v[52:53], v[52:53], v[2:3]
	ds_read_b128 v[2:5], v49 offset:1184
	v_add_f64 v[10:11], v[10:11], v[198:199]
	s_add_i32 s14, s13, 8
	v_cmp_eq_u32_e32 vcc, s14, v7
	s_add_i32 s13, s13, 14
	s_or_b64 s[10:11], vcc, s[10:11]
	v_mov_b32_e32 v193, s13
	s_mov_b32 s13, s14
	s_waitcnt vmcnt(0) lgkmcnt(0)
	v_mul_f64 v[198:199], v[4:5], v[196:197]
	v_mul_f64 v[196:197], v[2:3], v[196:197]
	v_fma_f64 v[198:199], v[2:3], v[194:195], -v[198:199]
	v_fmac_f64_e32 v[196:197], v[4:5], v[194:195]
	v_add_f64 v[2:3], v[10:11], v[198:199]
	v_add_f64 v[4:5], v[52:53], v[196:197]
	s_andn2_b64 exec, exec, s[10:11]
	s_cbranch_execnz .LBB124_753
; %bb.754:
	s_or_b64 exec, exec, s[10:11]
.LBB124_755:
	s_or_b64 exec, exec, s[0:1]
	v_and_b32_e32 v6, 7, v6
	v_cmp_ne_u32_e32 vcc, 0, v6
	s_and_saveexec_b64 s[0:1], vcc
	s_cbranch_execz .LBB124_759
; %bb.756:
	v_lshlrev_b32_e32 v10, 4, v193
	v_add_u32_e32 v7, 0x3d0, v10
	v_add_u32_e32 v192, 0, v10
	s_mov_b64 s[10:11], 0
.LBB124_757:                            ; =>This Inner Loop Header: Depth=1
	scratch_load_dwordx4 v[194:197], v192, off
	ds_read_b128 v[198:201], v7
	v_add_u32_e32 v6, -1, v6
	v_cmp_eq_u32_e32 vcc, 0, v6
	v_add_u32_e32 v7, 16, v7
	v_add_u32_e32 v192, 16, v192
	s_or_b64 s[10:11], vcc, s[10:11]
	s_waitcnt vmcnt(0) lgkmcnt(0)
	v_mul_f64 v[10:11], v[200:201], v[196:197]
	v_mul_f64 v[52:53], v[198:199], v[196:197]
	v_fma_f64 v[10:11], v[198:199], v[194:195], -v[10:11]
	v_fmac_f64_e32 v[52:53], v[200:201], v[194:195]
	v_add_f64 v[2:3], v[2:3], v[10:11]
	v_add_f64 v[4:5], v[4:5], v[52:53]
	s_andn2_b64 exec, exec, s[10:11]
	s_cbranch_execnz .LBB124_757
; %bb.758:
	s_or_b64 exec, exec, s[10:11]
.LBB124_759:
	s_or_b64 exec, exec, s[0:1]
.LBB124_760:
	s_or_b64 exec, exec, s[8:9]
	v_mov_b32_e32 v6, 0
	ds_read_b128 v[192:195], v6 offset:80
	s_waitcnt lgkmcnt(0)
	v_mul_f64 v[6:7], v[4:5], v[194:195]
	v_mul_f64 v[196:197], v[2:3], v[194:195]
	v_fma_f64 v[194:195], v[2:3], v[192:193], -v[6:7]
	v_fmac_f64_e32 v[196:197], v[4:5], v[192:193]
	scratch_store_dwordx4 off, v[194:197], off offset:80
.LBB124_761:
	s_or_b64 exec, exec, s[4:5]
	scratch_load_dwordx4 v[2:5], v188, off
	v_cmp_lt_u32_e64 s[0:1], 4, v0
	s_waitcnt vmcnt(0)
	ds_write_b128 v9, v[2:5]
	s_waitcnt lgkmcnt(0)
	; wave barrier
	s_waitcnt lgkmcnt(0)
	s_and_saveexec_b64 s[4:5], s[0:1]
	s_cbranch_execz .LBB124_775
; %bb.762:
	ds_read_b128 v[2:5], v9
	s_andn2_b64 vcc, exec, s[6:7]
	s_cbranch_vccnz .LBB124_764
; %bb.763:
	scratch_load_dwordx4 v[192:195], v8, off
	s_waitcnt vmcnt(0) lgkmcnt(0)
	v_mul_f64 v[10:11], v[2:3], v[194:195]
	v_mul_f64 v[6:7], v[4:5], v[194:195]
	v_fmac_f64_e32 v[10:11], v[4:5], v[192:193]
	v_fma_f64 v[2:3], v[2:3], v[192:193], -v[6:7]
	v_mov_b64_e32 v[4:5], v[10:11]
.LBB124_764:
	s_and_saveexec_b64 s[8:9], s[2:3]
	s_cbranch_execz .LBB124_774
; %bb.765:
	v_add_u32_e32 v7, -6, v0
	v_add_u32_e32 v6, -5, v0
	v_cmp_lt_u32_e32 vcc, 6, v7
	v_mov_b32_e32 v193, 5
	s_and_saveexec_b64 s[2:3], vcc
	s_cbranch_execz .LBB124_769
; %bb.766:
	v_and_b32_e32 v7, -8, v6
	s_mov_b32 s12, 0
	s_mov_b64 s[10:11], 0
	v_mov_b32_e32 v192, 0
	s_mov_b32 s13, 0
.LBB124_767:                            ; =>This Inner Loop Header: Depth=1
	v_readfirstlane_b32 s14, v192
	s_add_i32 s14, s14, s12
	s_add_i32 s15, s14, 0x50
	v_mov_b32_e32 v49, s12
	ds_read_b128 v[194:197], v49 offset:1056
	ds_read_b128 v[198:201], v49 offset:1072
	;; [unrolled: 1-line block ×4, first 2 shown]
	scratch_load_dwordx4 v[210:213], off, s15
	s_add_i32 s15, s14, 0x60
	s_addk_i32 s12, 0x80
	s_waitcnt vmcnt(0) lgkmcnt(3)
	v_mul_f64 v[10:11], v[196:197], v[212:213]
	v_mul_f64 v[52:53], v[194:195], v[212:213]
	v_fma_f64 v[10:11], v[194:195], v[210:211], -v[10:11]
	v_fmac_f64_e32 v[52:53], v[196:197], v[210:211]
	v_add_f64 v[10:11], v[2:3], v[10:11]
	v_add_f64 v[52:53], v[4:5], v[52:53]
	scratch_load_dwordx4 v[2:5], off, s15
	s_add_i32 s15, s14, 0x70
	s_waitcnt vmcnt(0) lgkmcnt(2)
	v_mul_f64 v[194:195], v[200:201], v[4:5]
	v_mul_f64 v[4:5], v[198:199], v[4:5]
	v_fmac_f64_e32 v[4:5], v[200:201], v[2:3]
	v_fma_f64 v[194:195], v[198:199], v[2:3], -v[194:195]
	v_add_f64 v[52:53], v[52:53], v[4:5]
	scratch_load_dwordx4 v[2:5], off, s15
	v_add_f64 v[10:11], v[10:11], v[194:195]
	s_add_i32 s15, s14, 0x80
	s_waitcnt vmcnt(0) lgkmcnt(1)
	v_mul_f64 v[194:195], v[204:205], v[4:5]
	v_mul_f64 v[4:5], v[202:203], v[4:5]
	v_fmac_f64_e32 v[4:5], v[204:205], v[2:3]
	v_fma_f64 v[194:195], v[202:203], v[2:3], -v[194:195]
	v_add_f64 v[52:53], v[52:53], v[4:5]
	scratch_load_dwordx4 v[2:5], off, s15
	v_add_f64 v[10:11], v[10:11], v[194:195]
	s_add_i32 s15, s14, 0x90
	s_waitcnt vmcnt(0) lgkmcnt(0)
	v_mul_f64 v[194:195], v[208:209], v[4:5]
	v_fma_f64 v[194:195], v[206:207], v[2:3], -v[194:195]
	v_add_f64 v[10:11], v[10:11], v[194:195]
	scratch_load_dwordx4 v[194:197], off, s15
	v_mul_f64 v[4:5], v[206:207], v[4:5]
	v_fmac_f64_e32 v[4:5], v[208:209], v[2:3]
	v_add_f64 v[52:53], v[52:53], v[4:5]
	ds_read_b128 v[2:5], v49 offset:1120
	s_add_i32 s15, s14, 0xa0
	s_waitcnt vmcnt(0) lgkmcnt(0)
	v_mul_f64 v[198:199], v[4:5], v[196:197]
	v_fma_f64 v[198:199], v[2:3], v[194:195], -v[198:199]
	v_mul_f64 v[2:3], v[2:3], v[196:197]
	v_fmac_f64_e32 v[2:3], v[4:5], v[194:195]
	scratch_load_dwordx4 v[194:197], off, s15
	v_add_f64 v[52:53], v[52:53], v[2:3]
	ds_read_b128 v[2:5], v49 offset:1136
	v_add_f64 v[10:11], v[10:11], v[198:199]
	s_add_i32 s15, s14, 0xb0
	s_addk_i32 s14, 0xc0
	s_waitcnt vmcnt(0) lgkmcnt(0)
	v_mul_f64 v[198:199], v[4:5], v[196:197]
	v_fma_f64 v[198:199], v[2:3], v[194:195], -v[198:199]
	v_mul_f64 v[2:3], v[2:3], v[196:197]
	v_fmac_f64_e32 v[2:3], v[4:5], v[194:195]
	scratch_load_dwordx4 v[194:197], off, s15
	v_add_f64 v[52:53], v[52:53], v[2:3]
	ds_read_b128 v[2:5], v49 offset:1152
	v_add_f64 v[10:11], v[10:11], v[198:199]
	s_waitcnt vmcnt(0) lgkmcnt(0)
	v_mul_f64 v[198:199], v[4:5], v[196:197]
	v_fma_f64 v[198:199], v[2:3], v[194:195], -v[198:199]
	v_mul_f64 v[2:3], v[2:3], v[196:197]
	v_fmac_f64_e32 v[2:3], v[4:5], v[194:195]
	scratch_load_dwordx4 v[194:197], off, s14
	v_add_f64 v[52:53], v[52:53], v[2:3]
	ds_read_b128 v[2:5], v49 offset:1168
	v_add_f64 v[10:11], v[10:11], v[198:199]
	s_add_i32 s14, s13, 8
	v_cmp_eq_u32_e32 vcc, s14, v7
	s_add_i32 s13, s13, 13
	s_or_b64 s[10:11], vcc, s[10:11]
	v_mov_b32_e32 v193, s13
	s_mov_b32 s13, s14
	s_waitcnt vmcnt(0) lgkmcnt(0)
	v_mul_f64 v[198:199], v[4:5], v[196:197]
	v_mul_f64 v[196:197], v[2:3], v[196:197]
	v_fma_f64 v[198:199], v[2:3], v[194:195], -v[198:199]
	v_fmac_f64_e32 v[196:197], v[4:5], v[194:195]
	v_add_f64 v[2:3], v[10:11], v[198:199]
	v_add_f64 v[4:5], v[52:53], v[196:197]
	s_andn2_b64 exec, exec, s[10:11]
	s_cbranch_execnz .LBB124_767
; %bb.768:
	s_or_b64 exec, exec, s[10:11]
.LBB124_769:
	s_or_b64 exec, exec, s[2:3]
	v_and_b32_e32 v6, 7, v6
	v_cmp_ne_u32_e32 vcc, 0, v6
	s_and_saveexec_b64 s[2:3], vcc
	s_cbranch_execz .LBB124_773
; %bb.770:
	v_lshlrev_b32_e32 v10, 4, v193
	v_add_u32_e32 v7, 0x3d0, v10
	v_add_u32_e32 v192, 0, v10
	s_mov_b64 s[10:11], 0
.LBB124_771:                            ; =>This Inner Loop Header: Depth=1
	scratch_load_dwordx4 v[194:197], v192, off
	ds_read_b128 v[198:201], v7
	v_add_u32_e32 v6, -1, v6
	v_cmp_eq_u32_e32 vcc, 0, v6
	v_add_u32_e32 v7, 16, v7
	v_add_u32_e32 v192, 16, v192
	s_or_b64 s[10:11], vcc, s[10:11]
	s_waitcnt vmcnt(0) lgkmcnt(0)
	v_mul_f64 v[10:11], v[200:201], v[196:197]
	v_mul_f64 v[52:53], v[198:199], v[196:197]
	v_fma_f64 v[10:11], v[198:199], v[194:195], -v[10:11]
	v_fmac_f64_e32 v[52:53], v[200:201], v[194:195]
	v_add_f64 v[2:3], v[2:3], v[10:11]
	v_add_f64 v[4:5], v[4:5], v[52:53]
	s_andn2_b64 exec, exec, s[10:11]
	s_cbranch_execnz .LBB124_771
; %bb.772:
	s_or_b64 exec, exec, s[10:11]
.LBB124_773:
	s_or_b64 exec, exec, s[2:3]
.LBB124_774:
	s_or_b64 exec, exec, s[8:9]
	v_mov_b32_e32 v6, 0
	ds_read_b128 v[192:195], v6 offset:64
	s_waitcnt lgkmcnt(0)
	v_mul_f64 v[6:7], v[4:5], v[194:195]
	v_mul_f64 v[196:197], v[2:3], v[194:195]
	v_fma_f64 v[194:195], v[2:3], v[192:193], -v[6:7]
	v_fmac_f64_e32 v[196:197], v[4:5], v[192:193]
	scratch_store_dwordx4 off, v[194:197], off offset:64
.LBB124_775:
	s_or_b64 exec, exec, s[4:5]
	scratch_load_dwordx4 v[2:5], v189, off
	v_cmp_lt_u32_e64 s[2:3], 3, v0
	s_waitcnt vmcnt(0)
	ds_write_b128 v9, v[2:5]
	s_waitcnt lgkmcnt(0)
	; wave barrier
	s_waitcnt lgkmcnt(0)
	s_and_saveexec_b64 s[4:5], s[2:3]
	s_cbranch_execz .LBB124_789
; %bb.776:
	ds_read_b128 v[2:5], v9
	s_andn2_b64 vcc, exec, s[6:7]
	s_cbranch_vccnz .LBB124_778
; %bb.777:
	scratch_load_dwordx4 v[192:195], v8, off
	s_waitcnt vmcnt(0) lgkmcnt(0)
	v_mul_f64 v[10:11], v[2:3], v[194:195]
	v_mul_f64 v[6:7], v[4:5], v[194:195]
	v_fmac_f64_e32 v[10:11], v[4:5], v[192:193]
	v_fma_f64 v[2:3], v[2:3], v[192:193], -v[6:7]
	v_mov_b64_e32 v[4:5], v[10:11]
.LBB124_778:
	s_and_saveexec_b64 s[8:9], s[0:1]
	s_cbranch_execz .LBB124_788
; %bb.779:
	v_add_u32_e32 v7, -5, v0
	v_add_u32_e32 v6, -4, v0
	v_cmp_lt_u32_e32 vcc, 6, v7
	v_mov_b32_e32 v193, 4
	s_and_saveexec_b64 s[0:1], vcc
	s_cbranch_execz .LBB124_783
; %bb.780:
	v_and_b32_e32 v7, -8, v6
	s_mov_b32 s12, 0
	s_mov_b64 s[10:11], 0
	v_mov_b32_e32 v192, 0
	s_mov_b32 s13, 0
.LBB124_781:                            ; =>This Inner Loop Header: Depth=1
	v_readfirstlane_b32 s14, v192
	s_add_i32 s14, s14, s12
	s_add_i32 s15, s14, 64
	v_mov_b32_e32 v49, s12
	ds_read_b128 v[194:197], v49 offset:1040
	ds_read_b128 v[198:201], v49 offset:1056
	;; [unrolled: 1-line block ×4, first 2 shown]
	scratch_load_dwordx4 v[210:213], off, s15
	s_add_i32 s15, s14, 0x50
	s_addk_i32 s12, 0x80
	s_waitcnt vmcnt(0) lgkmcnt(3)
	v_mul_f64 v[10:11], v[196:197], v[212:213]
	v_mul_f64 v[52:53], v[194:195], v[212:213]
	v_fma_f64 v[10:11], v[194:195], v[210:211], -v[10:11]
	v_fmac_f64_e32 v[52:53], v[196:197], v[210:211]
	v_add_f64 v[10:11], v[2:3], v[10:11]
	v_add_f64 v[52:53], v[4:5], v[52:53]
	scratch_load_dwordx4 v[2:5], off, s15
	s_add_i32 s15, s14, 0x60
	s_waitcnt vmcnt(0) lgkmcnt(2)
	v_mul_f64 v[194:195], v[200:201], v[4:5]
	v_mul_f64 v[4:5], v[198:199], v[4:5]
	v_fmac_f64_e32 v[4:5], v[200:201], v[2:3]
	v_fma_f64 v[194:195], v[198:199], v[2:3], -v[194:195]
	v_add_f64 v[52:53], v[52:53], v[4:5]
	scratch_load_dwordx4 v[2:5], off, s15
	v_add_f64 v[10:11], v[10:11], v[194:195]
	s_add_i32 s15, s14, 0x70
	s_waitcnt vmcnt(0) lgkmcnt(1)
	v_mul_f64 v[194:195], v[204:205], v[4:5]
	v_mul_f64 v[4:5], v[202:203], v[4:5]
	v_fmac_f64_e32 v[4:5], v[204:205], v[2:3]
	v_fma_f64 v[194:195], v[202:203], v[2:3], -v[194:195]
	v_add_f64 v[52:53], v[52:53], v[4:5]
	scratch_load_dwordx4 v[2:5], off, s15
	v_add_f64 v[10:11], v[10:11], v[194:195]
	s_add_i32 s15, s14, 0x80
	s_waitcnt vmcnt(0) lgkmcnt(0)
	v_mul_f64 v[194:195], v[208:209], v[4:5]
	v_fma_f64 v[194:195], v[206:207], v[2:3], -v[194:195]
	v_add_f64 v[10:11], v[10:11], v[194:195]
	scratch_load_dwordx4 v[194:197], off, s15
	v_mul_f64 v[4:5], v[206:207], v[4:5]
	v_fmac_f64_e32 v[4:5], v[208:209], v[2:3]
	v_add_f64 v[52:53], v[52:53], v[4:5]
	ds_read_b128 v[2:5], v49 offset:1104
	s_add_i32 s15, s14, 0x90
	s_waitcnt vmcnt(0) lgkmcnt(0)
	v_mul_f64 v[198:199], v[4:5], v[196:197]
	v_fma_f64 v[198:199], v[2:3], v[194:195], -v[198:199]
	v_mul_f64 v[2:3], v[2:3], v[196:197]
	v_fmac_f64_e32 v[2:3], v[4:5], v[194:195]
	scratch_load_dwordx4 v[194:197], off, s15
	v_add_f64 v[52:53], v[52:53], v[2:3]
	ds_read_b128 v[2:5], v49 offset:1120
	v_add_f64 v[10:11], v[10:11], v[198:199]
	s_add_i32 s15, s14, 0xa0
	s_addk_i32 s14, 0xb0
	s_waitcnt vmcnt(0) lgkmcnt(0)
	v_mul_f64 v[198:199], v[4:5], v[196:197]
	v_fma_f64 v[198:199], v[2:3], v[194:195], -v[198:199]
	v_mul_f64 v[2:3], v[2:3], v[196:197]
	v_fmac_f64_e32 v[2:3], v[4:5], v[194:195]
	scratch_load_dwordx4 v[194:197], off, s15
	v_add_f64 v[52:53], v[52:53], v[2:3]
	ds_read_b128 v[2:5], v49 offset:1136
	v_add_f64 v[10:11], v[10:11], v[198:199]
	s_waitcnt vmcnt(0) lgkmcnt(0)
	v_mul_f64 v[198:199], v[4:5], v[196:197]
	v_fma_f64 v[198:199], v[2:3], v[194:195], -v[198:199]
	v_mul_f64 v[2:3], v[2:3], v[196:197]
	v_fmac_f64_e32 v[2:3], v[4:5], v[194:195]
	scratch_load_dwordx4 v[194:197], off, s14
	v_add_f64 v[52:53], v[52:53], v[2:3]
	ds_read_b128 v[2:5], v49 offset:1152
	v_add_f64 v[10:11], v[10:11], v[198:199]
	s_add_i32 s14, s13, 8
	v_cmp_eq_u32_e32 vcc, s14, v7
	s_add_i32 s13, s13, 12
	s_or_b64 s[10:11], vcc, s[10:11]
	v_mov_b32_e32 v193, s13
	s_mov_b32 s13, s14
	s_waitcnt vmcnt(0) lgkmcnt(0)
	v_mul_f64 v[198:199], v[4:5], v[196:197]
	v_mul_f64 v[196:197], v[2:3], v[196:197]
	v_fma_f64 v[198:199], v[2:3], v[194:195], -v[198:199]
	v_fmac_f64_e32 v[196:197], v[4:5], v[194:195]
	v_add_f64 v[2:3], v[10:11], v[198:199]
	v_add_f64 v[4:5], v[52:53], v[196:197]
	s_andn2_b64 exec, exec, s[10:11]
	s_cbranch_execnz .LBB124_781
; %bb.782:
	s_or_b64 exec, exec, s[10:11]
.LBB124_783:
	s_or_b64 exec, exec, s[0:1]
	v_and_b32_e32 v6, 7, v6
	v_cmp_ne_u32_e32 vcc, 0, v6
	s_and_saveexec_b64 s[0:1], vcc
	s_cbranch_execz .LBB124_787
; %bb.784:
	v_lshlrev_b32_e32 v10, 4, v193
	v_add_u32_e32 v7, 0x3d0, v10
	v_add_u32_e32 v192, 0, v10
	s_mov_b64 s[10:11], 0
.LBB124_785:                            ; =>This Inner Loop Header: Depth=1
	scratch_load_dwordx4 v[194:197], v192, off
	ds_read_b128 v[198:201], v7
	v_add_u32_e32 v6, -1, v6
	v_cmp_eq_u32_e32 vcc, 0, v6
	v_add_u32_e32 v7, 16, v7
	v_add_u32_e32 v192, 16, v192
	s_or_b64 s[10:11], vcc, s[10:11]
	s_waitcnt vmcnt(0) lgkmcnt(0)
	v_mul_f64 v[10:11], v[200:201], v[196:197]
	v_mul_f64 v[52:53], v[198:199], v[196:197]
	v_fma_f64 v[10:11], v[198:199], v[194:195], -v[10:11]
	v_fmac_f64_e32 v[52:53], v[200:201], v[194:195]
	v_add_f64 v[2:3], v[2:3], v[10:11]
	v_add_f64 v[4:5], v[4:5], v[52:53]
	s_andn2_b64 exec, exec, s[10:11]
	s_cbranch_execnz .LBB124_785
; %bb.786:
	s_or_b64 exec, exec, s[10:11]
.LBB124_787:
	s_or_b64 exec, exec, s[0:1]
.LBB124_788:
	s_or_b64 exec, exec, s[8:9]
	v_mov_b32_e32 v6, 0
	ds_read_b128 v[192:195], v6 offset:48
	s_waitcnt lgkmcnt(0)
	v_mul_f64 v[6:7], v[4:5], v[194:195]
	v_mul_f64 v[196:197], v[2:3], v[194:195]
	v_fma_f64 v[194:195], v[2:3], v[192:193], -v[6:7]
	v_fmac_f64_e32 v[196:197], v[4:5], v[192:193]
	scratch_store_dwordx4 off, v[194:197], off offset:48
.LBB124_789:
	s_or_b64 exec, exec, s[4:5]
	scratch_load_dwordx4 v[2:5], v190, off
	v_cmp_lt_u32_e64 s[4:5], 2, v0
	s_waitcnt vmcnt(0)
	ds_write_b128 v9, v[2:5]
	s_waitcnt lgkmcnt(0)
	; wave barrier
	s_waitcnt lgkmcnt(0)
	s_and_saveexec_b64 s[0:1], s[4:5]
	s_cbranch_execz .LBB124_803
; %bb.790:
	ds_read_b128 v[2:5], v9
	s_andn2_b64 vcc, exec, s[6:7]
	s_cbranch_vccnz .LBB124_792
; %bb.791:
	scratch_load_dwordx4 v[192:195], v8, off
	s_waitcnt vmcnt(0) lgkmcnt(0)
	v_mul_f64 v[10:11], v[2:3], v[194:195]
	v_mul_f64 v[6:7], v[4:5], v[194:195]
	v_fmac_f64_e32 v[10:11], v[4:5], v[192:193]
	v_fma_f64 v[2:3], v[2:3], v[192:193], -v[6:7]
	v_mov_b64_e32 v[4:5], v[10:11]
.LBB124_792:
	s_and_saveexec_b64 s[8:9], s[2:3]
	s_cbranch_execz .LBB124_802
; %bb.793:
	v_add_u32_e32 v7, -4, v0
	v_add_u32_e32 v6, -3, v0
	v_cmp_lt_u32_e32 vcc, 6, v7
	v_mov_b32_e32 v193, 3
	s_and_saveexec_b64 s[2:3], vcc
	s_cbranch_execz .LBB124_797
; %bb.794:
	v_and_b32_e32 v7, -8, v6
	s_mov_b32 s12, 0
	s_mov_b64 s[10:11], 0
	v_mov_b32_e32 v192, 0
	s_mov_b32 s13, 0
.LBB124_795:                            ; =>This Inner Loop Header: Depth=1
	v_readfirstlane_b32 s14, v192
	s_add_i32 s14, s14, s12
	s_add_i32 s15, s14, 48
	v_mov_b32_e32 v49, s12
	ds_read_b128 v[194:197], v49 offset:1024
	ds_read_b128 v[198:201], v49 offset:1040
	;; [unrolled: 1-line block ×4, first 2 shown]
	scratch_load_dwordx4 v[210:213], off, s15
	s_add_i32 s15, s14, 64
	s_addk_i32 s12, 0x80
	s_waitcnt vmcnt(0) lgkmcnt(3)
	v_mul_f64 v[10:11], v[196:197], v[212:213]
	v_mul_f64 v[52:53], v[194:195], v[212:213]
	v_fma_f64 v[10:11], v[194:195], v[210:211], -v[10:11]
	v_fmac_f64_e32 v[52:53], v[196:197], v[210:211]
	v_add_f64 v[10:11], v[2:3], v[10:11]
	v_add_f64 v[52:53], v[4:5], v[52:53]
	scratch_load_dwordx4 v[2:5], off, s15
	s_add_i32 s15, s14, 0x50
	s_waitcnt vmcnt(0) lgkmcnt(2)
	v_mul_f64 v[194:195], v[200:201], v[4:5]
	v_mul_f64 v[4:5], v[198:199], v[4:5]
	v_fmac_f64_e32 v[4:5], v[200:201], v[2:3]
	v_fma_f64 v[194:195], v[198:199], v[2:3], -v[194:195]
	v_add_f64 v[52:53], v[52:53], v[4:5]
	scratch_load_dwordx4 v[2:5], off, s15
	v_add_f64 v[10:11], v[10:11], v[194:195]
	s_add_i32 s15, s14, 0x60
	s_waitcnt vmcnt(0) lgkmcnt(1)
	v_mul_f64 v[194:195], v[204:205], v[4:5]
	v_mul_f64 v[4:5], v[202:203], v[4:5]
	v_fmac_f64_e32 v[4:5], v[204:205], v[2:3]
	v_fma_f64 v[194:195], v[202:203], v[2:3], -v[194:195]
	v_add_f64 v[52:53], v[52:53], v[4:5]
	scratch_load_dwordx4 v[2:5], off, s15
	v_add_f64 v[10:11], v[10:11], v[194:195]
	s_add_i32 s15, s14, 0x70
	s_waitcnt vmcnt(0) lgkmcnt(0)
	v_mul_f64 v[194:195], v[208:209], v[4:5]
	v_fma_f64 v[194:195], v[206:207], v[2:3], -v[194:195]
	v_add_f64 v[10:11], v[10:11], v[194:195]
	scratch_load_dwordx4 v[194:197], off, s15
	v_mul_f64 v[4:5], v[206:207], v[4:5]
	v_fmac_f64_e32 v[4:5], v[208:209], v[2:3]
	v_add_f64 v[52:53], v[52:53], v[4:5]
	ds_read_b128 v[2:5], v49 offset:1088
	s_add_i32 s15, s14, 0x80
	s_waitcnt vmcnt(0) lgkmcnt(0)
	v_mul_f64 v[198:199], v[4:5], v[196:197]
	v_fma_f64 v[198:199], v[2:3], v[194:195], -v[198:199]
	v_mul_f64 v[2:3], v[2:3], v[196:197]
	v_fmac_f64_e32 v[2:3], v[4:5], v[194:195]
	scratch_load_dwordx4 v[194:197], off, s15
	v_add_f64 v[52:53], v[52:53], v[2:3]
	ds_read_b128 v[2:5], v49 offset:1104
	v_add_f64 v[10:11], v[10:11], v[198:199]
	s_add_i32 s15, s14, 0x90
	s_addk_i32 s14, 0xa0
	s_waitcnt vmcnt(0) lgkmcnt(0)
	v_mul_f64 v[198:199], v[4:5], v[196:197]
	v_fma_f64 v[198:199], v[2:3], v[194:195], -v[198:199]
	v_mul_f64 v[2:3], v[2:3], v[196:197]
	v_fmac_f64_e32 v[2:3], v[4:5], v[194:195]
	scratch_load_dwordx4 v[194:197], off, s15
	v_add_f64 v[52:53], v[52:53], v[2:3]
	ds_read_b128 v[2:5], v49 offset:1120
	v_add_f64 v[10:11], v[10:11], v[198:199]
	s_waitcnt vmcnt(0) lgkmcnt(0)
	v_mul_f64 v[198:199], v[4:5], v[196:197]
	v_fma_f64 v[198:199], v[2:3], v[194:195], -v[198:199]
	v_mul_f64 v[2:3], v[2:3], v[196:197]
	v_fmac_f64_e32 v[2:3], v[4:5], v[194:195]
	scratch_load_dwordx4 v[194:197], off, s14
	v_add_f64 v[52:53], v[52:53], v[2:3]
	ds_read_b128 v[2:5], v49 offset:1136
	v_add_f64 v[10:11], v[10:11], v[198:199]
	s_add_i32 s14, s13, 8
	v_cmp_eq_u32_e32 vcc, s14, v7
	s_add_i32 s13, s13, 11
	s_or_b64 s[10:11], vcc, s[10:11]
	v_mov_b32_e32 v193, s13
	s_mov_b32 s13, s14
	s_waitcnt vmcnt(0) lgkmcnt(0)
	v_mul_f64 v[198:199], v[4:5], v[196:197]
	v_mul_f64 v[196:197], v[2:3], v[196:197]
	v_fma_f64 v[198:199], v[2:3], v[194:195], -v[198:199]
	v_fmac_f64_e32 v[196:197], v[4:5], v[194:195]
	v_add_f64 v[2:3], v[10:11], v[198:199]
	v_add_f64 v[4:5], v[52:53], v[196:197]
	s_andn2_b64 exec, exec, s[10:11]
	s_cbranch_execnz .LBB124_795
; %bb.796:
	s_or_b64 exec, exec, s[10:11]
.LBB124_797:
	s_or_b64 exec, exec, s[2:3]
	v_and_b32_e32 v6, 7, v6
	v_cmp_ne_u32_e32 vcc, 0, v6
	s_and_saveexec_b64 s[2:3], vcc
	s_cbranch_execz .LBB124_801
; %bb.798:
	v_lshlrev_b32_e32 v10, 4, v193
	v_add_u32_e32 v7, 0x3d0, v10
	v_add_u32_e32 v192, 0, v10
	s_mov_b64 s[10:11], 0
.LBB124_799:                            ; =>This Inner Loop Header: Depth=1
	scratch_load_dwordx4 v[194:197], v192, off
	ds_read_b128 v[198:201], v7
	v_add_u32_e32 v6, -1, v6
	v_cmp_eq_u32_e32 vcc, 0, v6
	v_add_u32_e32 v7, 16, v7
	v_add_u32_e32 v192, 16, v192
	s_or_b64 s[10:11], vcc, s[10:11]
	s_waitcnt vmcnt(0) lgkmcnt(0)
	v_mul_f64 v[10:11], v[200:201], v[196:197]
	v_mul_f64 v[52:53], v[198:199], v[196:197]
	v_fma_f64 v[10:11], v[198:199], v[194:195], -v[10:11]
	v_fmac_f64_e32 v[52:53], v[200:201], v[194:195]
	v_add_f64 v[2:3], v[2:3], v[10:11]
	v_add_f64 v[4:5], v[4:5], v[52:53]
	s_andn2_b64 exec, exec, s[10:11]
	s_cbranch_execnz .LBB124_799
; %bb.800:
	s_or_b64 exec, exec, s[10:11]
.LBB124_801:
	s_or_b64 exec, exec, s[2:3]
.LBB124_802:
	s_or_b64 exec, exec, s[8:9]
	v_mov_b32_e32 v6, 0
	ds_read_b128 v[192:195], v6 offset:32
	s_waitcnt lgkmcnt(0)
	v_mul_f64 v[6:7], v[4:5], v[194:195]
	v_mul_f64 v[196:197], v[2:3], v[194:195]
	v_fma_f64 v[194:195], v[2:3], v[192:193], -v[6:7]
	v_fmac_f64_e32 v[196:197], v[4:5], v[192:193]
	scratch_store_dwordx4 off, v[194:197], off offset:32
.LBB124_803:
	s_or_b64 exec, exec, s[0:1]
	scratch_load_dwordx4 v[2:5], v191, off
	v_cmp_lt_u32_e64 s[0:1], 1, v0
	s_waitcnt vmcnt(0)
	ds_write_b128 v9, v[2:5]
	s_waitcnt lgkmcnt(0)
	; wave barrier
	s_waitcnt lgkmcnt(0)
	s_and_saveexec_b64 s[2:3], s[0:1]
	s_cbranch_execz .LBB124_817
; %bb.804:
	ds_read_b128 v[2:5], v9
	s_andn2_b64 vcc, exec, s[6:7]
	s_cbranch_vccnz .LBB124_806
; %bb.805:
	scratch_load_dwordx4 v[192:195], v8, off
	s_waitcnt vmcnt(0) lgkmcnt(0)
	v_mul_f64 v[10:11], v[2:3], v[194:195]
	v_mul_f64 v[6:7], v[4:5], v[194:195]
	v_fmac_f64_e32 v[10:11], v[4:5], v[192:193]
	v_fma_f64 v[2:3], v[2:3], v[192:193], -v[6:7]
	v_mov_b64_e32 v[4:5], v[10:11]
.LBB124_806:
	s_and_saveexec_b64 s[8:9], s[4:5]
	s_cbranch_execz .LBB124_816
; %bb.807:
	v_add_u32_e32 v7, -3, v0
	v_add_u32_e32 v6, -2, v0
	v_cmp_lt_u32_e32 vcc, 6, v7
	v_mov_b32_e32 v193, 2
	s_and_saveexec_b64 s[4:5], vcc
	s_cbranch_execz .LBB124_811
; %bb.808:
	v_and_b32_e32 v7, -8, v6
	s_mov_b32 s12, 0
	s_mov_b64 s[10:11], 0
	v_mov_b32_e32 v192, 0
	s_mov_b32 s13, 0
.LBB124_809:                            ; =>This Inner Loop Header: Depth=1
	v_readfirstlane_b32 s14, v192
	s_add_i32 s14, s14, s12
	s_add_i32 s15, s14, 32
	v_mov_b32_e32 v49, s12
	ds_read_b128 v[194:197], v49 offset:1008
	ds_read_b128 v[198:201], v49 offset:1024
	;; [unrolled: 1-line block ×4, first 2 shown]
	scratch_load_dwordx4 v[210:213], off, s15
	s_add_i32 s15, s14, 48
	s_addk_i32 s12, 0x80
	s_waitcnt vmcnt(0) lgkmcnt(3)
	v_mul_f64 v[10:11], v[196:197], v[212:213]
	v_mul_f64 v[52:53], v[194:195], v[212:213]
	v_fma_f64 v[10:11], v[194:195], v[210:211], -v[10:11]
	v_fmac_f64_e32 v[52:53], v[196:197], v[210:211]
	v_add_f64 v[10:11], v[2:3], v[10:11]
	v_add_f64 v[52:53], v[4:5], v[52:53]
	scratch_load_dwordx4 v[2:5], off, s15
	s_add_i32 s15, s14, 64
	s_waitcnt vmcnt(0) lgkmcnt(2)
	v_mul_f64 v[194:195], v[200:201], v[4:5]
	v_mul_f64 v[4:5], v[198:199], v[4:5]
	v_fmac_f64_e32 v[4:5], v[200:201], v[2:3]
	v_fma_f64 v[194:195], v[198:199], v[2:3], -v[194:195]
	v_add_f64 v[52:53], v[52:53], v[4:5]
	scratch_load_dwordx4 v[2:5], off, s15
	v_add_f64 v[10:11], v[10:11], v[194:195]
	s_add_i32 s15, s14, 0x50
	s_waitcnt vmcnt(0) lgkmcnt(1)
	v_mul_f64 v[194:195], v[204:205], v[4:5]
	v_mul_f64 v[4:5], v[202:203], v[4:5]
	v_fmac_f64_e32 v[4:5], v[204:205], v[2:3]
	v_fma_f64 v[194:195], v[202:203], v[2:3], -v[194:195]
	v_add_f64 v[52:53], v[52:53], v[4:5]
	scratch_load_dwordx4 v[2:5], off, s15
	v_add_f64 v[10:11], v[10:11], v[194:195]
	s_add_i32 s15, s14, 0x60
	s_waitcnt vmcnt(0) lgkmcnt(0)
	v_mul_f64 v[194:195], v[208:209], v[4:5]
	v_fma_f64 v[194:195], v[206:207], v[2:3], -v[194:195]
	v_add_f64 v[10:11], v[10:11], v[194:195]
	scratch_load_dwordx4 v[194:197], off, s15
	v_mul_f64 v[4:5], v[206:207], v[4:5]
	v_fmac_f64_e32 v[4:5], v[208:209], v[2:3]
	v_add_f64 v[52:53], v[52:53], v[4:5]
	ds_read_b128 v[2:5], v49 offset:1072
	s_add_i32 s15, s14, 0x70
	s_waitcnt vmcnt(0) lgkmcnt(0)
	v_mul_f64 v[198:199], v[4:5], v[196:197]
	v_fma_f64 v[198:199], v[2:3], v[194:195], -v[198:199]
	v_mul_f64 v[2:3], v[2:3], v[196:197]
	v_fmac_f64_e32 v[2:3], v[4:5], v[194:195]
	scratch_load_dwordx4 v[194:197], off, s15
	v_add_f64 v[52:53], v[52:53], v[2:3]
	ds_read_b128 v[2:5], v49 offset:1088
	v_add_f64 v[10:11], v[10:11], v[198:199]
	s_add_i32 s15, s14, 0x80
	s_addk_i32 s14, 0x90
	s_waitcnt vmcnt(0) lgkmcnt(0)
	v_mul_f64 v[198:199], v[4:5], v[196:197]
	v_fma_f64 v[198:199], v[2:3], v[194:195], -v[198:199]
	v_mul_f64 v[2:3], v[2:3], v[196:197]
	v_fmac_f64_e32 v[2:3], v[4:5], v[194:195]
	scratch_load_dwordx4 v[194:197], off, s15
	v_add_f64 v[52:53], v[52:53], v[2:3]
	ds_read_b128 v[2:5], v49 offset:1104
	v_add_f64 v[10:11], v[10:11], v[198:199]
	s_waitcnt vmcnt(0) lgkmcnt(0)
	v_mul_f64 v[198:199], v[4:5], v[196:197]
	v_fma_f64 v[198:199], v[2:3], v[194:195], -v[198:199]
	v_mul_f64 v[2:3], v[2:3], v[196:197]
	v_fmac_f64_e32 v[2:3], v[4:5], v[194:195]
	scratch_load_dwordx4 v[194:197], off, s14
	v_add_f64 v[52:53], v[52:53], v[2:3]
	ds_read_b128 v[2:5], v49 offset:1120
	v_add_f64 v[10:11], v[10:11], v[198:199]
	s_add_i32 s14, s13, 8
	v_cmp_eq_u32_e32 vcc, s14, v7
	s_add_i32 s13, s13, 10
	s_or_b64 s[10:11], vcc, s[10:11]
	v_mov_b32_e32 v193, s13
	s_mov_b32 s13, s14
	s_waitcnt vmcnt(0) lgkmcnt(0)
	v_mul_f64 v[198:199], v[4:5], v[196:197]
	v_mul_f64 v[196:197], v[2:3], v[196:197]
	v_fma_f64 v[198:199], v[2:3], v[194:195], -v[198:199]
	v_fmac_f64_e32 v[196:197], v[4:5], v[194:195]
	v_add_f64 v[2:3], v[10:11], v[198:199]
	v_add_f64 v[4:5], v[52:53], v[196:197]
	s_andn2_b64 exec, exec, s[10:11]
	s_cbranch_execnz .LBB124_809
; %bb.810:
	s_or_b64 exec, exec, s[10:11]
.LBB124_811:
	s_or_b64 exec, exec, s[4:5]
	v_and_b32_e32 v6, 7, v6
	v_cmp_ne_u32_e32 vcc, 0, v6
	s_and_saveexec_b64 s[4:5], vcc
	s_cbranch_execz .LBB124_815
; %bb.812:
	v_lshlrev_b32_e32 v10, 4, v193
	v_add_u32_e32 v7, 0x3d0, v10
	v_add_u32_e32 v192, 0, v10
	s_mov_b64 s[10:11], 0
.LBB124_813:                            ; =>This Inner Loop Header: Depth=1
	scratch_load_dwordx4 v[194:197], v192, off
	ds_read_b128 v[198:201], v7
	v_add_u32_e32 v6, -1, v6
	v_cmp_eq_u32_e32 vcc, 0, v6
	v_add_u32_e32 v7, 16, v7
	v_add_u32_e32 v192, 16, v192
	s_or_b64 s[10:11], vcc, s[10:11]
	s_waitcnt vmcnt(0) lgkmcnt(0)
	v_mul_f64 v[10:11], v[200:201], v[196:197]
	v_mul_f64 v[52:53], v[198:199], v[196:197]
	v_fma_f64 v[10:11], v[198:199], v[194:195], -v[10:11]
	v_fmac_f64_e32 v[52:53], v[200:201], v[194:195]
	v_add_f64 v[2:3], v[2:3], v[10:11]
	v_add_f64 v[4:5], v[4:5], v[52:53]
	s_andn2_b64 exec, exec, s[10:11]
	s_cbranch_execnz .LBB124_813
; %bb.814:
	s_or_b64 exec, exec, s[10:11]
.LBB124_815:
	s_or_b64 exec, exec, s[4:5]
.LBB124_816:
	s_or_b64 exec, exec, s[8:9]
	v_mov_b32_e32 v6, 0
	ds_read_b128 v[192:195], v6 offset:16
	s_waitcnt lgkmcnt(0)
	v_mul_f64 v[6:7], v[4:5], v[194:195]
	v_mul_f64 v[196:197], v[2:3], v[194:195]
	v_fma_f64 v[194:195], v[2:3], v[192:193], -v[6:7]
	v_fmac_f64_e32 v[196:197], v[4:5], v[192:193]
	scratch_store_dwordx4 off, v[194:197], off offset:16
.LBB124_817:
	s_or_b64 exec, exec, s[2:3]
	scratch_load_dwordx4 v[2:5], off, off
	v_cmp_ne_u32_e32 vcc, 0, v0
	s_mov_b64 s[2:3], 0
	s_mov_b64 s[10:11], 0
                                        ; implicit-def: $vgpr6_vgpr7
                                        ; implicit-def: $vgpr192
	s_waitcnt vmcnt(0)
	ds_write_b128 v9, v[2:5]
	s_waitcnt lgkmcnt(0)
	; wave barrier
	s_waitcnt lgkmcnt(0)
	s_and_saveexec_b64 s[4:5], vcc
	s_cbranch_execz .LBB124_831
; %bb.818:
	ds_read_b128 v[2:5], v9
	s_andn2_b64 vcc, exec, s[6:7]
	s_cbranch_vccnz .LBB124_820
; %bb.819:
	scratch_load_dwordx4 v[192:195], v8, off
	s_waitcnt vmcnt(0) lgkmcnt(0)
	v_mul_f64 v[10:11], v[2:3], v[194:195]
	v_mul_f64 v[6:7], v[4:5], v[194:195]
	v_fmac_f64_e32 v[10:11], v[4:5], v[192:193]
	v_fma_f64 v[2:3], v[2:3], v[192:193], -v[6:7]
	v_mov_b64_e32 v[4:5], v[10:11]
.LBB124_820:
	s_and_saveexec_b64 s[8:9], s[0:1]
	s_cbranch_execz .LBB124_830
; %bb.821:
	v_add_u32_e32 v7, -2, v0
	v_add_u32_e32 v6, -1, v0
	v_cmp_lt_u32_e32 vcc, 6, v7
	v_mov_b32_e32 v193, 1
	s_and_saveexec_b64 s[0:1], vcc
	s_cbranch_execz .LBB124_825
; %bb.822:
	v_and_b32_e32 v7, -8, v6
	s_mov_b32 s12, 0
	v_mov_b32_e32 v192, 0
	s_mov_b32 s13, 0
.LBB124_823:                            ; =>This Inner Loop Header: Depth=1
	v_readfirstlane_b32 s14, v192
	s_add_i32 s14, s14, s12
	s_add_i32 s15, s14, 16
	v_mov_b32_e32 v49, s12
	ds_read_b128 v[194:197], v49 offset:992
	ds_read_b128 v[198:201], v49 offset:1008
	;; [unrolled: 1-line block ×4, first 2 shown]
	scratch_load_dwordx4 v[210:213], off, s15
	s_add_i32 s15, s14, 32
	s_addk_i32 s12, 0x80
	s_waitcnt vmcnt(0) lgkmcnt(3)
	v_mul_f64 v[10:11], v[196:197], v[212:213]
	v_mul_f64 v[52:53], v[194:195], v[212:213]
	v_fma_f64 v[10:11], v[194:195], v[210:211], -v[10:11]
	v_fmac_f64_e32 v[52:53], v[196:197], v[210:211]
	v_add_f64 v[10:11], v[2:3], v[10:11]
	v_add_f64 v[52:53], v[4:5], v[52:53]
	scratch_load_dwordx4 v[2:5], off, s15
	s_add_i32 s15, s14, 48
	s_waitcnt vmcnt(0) lgkmcnt(2)
	v_mul_f64 v[194:195], v[200:201], v[4:5]
	v_mul_f64 v[4:5], v[198:199], v[4:5]
	v_fmac_f64_e32 v[4:5], v[200:201], v[2:3]
	v_fma_f64 v[194:195], v[198:199], v[2:3], -v[194:195]
	v_add_f64 v[52:53], v[52:53], v[4:5]
	scratch_load_dwordx4 v[2:5], off, s15
	v_add_f64 v[10:11], v[10:11], v[194:195]
	s_add_i32 s15, s14, 64
	s_waitcnt vmcnt(0) lgkmcnt(1)
	v_mul_f64 v[194:195], v[204:205], v[4:5]
	v_mul_f64 v[4:5], v[202:203], v[4:5]
	v_fmac_f64_e32 v[4:5], v[204:205], v[2:3]
	v_fma_f64 v[194:195], v[202:203], v[2:3], -v[194:195]
	v_add_f64 v[52:53], v[52:53], v[4:5]
	scratch_load_dwordx4 v[2:5], off, s15
	v_add_f64 v[10:11], v[10:11], v[194:195]
	s_add_i32 s15, s14, 0x50
	s_waitcnt vmcnt(0) lgkmcnt(0)
	v_mul_f64 v[194:195], v[208:209], v[4:5]
	v_fma_f64 v[194:195], v[206:207], v[2:3], -v[194:195]
	v_add_f64 v[10:11], v[10:11], v[194:195]
	scratch_load_dwordx4 v[194:197], off, s15
	v_mul_f64 v[4:5], v[206:207], v[4:5]
	v_fmac_f64_e32 v[4:5], v[208:209], v[2:3]
	v_add_f64 v[52:53], v[52:53], v[4:5]
	ds_read_b128 v[2:5], v49 offset:1056
	s_add_i32 s15, s14, 0x60
	s_waitcnt vmcnt(0) lgkmcnt(0)
	v_mul_f64 v[198:199], v[4:5], v[196:197]
	v_fma_f64 v[198:199], v[2:3], v[194:195], -v[198:199]
	v_mul_f64 v[2:3], v[2:3], v[196:197]
	v_fmac_f64_e32 v[2:3], v[4:5], v[194:195]
	scratch_load_dwordx4 v[194:197], off, s15
	v_add_f64 v[52:53], v[52:53], v[2:3]
	ds_read_b128 v[2:5], v49 offset:1072
	v_add_f64 v[10:11], v[10:11], v[198:199]
	s_add_i32 s15, s14, 0x70
	s_addk_i32 s14, 0x80
	s_waitcnt vmcnt(0) lgkmcnt(0)
	v_mul_f64 v[198:199], v[4:5], v[196:197]
	v_fma_f64 v[198:199], v[2:3], v[194:195], -v[198:199]
	v_mul_f64 v[2:3], v[2:3], v[196:197]
	v_fmac_f64_e32 v[2:3], v[4:5], v[194:195]
	scratch_load_dwordx4 v[194:197], off, s15
	v_add_f64 v[52:53], v[52:53], v[2:3]
	ds_read_b128 v[2:5], v49 offset:1088
	v_add_f64 v[10:11], v[10:11], v[198:199]
	s_waitcnt vmcnt(0) lgkmcnt(0)
	v_mul_f64 v[198:199], v[4:5], v[196:197]
	v_fma_f64 v[198:199], v[2:3], v[194:195], -v[198:199]
	v_mul_f64 v[2:3], v[2:3], v[196:197]
	v_fmac_f64_e32 v[2:3], v[4:5], v[194:195]
	scratch_load_dwordx4 v[194:197], off, s14
	v_add_f64 v[52:53], v[52:53], v[2:3]
	ds_read_b128 v[2:5], v49 offset:1104
	v_add_f64 v[10:11], v[10:11], v[198:199]
	s_add_i32 s14, s13, 8
	v_cmp_eq_u32_e32 vcc, s14, v7
	s_add_i32 s13, s13, 9
	s_or_b64 s[10:11], vcc, s[10:11]
	v_mov_b32_e32 v193, s13
	s_mov_b32 s13, s14
	s_waitcnt vmcnt(0) lgkmcnt(0)
	v_mul_f64 v[198:199], v[4:5], v[196:197]
	v_mul_f64 v[196:197], v[2:3], v[196:197]
	v_fma_f64 v[198:199], v[2:3], v[194:195], -v[198:199]
	v_fmac_f64_e32 v[196:197], v[4:5], v[194:195]
	v_add_f64 v[2:3], v[10:11], v[198:199]
	v_add_f64 v[4:5], v[52:53], v[196:197]
	s_andn2_b64 exec, exec, s[10:11]
	s_cbranch_execnz .LBB124_823
; %bb.824:
	s_or_b64 exec, exec, s[10:11]
.LBB124_825:
	s_or_b64 exec, exec, s[0:1]
	v_and_b32_e32 v6, 7, v6
	v_cmp_ne_u32_e32 vcc, 0, v6
	s_and_saveexec_b64 s[0:1], vcc
	s_cbranch_execz .LBB124_829
; %bb.826:
	v_lshlrev_b32_e32 v10, 4, v193
	v_add_u32_e32 v7, 0x3d0, v10
	v_add_u32_e32 v192, 0, v10
	s_mov_b64 s[10:11], 0
.LBB124_827:                            ; =>This Inner Loop Header: Depth=1
	scratch_load_dwordx4 v[194:197], v192, off
	ds_read_b128 v[198:201], v7
	v_add_u32_e32 v6, -1, v6
	v_cmp_eq_u32_e32 vcc, 0, v6
	v_add_u32_e32 v7, 16, v7
	v_add_u32_e32 v192, 16, v192
	s_or_b64 s[10:11], vcc, s[10:11]
	s_waitcnt vmcnt(0) lgkmcnt(0)
	v_mul_f64 v[10:11], v[200:201], v[196:197]
	v_mul_f64 v[52:53], v[198:199], v[196:197]
	v_fma_f64 v[10:11], v[198:199], v[194:195], -v[10:11]
	v_fmac_f64_e32 v[52:53], v[200:201], v[194:195]
	v_add_f64 v[2:3], v[2:3], v[10:11]
	v_add_f64 v[4:5], v[4:5], v[52:53]
	s_andn2_b64 exec, exec, s[10:11]
	s_cbranch_execnz .LBB124_827
; %bb.828:
	s_or_b64 exec, exec, s[10:11]
.LBB124_829:
	s_or_b64 exec, exec, s[0:1]
.LBB124_830:
	s_or_b64 exec, exec, s[8:9]
	v_mov_b32_e32 v6, 0
	ds_read_b128 v[194:197], v6
	v_mov_b32_e32 v6, 0
	v_or_b32_e32 v192, 8, v6
	s_mov_b64 s[10:11], exec
	s_waitcnt lgkmcnt(0)
	v_mul_f64 v[10:11], v[4:5], v[196:197]
	v_mul_f64 v[6:7], v[2:3], v[196:197]
	v_fma_f64 v[2:3], v[2:3], v[194:195], -v[10:11]
	v_fmac_f64_e32 v[6:7], v[4:5], v[194:195]
	scratch_store_dwordx2 off, v[2:3], off
.LBB124_831:
	s_or_b64 exec, exec, s[4:5]
	s_and_b64 vcc, exec, s[2:3]
	s_cbranch_vccnz .LBB124_833
	s_branch .LBB124_1320
.LBB124_832:
	s_mov_b64 s[10:11], 0
                                        ; implicit-def: $vgpr6_vgpr7
                                        ; implicit-def: $vgpr192
	s_cbranch_execz .LBB124_1320
.LBB124_833:
	scratch_load_dwordx4 v[2:5], v191, off
	v_cndmask_b32_e64 v6, 0, 1, s[6:7]
	v_cmp_eq_u32_e64 s[2:3], 0, v0
	v_cmp_ne_u32_e64 s[0:1], 1, v6
	s_waitcnt vmcnt(0)
	ds_write_b128 v9, v[2:5]
	s_waitcnt lgkmcnt(0)
	; wave barrier
	s_waitcnt lgkmcnt(0)
	s_and_saveexec_b64 s[4:5], s[2:3]
	s_cbranch_execz .LBB124_837
; %bb.834:
	ds_read_b128 v[2:5], v9
	s_and_b64 vcc, exec, s[0:1]
	s_cbranch_vccnz .LBB124_836
; %bb.835:
	scratch_load_dwordx4 v[192:195], v8, off
	s_waitcnt vmcnt(0) lgkmcnt(0)
	v_mul_f64 v[10:11], v[2:3], v[194:195]
	v_mul_f64 v[6:7], v[4:5], v[194:195]
	v_fmac_f64_e32 v[10:11], v[4:5], v[192:193]
	v_fma_f64 v[2:3], v[2:3], v[192:193], -v[6:7]
	v_mov_b64_e32 v[4:5], v[10:11]
.LBB124_836:
	v_mov_b32_e32 v6, 0
	ds_read_b128 v[192:195], v6 offset:16
	s_waitcnt lgkmcnt(0)
	v_mul_f64 v[6:7], v[4:5], v[194:195]
	v_mul_f64 v[196:197], v[2:3], v[194:195]
	v_fma_f64 v[194:195], v[2:3], v[192:193], -v[6:7]
	v_fmac_f64_e32 v[196:197], v[4:5], v[192:193]
	scratch_store_dwordx4 off, v[194:197], off offset:16
.LBB124_837:
	s_or_b64 exec, exec, s[4:5]
	scratch_load_dwordx4 v[2:5], v190, off
	v_cmp_gt_u32_e32 vcc, 2, v0
	s_waitcnt vmcnt(0)
	ds_write_b128 v9, v[2:5]
	s_waitcnt lgkmcnt(0)
	; wave barrier
	s_waitcnt lgkmcnt(0)
	s_and_saveexec_b64 s[4:5], vcc
	s_cbranch_execz .LBB124_843
; %bb.838:
	ds_read_b128 v[2:5], v9
	s_and_b64 vcc, exec, s[0:1]
	s_cbranch_vccnz .LBB124_840
; %bb.839:
	scratch_load_dwordx4 v[192:195], v8, off
	s_waitcnt vmcnt(0) lgkmcnt(0)
	v_mul_f64 v[10:11], v[2:3], v[194:195]
	v_mul_f64 v[6:7], v[4:5], v[194:195]
	v_fmac_f64_e32 v[10:11], v[4:5], v[192:193]
	v_fma_f64 v[2:3], v[2:3], v[192:193], -v[6:7]
	v_mov_b64_e32 v[4:5], v[10:11]
.LBB124_840:
	s_and_saveexec_b64 s[6:7], s[2:3]
	s_cbranch_execz .LBB124_842
; %bb.841:
	scratch_load_dwordx4 v[192:195], v8, off offset:16
	ds_read_b128 v[196:199], v9 offset:16
	s_waitcnt vmcnt(0) lgkmcnt(0)
	v_mul_f64 v[6:7], v[198:199], v[194:195]
	v_mul_f64 v[10:11], v[196:197], v[194:195]
	v_fma_f64 v[6:7], v[196:197], v[192:193], -v[6:7]
	v_fmac_f64_e32 v[10:11], v[198:199], v[192:193]
	v_add_f64 v[2:3], v[2:3], v[6:7]
	v_add_f64 v[4:5], v[4:5], v[10:11]
.LBB124_842:
	s_or_b64 exec, exec, s[6:7]
	v_mov_b32_e32 v6, 0
	ds_read_b128 v[192:195], v6 offset:32
	s_waitcnt lgkmcnt(0)
	v_mul_f64 v[6:7], v[4:5], v[194:195]
	v_mul_f64 v[196:197], v[2:3], v[194:195]
	v_fma_f64 v[194:195], v[2:3], v[192:193], -v[6:7]
	v_fmac_f64_e32 v[196:197], v[4:5], v[192:193]
	scratch_store_dwordx4 off, v[194:197], off offset:32
.LBB124_843:
	s_or_b64 exec, exec, s[4:5]
	scratch_load_dwordx4 v[2:5], v189, off
	v_cmp_gt_u32_e64 s[4:5], 3, v0
	s_waitcnt vmcnt(0)
	ds_write_b128 v9, v[2:5]
	s_waitcnt lgkmcnt(0)
	; wave barrier
	s_waitcnt lgkmcnt(0)
	s_and_saveexec_b64 s[6:7], s[4:5]
	s_cbranch_execz .LBB124_851
; %bb.844:
	ds_read_b128 v[2:5], v9
	s_and_b64 vcc, exec, s[0:1]
	s_cbranch_vccnz .LBB124_846
; %bb.845:
	scratch_load_dwordx4 v[192:195], v8, off
	s_waitcnt vmcnt(0) lgkmcnt(0)
	v_mul_f64 v[10:11], v[2:3], v[194:195]
	v_mul_f64 v[6:7], v[4:5], v[194:195]
	v_fmac_f64_e32 v[10:11], v[4:5], v[192:193]
	v_fma_f64 v[2:3], v[2:3], v[192:193], -v[6:7]
	v_mov_b64_e32 v[4:5], v[10:11]
.LBB124_846:
	v_cmp_ne_u32_e32 vcc, 2, v0
	s_and_saveexec_b64 s[8:9], vcc
	s_cbranch_execz .LBB124_850
; %bb.847:
	scratch_load_dwordx4 v[192:195], v8, off offset:16
	ds_read_b128 v[196:199], v9 offset:16
	s_waitcnt vmcnt(0) lgkmcnt(0)
	v_mul_f64 v[6:7], v[198:199], v[194:195]
	v_mul_f64 v[10:11], v[196:197], v[194:195]
	v_fma_f64 v[6:7], v[196:197], v[192:193], -v[6:7]
	v_fmac_f64_e32 v[10:11], v[198:199], v[192:193]
	v_add_f64 v[2:3], v[2:3], v[6:7]
	v_add_f64 v[4:5], v[4:5], v[10:11]
	s_and_saveexec_b64 s[12:13], s[2:3]
	s_cbranch_execz .LBB124_849
; %bb.848:
	scratch_load_dwordx4 v[192:195], off, off offset:32
	v_mov_b32_e32 v6, 0
	ds_read_b128 v[196:199], v6 offset:1008
	s_waitcnt vmcnt(0) lgkmcnt(0)
	v_mul_f64 v[6:7], v[196:197], v[194:195]
	v_mul_f64 v[10:11], v[198:199], v[194:195]
	v_fmac_f64_e32 v[6:7], v[198:199], v[192:193]
	v_fma_f64 v[10:11], v[196:197], v[192:193], -v[10:11]
	v_add_f64 v[4:5], v[4:5], v[6:7]
	v_add_f64 v[2:3], v[2:3], v[10:11]
.LBB124_849:
	s_or_b64 exec, exec, s[12:13]
.LBB124_850:
	s_or_b64 exec, exec, s[8:9]
	v_mov_b32_e32 v6, 0
	ds_read_b128 v[192:195], v6 offset:48
	s_waitcnt lgkmcnt(0)
	v_mul_f64 v[6:7], v[4:5], v[194:195]
	v_mul_f64 v[196:197], v[2:3], v[194:195]
	v_fma_f64 v[194:195], v[2:3], v[192:193], -v[6:7]
	v_fmac_f64_e32 v[196:197], v[4:5], v[192:193]
	scratch_store_dwordx4 off, v[194:197], off offset:48
.LBB124_851:
	s_or_b64 exec, exec, s[6:7]
	scratch_load_dwordx4 v[2:5], v188, off
	v_cmp_gt_u32_e32 vcc, 4, v0
	s_waitcnt vmcnt(0)
	ds_write_b128 v9, v[2:5]
	s_waitcnt lgkmcnt(0)
	; wave barrier
	s_waitcnt lgkmcnt(0)
	s_and_saveexec_b64 s[6:7], vcc
	s_cbranch_execz .LBB124_859
; %bb.852:
	ds_read_b128 v[2:5], v9
	s_and_b64 vcc, exec, s[0:1]
	s_cbranch_vccnz .LBB124_854
; %bb.853:
	scratch_load_dwordx4 v[192:195], v8, off
	s_waitcnt vmcnt(0) lgkmcnt(0)
	v_mul_f64 v[10:11], v[2:3], v[194:195]
	v_mul_f64 v[6:7], v[4:5], v[194:195]
	v_fmac_f64_e32 v[10:11], v[4:5], v[192:193]
	v_fma_f64 v[2:3], v[2:3], v[192:193], -v[6:7]
	v_mov_b64_e32 v[4:5], v[10:11]
.LBB124_854:
	v_cmp_ne_u32_e32 vcc, 3, v0
	s_and_saveexec_b64 s[8:9], vcc
	s_cbranch_execz .LBB124_858
; %bb.855:
	v_mov_b32_e32 v7, 0
	v_add_u32_e32 v6, 0x3e0, v72
	v_add3_u32 v7, v72, v7, 24
	s_mov_b64 s[12:13], 0
	v_mov_b32_e32 v192, v0
.LBB124_856:                            ; =>This Inner Loop Header: Depth=1
	v_add_u32_e32 v10, -8, v7
	scratch_load_dwordx4 v[194:197], v10, off
	ds_read_b128 v[198:201], v6
	v_add_u32_e32 v192, 1, v192
	v_cmp_lt_u32_e32 vcc, 2, v192
	v_add_u32_e32 v6, 16, v6
	v_add_u32_e32 v7, 16, v7
	s_or_b64 s[12:13], vcc, s[12:13]
	s_waitcnt vmcnt(0) lgkmcnt(0)
	v_mul_f64 v[10:11], v[200:201], v[196:197]
	v_mul_f64 v[52:53], v[198:199], v[196:197]
	v_fma_f64 v[10:11], v[198:199], v[194:195], -v[10:11]
	v_fmac_f64_e32 v[52:53], v[200:201], v[194:195]
	v_add_f64 v[2:3], v[2:3], v[10:11]
	v_add_f64 v[4:5], v[4:5], v[52:53]
	s_andn2_b64 exec, exec, s[12:13]
	s_cbranch_execnz .LBB124_856
; %bb.857:
	s_or_b64 exec, exec, s[12:13]
.LBB124_858:
	s_or_b64 exec, exec, s[8:9]
	v_mov_b32_e32 v6, 0
	ds_read_b128 v[192:195], v6 offset:64
	s_waitcnt lgkmcnt(0)
	v_mul_f64 v[6:7], v[4:5], v[194:195]
	v_mul_f64 v[196:197], v[2:3], v[194:195]
	v_fma_f64 v[194:195], v[2:3], v[192:193], -v[6:7]
	v_fmac_f64_e32 v[196:197], v[4:5], v[192:193]
	scratch_store_dwordx4 off, v[194:197], off offset:64
.LBB124_859:
	s_or_b64 exec, exec, s[6:7]
	scratch_load_dwordx4 v[2:5], v187, off
	v_cmp_gt_u32_e64 s[6:7], 5, v0
	s_waitcnt vmcnt(0)
	ds_write_b128 v9, v[2:5]
	s_waitcnt lgkmcnt(0)
	; wave barrier
	s_waitcnt lgkmcnt(0)
	s_and_saveexec_b64 s[8:9], s[6:7]
	s_cbranch_execz .LBB124_867
; %bb.860:
	ds_read_b128 v[2:5], v9
	s_and_b64 vcc, exec, s[0:1]
	s_cbranch_vccnz .LBB124_862
; %bb.861:
	scratch_load_dwordx4 v[192:195], v8, off
	s_waitcnt vmcnt(0) lgkmcnt(0)
	v_mul_f64 v[10:11], v[2:3], v[194:195]
	v_mul_f64 v[6:7], v[4:5], v[194:195]
	v_fmac_f64_e32 v[10:11], v[4:5], v[192:193]
	v_fma_f64 v[2:3], v[2:3], v[192:193], -v[6:7]
	v_mov_b64_e32 v[4:5], v[10:11]
.LBB124_862:
	v_cmp_ne_u32_e32 vcc, 4, v0
	s_and_saveexec_b64 s[12:13], vcc
	s_cbranch_execz .LBB124_866
; %bb.863:
	v_mov_b32_e32 v7, 0
	v_add_u32_e32 v6, 0x3e0, v72
	v_add3_u32 v7, v72, v7, 24
	s_mov_b64 s[14:15], 0
	v_mov_b32_e32 v192, v0
.LBB124_864:                            ; =>This Inner Loop Header: Depth=1
	v_add_u32_e32 v10, -8, v7
	scratch_load_dwordx4 v[194:197], v10, off
	ds_read_b128 v[198:201], v6
	v_add_u32_e32 v192, 1, v192
	v_cmp_lt_u32_e32 vcc, 3, v192
	v_add_u32_e32 v6, 16, v6
	v_add_u32_e32 v7, 16, v7
	s_or_b64 s[14:15], vcc, s[14:15]
	s_waitcnt vmcnt(0) lgkmcnt(0)
	v_mul_f64 v[10:11], v[200:201], v[196:197]
	v_mul_f64 v[52:53], v[198:199], v[196:197]
	v_fma_f64 v[10:11], v[198:199], v[194:195], -v[10:11]
	v_fmac_f64_e32 v[52:53], v[200:201], v[194:195]
	v_add_f64 v[2:3], v[2:3], v[10:11]
	v_add_f64 v[4:5], v[4:5], v[52:53]
	s_andn2_b64 exec, exec, s[14:15]
	s_cbranch_execnz .LBB124_864
; %bb.865:
	s_or_b64 exec, exec, s[14:15]
.LBB124_866:
	s_or_b64 exec, exec, s[12:13]
	v_mov_b32_e32 v6, 0
	ds_read_b128 v[192:195], v6 offset:80
	s_waitcnt lgkmcnt(0)
	v_mul_f64 v[6:7], v[4:5], v[194:195]
	v_mul_f64 v[196:197], v[2:3], v[194:195]
	v_fma_f64 v[194:195], v[2:3], v[192:193], -v[6:7]
	v_fmac_f64_e32 v[196:197], v[4:5], v[192:193]
	scratch_store_dwordx4 off, v[194:197], off offset:80
.LBB124_867:
	s_or_b64 exec, exec, s[8:9]
	scratch_load_dwordx4 v[2:5], v186, off
	v_cmp_gt_u32_e32 vcc, 6, v0
	s_waitcnt vmcnt(0)
	ds_write_b128 v9, v[2:5]
	s_waitcnt lgkmcnt(0)
	; wave barrier
	s_waitcnt lgkmcnt(0)
	s_and_saveexec_b64 s[8:9], vcc
	s_cbranch_execz .LBB124_875
; %bb.868:
	ds_read_b128 v[2:5], v9
	s_and_b64 vcc, exec, s[0:1]
	s_cbranch_vccnz .LBB124_870
; %bb.869:
	scratch_load_dwordx4 v[192:195], v8, off
	s_waitcnt vmcnt(0) lgkmcnt(0)
	v_mul_f64 v[10:11], v[2:3], v[194:195]
	v_mul_f64 v[6:7], v[4:5], v[194:195]
	v_fmac_f64_e32 v[10:11], v[4:5], v[192:193]
	v_fma_f64 v[2:3], v[2:3], v[192:193], -v[6:7]
	v_mov_b64_e32 v[4:5], v[10:11]
.LBB124_870:
	v_cmp_ne_u32_e32 vcc, 5, v0
	s_and_saveexec_b64 s[12:13], vcc
	s_cbranch_execz .LBB124_874
; %bb.871:
	v_mov_b32_e32 v7, 0
	v_add_u32_e32 v6, 0x3e0, v72
	v_add3_u32 v7, v72, v7, 24
	s_mov_b64 s[14:15], 0
	v_mov_b32_e32 v192, v0
.LBB124_872:                            ; =>This Inner Loop Header: Depth=1
	v_add_u32_e32 v10, -8, v7
	scratch_load_dwordx4 v[194:197], v10, off
	ds_read_b128 v[198:201], v6
	v_add_u32_e32 v192, 1, v192
	v_cmp_lt_u32_e32 vcc, 4, v192
	v_add_u32_e32 v6, 16, v6
	v_add_u32_e32 v7, 16, v7
	s_or_b64 s[14:15], vcc, s[14:15]
	s_waitcnt vmcnt(0) lgkmcnt(0)
	v_mul_f64 v[10:11], v[200:201], v[196:197]
	v_mul_f64 v[52:53], v[198:199], v[196:197]
	v_fma_f64 v[10:11], v[198:199], v[194:195], -v[10:11]
	v_fmac_f64_e32 v[52:53], v[200:201], v[194:195]
	v_add_f64 v[2:3], v[2:3], v[10:11]
	v_add_f64 v[4:5], v[4:5], v[52:53]
	s_andn2_b64 exec, exec, s[14:15]
	s_cbranch_execnz .LBB124_872
; %bb.873:
	s_or_b64 exec, exec, s[14:15]
.LBB124_874:
	s_or_b64 exec, exec, s[12:13]
	v_mov_b32_e32 v6, 0
	ds_read_b128 v[192:195], v6 offset:96
	s_waitcnt lgkmcnt(0)
	v_mul_f64 v[6:7], v[4:5], v[194:195]
	v_mul_f64 v[196:197], v[2:3], v[194:195]
	v_fma_f64 v[194:195], v[2:3], v[192:193], -v[6:7]
	v_fmac_f64_e32 v[196:197], v[4:5], v[192:193]
	scratch_store_dwordx4 off, v[194:197], off offset:96
.LBB124_875:
	s_or_b64 exec, exec, s[8:9]
	scratch_load_dwordx4 v[2:5], v185, off
	v_cmp_gt_u32_e64 s[8:9], 7, v0
	s_waitcnt vmcnt(0)
	ds_write_b128 v9, v[2:5]
	s_waitcnt lgkmcnt(0)
	; wave barrier
	s_waitcnt lgkmcnt(0)
	s_and_saveexec_b64 s[12:13], s[8:9]
	s_cbranch_execz .LBB124_883
; %bb.876:
	ds_read_b128 v[2:5], v9
	s_and_b64 vcc, exec, s[0:1]
	s_cbranch_vccnz .LBB124_878
; %bb.877:
	scratch_load_dwordx4 v[192:195], v8, off
	s_waitcnt vmcnt(0) lgkmcnt(0)
	v_mul_f64 v[10:11], v[2:3], v[194:195]
	v_mul_f64 v[6:7], v[4:5], v[194:195]
	v_fmac_f64_e32 v[10:11], v[4:5], v[192:193]
	v_fma_f64 v[2:3], v[2:3], v[192:193], -v[6:7]
	v_mov_b64_e32 v[4:5], v[10:11]
.LBB124_878:
	v_cmp_ne_u32_e32 vcc, 6, v0
	s_and_saveexec_b64 s[14:15], vcc
	s_cbranch_execz .LBB124_882
; %bb.879:
	v_mov_b32_e32 v7, 0
	v_add_u32_e32 v6, 0x3e0, v72
	v_add3_u32 v7, v72, v7, 24
	s_mov_b64 s[16:17], 0
	v_mov_b32_e32 v192, v0
.LBB124_880:                            ; =>This Inner Loop Header: Depth=1
	v_add_u32_e32 v10, -8, v7
	scratch_load_dwordx4 v[194:197], v10, off
	ds_read_b128 v[198:201], v6
	v_add_u32_e32 v192, 1, v192
	v_cmp_lt_u32_e32 vcc, 5, v192
	v_add_u32_e32 v6, 16, v6
	v_add_u32_e32 v7, 16, v7
	s_or_b64 s[16:17], vcc, s[16:17]
	s_waitcnt vmcnt(0) lgkmcnt(0)
	v_mul_f64 v[10:11], v[200:201], v[196:197]
	v_mul_f64 v[52:53], v[198:199], v[196:197]
	v_fma_f64 v[10:11], v[198:199], v[194:195], -v[10:11]
	v_fmac_f64_e32 v[52:53], v[200:201], v[194:195]
	v_add_f64 v[2:3], v[2:3], v[10:11]
	v_add_f64 v[4:5], v[4:5], v[52:53]
	s_andn2_b64 exec, exec, s[16:17]
	s_cbranch_execnz .LBB124_880
; %bb.881:
	s_or_b64 exec, exec, s[16:17]
.LBB124_882:
	s_or_b64 exec, exec, s[14:15]
	v_mov_b32_e32 v6, 0
	ds_read_b128 v[192:195], v6 offset:112
	s_waitcnt lgkmcnt(0)
	v_mul_f64 v[6:7], v[4:5], v[194:195]
	v_mul_f64 v[196:197], v[2:3], v[194:195]
	v_fma_f64 v[194:195], v[2:3], v[192:193], -v[6:7]
	v_fmac_f64_e32 v[196:197], v[4:5], v[192:193]
	scratch_store_dwordx4 off, v[194:197], off offset:112
.LBB124_883:
	s_or_b64 exec, exec, s[12:13]
	scratch_load_dwordx4 v[2:5], v184, off
	v_cmp_gt_u32_e32 vcc, 8, v0
	s_waitcnt vmcnt(0)
	ds_write_b128 v9, v[2:5]
	s_waitcnt lgkmcnt(0)
	; wave barrier
	s_waitcnt lgkmcnt(0)
	s_and_saveexec_b64 s[12:13], vcc
	s_cbranch_execz .LBB124_891
; %bb.884:
	ds_read_b128 v[2:5], v9
	s_and_b64 vcc, exec, s[0:1]
	s_cbranch_vccnz .LBB124_886
; %bb.885:
	scratch_load_dwordx4 v[192:195], v8, off
	s_waitcnt vmcnt(0) lgkmcnt(0)
	v_mul_f64 v[10:11], v[2:3], v[194:195]
	v_mul_f64 v[6:7], v[4:5], v[194:195]
	v_fmac_f64_e32 v[10:11], v[4:5], v[192:193]
	v_fma_f64 v[2:3], v[2:3], v[192:193], -v[6:7]
	v_mov_b64_e32 v[4:5], v[10:11]
.LBB124_886:
	v_cmp_ne_u32_e32 vcc, 7, v0
	s_and_saveexec_b64 s[14:15], vcc
	s_cbranch_execz .LBB124_890
; %bb.887:
	v_mov_b32_e32 v7, 0
	v_add_u32_e32 v6, 0x3e0, v72
	v_add3_u32 v7, v72, v7, 24
	s_mov_b64 s[16:17], 0
	v_mov_b32_e32 v192, v0
.LBB124_888:                            ; =>This Inner Loop Header: Depth=1
	v_add_u32_e32 v10, -8, v7
	scratch_load_dwordx4 v[194:197], v10, off
	ds_read_b128 v[198:201], v6
	v_add_u32_e32 v192, 1, v192
	v_cmp_lt_u32_e32 vcc, 6, v192
	v_add_u32_e32 v6, 16, v6
	v_add_u32_e32 v7, 16, v7
	s_or_b64 s[16:17], vcc, s[16:17]
	s_waitcnt vmcnt(0) lgkmcnt(0)
	v_mul_f64 v[10:11], v[200:201], v[196:197]
	v_mul_f64 v[52:53], v[198:199], v[196:197]
	v_fma_f64 v[10:11], v[198:199], v[194:195], -v[10:11]
	v_fmac_f64_e32 v[52:53], v[200:201], v[194:195]
	v_add_f64 v[2:3], v[2:3], v[10:11]
	v_add_f64 v[4:5], v[4:5], v[52:53]
	s_andn2_b64 exec, exec, s[16:17]
	s_cbranch_execnz .LBB124_888
; %bb.889:
	s_or_b64 exec, exec, s[16:17]
.LBB124_890:
	s_or_b64 exec, exec, s[14:15]
	v_mov_b32_e32 v6, 0
	ds_read_b128 v[192:195], v6 offset:128
	s_waitcnt lgkmcnt(0)
	v_mul_f64 v[6:7], v[4:5], v[194:195]
	v_mul_f64 v[196:197], v[2:3], v[194:195]
	v_fma_f64 v[194:195], v[2:3], v[192:193], -v[6:7]
	v_fmac_f64_e32 v[196:197], v[4:5], v[192:193]
	scratch_store_dwordx4 off, v[194:197], off offset:128
.LBB124_891:
	s_or_b64 exec, exec, s[12:13]
	scratch_load_dwordx4 v[2:5], v183, off
	v_cmp_gt_u32_e32 vcc, 9, v0
	s_waitcnt vmcnt(0)
	ds_write_b128 v9, v[2:5]
	s_waitcnt lgkmcnt(0)
	; wave barrier
	s_waitcnt lgkmcnt(0)
	s_and_saveexec_b64 s[12:13], vcc
	s_cbranch_execz .LBB124_911
; %bb.892:
	ds_read_b128 v[2:5], v9
	s_and_b64 vcc, exec, s[0:1]
	s_cbranch_vccnz .LBB124_894
; %bb.893:
	scratch_load_dwordx4 v[192:195], v8, off
	s_waitcnt vmcnt(0) lgkmcnt(0)
	v_mul_f64 v[10:11], v[2:3], v[194:195]
	v_mul_f64 v[6:7], v[4:5], v[194:195]
	v_fmac_f64_e32 v[10:11], v[4:5], v[192:193]
	v_fma_f64 v[2:3], v[2:3], v[192:193], -v[6:7]
	v_mov_b64_e32 v[4:5], v[10:11]
.LBB124_894:
	v_cmp_ne_u32_e32 vcc, 8, v0
	s_and_saveexec_b64 s[14:15], vcc
	s_cbranch_execz .LBB124_910
; %bb.895:
	scratch_load_dwordx4 v[192:195], v8, off offset:16
	ds_read_b128 v[196:199], v9 offset:16
	s_waitcnt vmcnt(0) lgkmcnt(0)
	v_mul_f64 v[6:7], v[198:199], v[194:195]
	v_mul_f64 v[10:11], v[196:197], v[194:195]
	v_fma_f64 v[6:7], v[196:197], v[192:193], -v[6:7]
	v_fmac_f64_e32 v[10:11], v[198:199], v[192:193]
	v_add_f64 v[2:3], v[2:3], v[6:7]
	v_add_f64 v[4:5], v[4:5], v[10:11]
	s_and_saveexec_b64 s[16:17], s[8:9]
	s_cbranch_execz .LBB124_909
; %bb.896:
	scratch_load_dwordx4 v[192:195], v8, off offset:32
	ds_read_b128 v[196:199], v9 offset:32
	v_cmp_ne_u32_e32 vcc, 6, v0
	s_waitcnt vmcnt(0) lgkmcnt(0)
	v_mul_f64 v[6:7], v[198:199], v[194:195]
	v_mul_f64 v[10:11], v[196:197], v[194:195]
	v_fma_f64 v[6:7], v[196:197], v[192:193], -v[6:7]
	v_fmac_f64_e32 v[10:11], v[198:199], v[192:193]
	v_add_f64 v[2:3], v[2:3], v[6:7]
	v_add_f64 v[4:5], v[4:5], v[10:11]
	s_and_saveexec_b64 s[8:9], vcc
	s_cbranch_execz .LBB124_908
; %bb.897:
	scratch_load_dwordx4 v[192:195], v8, off offset:48
	ds_read_b128 v[196:199], v9 offset:48
	s_waitcnt vmcnt(0) lgkmcnt(0)
	v_mul_f64 v[6:7], v[198:199], v[194:195]
	v_mul_f64 v[10:11], v[196:197], v[194:195]
	v_fma_f64 v[6:7], v[196:197], v[192:193], -v[6:7]
	v_fmac_f64_e32 v[10:11], v[198:199], v[192:193]
	v_add_f64 v[2:3], v[2:3], v[6:7]
	v_add_f64 v[4:5], v[4:5], v[10:11]
	s_and_saveexec_b64 s[18:19], s[6:7]
	s_cbranch_execz .LBB124_907
; %bb.898:
	scratch_load_dwordx4 v[192:195], v8, off offset:64
	ds_read_b128 v[196:199], v9 offset:64
	v_cmp_ne_u32_e32 vcc, 4, v0
	s_waitcnt vmcnt(0) lgkmcnt(0)
	v_mul_f64 v[6:7], v[198:199], v[194:195]
	v_mul_f64 v[10:11], v[196:197], v[194:195]
	v_fma_f64 v[6:7], v[196:197], v[192:193], -v[6:7]
	v_fmac_f64_e32 v[10:11], v[198:199], v[192:193]
	v_add_f64 v[2:3], v[2:3], v[6:7]
	v_add_f64 v[4:5], v[4:5], v[10:11]
	;; [unrolled: 25-line block ×3, first 2 shown]
	s_and_saveexec_b64 s[4:5], vcc
	s_cbranch_execz .LBB124_904
; %bb.901:
	scratch_load_dwordx4 v[192:195], v8, off offset:112
	ds_read_b128 v[196:199], v9 offset:112
	s_waitcnt vmcnt(0) lgkmcnt(0)
	v_mul_f64 v[6:7], v[198:199], v[194:195]
	v_mul_f64 v[10:11], v[196:197], v[194:195]
	v_fma_f64 v[6:7], v[196:197], v[192:193], -v[6:7]
	v_fmac_f64_e32 v[10:11], v[198:199], v[192:193]
	v_add_f64 v[2:3], v[2:3], v[6:7]
	v_add_f64 v[4:5], v[4:5], v[10:11]
	s_and_saveexec_b64 s[22:23], s[2:3]
	s_cbranch_execz .LBB124_903
; %bb.902:
	scratch_load_dwordx4 v[192:195], v8, off offset:128
	ds_read_b128 v[196:199], v9 offset:128
	s_waitcnt vmcnt(0) lgkmcnt(0)
	v_mul_f64 v[6:7], v[198:199], v[194:195]
	v_mul_f64 v[10:11], v[196:197], v[194:195]
	v_fma_f64 v[6:7], v[196:197], v[192:193], -v[6:7]
	v_fmac_f64_e32 v[10:11], v[198:199], v[192:193]
	v_add_f64 v[2:3], v[2:3], v[6:7]
	v_add_f64 v[4:5], v[4:5], v[10:11]
.LBB124_903:
	s_or_b64 exec, exec, s[22:23]
.LBB124_904:
	s_or_b64 exec, exec, s[4:5]
.LBB124_905:
	s_or_b64 exec, exec, s[20:21]
.LBB124_906:
	s_or_b64 exec, exec, s[6:7]
.LBB124_907:
	s_or_b64 exec, exec, s[18:19]
.LBB124_908:
	s_or_b64 exec, exec, s[8:9]
.LBB124_909:
	s_or_b64 exec, exec, s[16:17]
.LBB124_910:
	s_or_b64 exec, exec, s[14:15]
	v_mov_b32_e32 v6, 0
	ds_read_b128 v[192:195], v6 offset:144
	s_waitcnt lgkmcnt(0)
	v_mul_f64 v[6:7], v[4:5], v[194:195]
	v_mul_f64 v[196:197], v[2:3], v[194:195]
	v_fma_f64 v[194:195], v[2:3], v[192:193], -v[6:7]
	v_fmac_f64_e32 v[196:197], v[4:5], v[192:193]
	scratch_store_dwordx4 off, v[194:197], off offset:144
.LBB124_911:
	s_or_b64 exec, exec, s[12:13]
	scratch_load_dwordx4 v[2:5], v182, off
	v_cmp_gt_u32_e32 vcc, 10, v0
	s_waitcnt vmcnt(0)
	ds_write_b128 v9, v[2:5]
	s_waitcnt lgkmcnt(0)
	; wave barrier
	s_waitcnt lgkmcnt(0)
	s_and_saveexec_b64 s[2:3], vcc
	s_cbranch_execz .LBB124_919
; %bb.912:
	ds_read_b128 v[2:5], v9
	s_and_b64 vcc, exec, s[0:1]
	s_cbranch_vccnz .LBB124_914
; %bb.913:
	scratch_load_dwordx4 v[192:195], v8, off
	s_waitcnt vmcnt(0) lgkmcnt(0)
	v_mul_f64 v[10:11], v[2:3], v[194:195]
	v_mul_f64 v[6:7], v[4:5], v[194:195]
	v_fmac_f64_e32 v[10:11], v[4:5], v[192:193]
	v_fma_f64 v[2:3], v[2:3], v[192:193], -v[6:7]
	v_mov_b64_e32 v[4:5], v[10:11]
.LBB124_914:
	v_cmp_ne_u32_e32 vcc, 9, v0
	s_and_saveexec_b64 s[4:5], vcc
	s_cbranch_execz .LBB124_918
; %bb.915:
	v_mov_b32_e32 v7, 0
	v_add_u32_e32 v6, 0x3e0, v72
	v_add3_u32 v7, v72, v7, 24
	s_mov_b64 s[6:7], 0
	v_mov_b32_e32 v192, v0
.LBB124_916:                            ; =>This Inner Loop Header: Depth=1
	v_add_u32_e32 v10, -8, v7
	scratch_load_dwordx4 v[194:197], v10, off
	ds_read_b128 v[198:201], v6
	v_add_u32_e32 v192, 1, v192
	v_cmp_lt_u32_e32 vcc, 8, v192
	v_add_u32_e32 v6, 16, v6
	v_add_u32_e32 v7, 16, v7
	s_or_b64 s[6:7], vcc, s[6:7]
	s_waitcnt vmcnt(0) lgkmcnt(0)
	v_mul_f64 v[10:11], v[200:201], v[196:197]
	v_mul_f64 v[52:53], v[198:199], v[196:197]
	v_fma_f64 v[10:11], v[198:199], v[194:195], -v[10:11]
	v_fmac_f64_e32 v[52:53], v[200:201], v[194:195]
	v_add_f64 v[2:3], v[2:3], v[10:11]
	v_add_f64 v[4:5], v[4:5], v[52:53]
	s_andn2_b64 exec, exec, s[6:7]
	s_cbranch_execnz .LBB124_916
; %bb.917:
	s_or_b64 exec, exec, s[6:7]
.LBB124_918:
	s_or_b64 exec, exec, s[4:5]
	v_mov_b32_e32 v6, 0
	ds_read_b128 v[192:195], v6 offset:160
	s_waitcnt lgkmcnt(0)
	v_mul_f64 v[6:7], v[4:5], v[194:195]
	v_mul_f64 v[196:197], v[2:3], v[194:195]
	v_fma_f64 v[194:195], v[2:3], v[192:193], -v[6:7]
	v_fmac_f64_e32 v[196:197], v[4:5], v[192:193]
	scratch_store_dwordx4 off, v[194:197], off offset:160
.LBB124_919:
	s_or_b64 exec, exec, s[2:3]
	scratch_load_dwordx4 v[2:5], v181, off
	v_cmp_gt_u32_e32 vcc, 11, v0
	s_waitcnt vmcnt(0)
	ds_write_b128 v9, v[2:5]
	s_waitcnt lgkmcnt(0)
	; wave barrier
	s_waitcnt lgkmcnt(0)
	s_and_saveexec_b64 s[2:3], vcc
	s_cbranch_execz .LBB124_927
; %bb.920:
	ds_read_b128 v[2:5], v9
	s_and_b64 vcc, exec, s[0:1]
	s_cbranch_vccnz .LBB124_922
; %bb.921:
	scratch_load_dwordx4 v[192:195], v8, off
	s_waitcnt vmcnt(0) lgkmcnt(0)
	v_mul_f64 v[10:11], v[2:3], v[194:195]
	v_mul_f64 v[6:7], v[4:5], v[194:195]
	v_fmac_f64_e32 v[10:11], v[4:5], v[192:193]
	v_fma_f64 v[2:3], v[2:3], v[192:193], -v[6:7]
	v_mov_b64_e32 v[4:5], v[10:11]
.LBB124_922:
	v_cmp_ne_u32_e32 vcc, 10, v0
	s_and_saveexec_b64 s[4:5], vcc
	s_cbranch_execz .LBB124_926
; %bb.923:
	v_mov_b32_e32 v7, 0
	v_add_u32_e32 v6, 0x3e0, v72
	v_add3_u32 v7, v72, v7, 24
	s_mov_b64 s[6:7], 0
	v_mov_b32_e32 v192, v0
.LBB124_924:                            ; =>This Inner Loop Header: Depth=1
	v_add_u32_e32 v10, -8, v7
	scratch_load_dwordx4 v[194:197], v10, off
	ds_read_b128 v[198:201], v6
	v_add_u32_e32 v192, 1, v192
	v_cmp_lt_u32_e32 vcc, 9, v192
	v_add_u32_e32 v6, 16, v6
	v_add_u32_e32 v7, 16, v7
	s_or_b64 s[6:7], vcc, s[6:7]
	s_waitcnt vmcnt(0) lgkmcnt(0)
	v_mul_f64 v[10:11], v[200:201], v[196:197]
	v_mul_f64 v[52:53], v[198:199], v[196:197]
	v_fma_f64 v[10:11], v[198:199], v[194:195], -v[10:11]
	v_fmac_f64_e32 v[52:53], v[200:201], v[194:195]
	v_add_f64 v[2:3], v[2:3], v[10:11]
	v_add_f64 v[4:5], v[4:5], v[52:53]
	s_andn2_b64 exec, exec, s[6:7]
	s_cbranch_execnz .LBB124_924
; %bb.925:
	s_or_b64 exec, exec, s[6:7]
.LBB124_926:
	s_or_b64 exec, exec, s[4:5]
	v_mov_b32_e32 v6, 0
	ds_read_b128 v[192:195], v6 offset:176
	s_waitcnt lgkmcnt(0)
	v_mul_f64 v[6:7], v[4:5], v[194:195]
	v_mul_f64 v[196:197], v[2:3], v[194:195]
	v_fma_f64 v[194:195], v[2:3], v[192:193], -v[6:7]
	v_fmac_f64_e32 v[196:197], v[4:5], v[192:193]
	scratch_store_dwordx4 off, v[194:197], off offset:176
.LBB124_927:
	;; [unrolled: 63-line block ×11, first 2 shown]
	s_or_b64 exec, exec, s[2:3]
	scratch_load_dwordx4 v[2:5], v171, off
	v_cmp_gt_u32_e32 vcc, 21, v0
	s_waitcnt vmcnt(0)
	ds_write_b128 v9, v[2:5]
	s_waitcnt lgkmcnt(0)
	; wave barrier
	s_waitcnt lgkmcnt(0)
	s_and_saveexec_b64 s[2:3], vcc
	s_cbranch_execz .LBB124_1007
; %bb.1000:
	ds_read_b128 v[2:5], v9
	s_and_b64 vcc, exec, s[0:1]
	s_cbranch_vccnz .LBB124_1002
; %bb.1001:
	scratch_load_dwordx4 v[192:195], v8, off
	s_waitcnt vmcnt(0) lgkmcnt(0)
	v_mul_f64 v[10:11], v[2:3], v[194:195]
	v_mul_f64 v[6:7], v[4:5], v[194:195]
	v_fmac_f64_e32 v[10:11], v[4:5], v[192:193]
	v_fma_f64 v[2:3], v[2:3], v[192:193], -v[6:7]
	v_mov_b64_e32 v[4:5], v[10:11]
.LBB124_1002:
	v_cmp_ne_u32_e32 vcc, 20, v0
	s_and_saveexec_b64 s[4:5], vcc
	s_cbranch_execz .LBB124_1006
; %bb.1003:
	v_mov_b32_e32 v7, 0
	v_add_u32_e32 v6, 0x3e0, v72
	v_add3_u32 v7, v72, v7, 24
	s_mov_b64 s[6:7], 0
	v_mov_b32_e32 v192, v0
.LBB124_1004:                           ; =>This Inner Loop Header: Depth=1
	v_add_u32_e32 v10, -8, v7
	scratch_load_dwordx4 v[194:197], v10, off
	ds_read_b128 v[198:201], v6
	v_add_u32_e32 v192, 1, v192
	v_cmp_lt_u32_e32 vcc, 19, v192
	v_add_u32_e32 v6, 16, v6
	v_add_u32_e32 v7, 16, v7
	s_or_b64 s[6:7], vcc, s[6:7]
	s_waitcnt vmcnt(0) lgkmcnt(0)
	v_mul_f64 v[10:11], v[200:201], v[196:197]
	v_mul_f64 v[52:53], v[198:199], v[196:197]
	v_fma_f64 v[10:11], v[198:199], v[194:195], -v[10:11]
	v_fmac_f64_e32 v[52:53], v[200:201], v[194:195]
	v_add_f64 v[2:3], v[2:3], v[10:11]
	v_add_f64 v[4:5], v[4:5], v[52:53]
	s_andn2_b64 exec, exec, s[6:7]
	s_cbranch_execnz .LBB124_1004
; %bb.1005:
	s_or_b64 exec, exec, s[6:7]
.LBB124_1006:
	s_or_b64 exec, exec, s[4:5]
	v_mov_b32_e32 v6, 0
	ds_read_b128 v[192:195], v6 offset:336
	s_waitcnt lgkmcnt(0)
	v_mul_f64 v[6:7], v[4:5], v[194:195]
	v_mul_f64 v[196:197], v[2:3], v[194:195]
	v_fma_f64 v[194:195], v[2:3], v[192:193], -v[6:7]
	v_fmac_f64_e32 v[196:197], v[4:5], v[192:193]
	scratch_store_dwordx4 off, v[194:197], off offset:336
.LBB124_1007:
	s_or_b64 exec, exec, s[2:3]
	scratch_load_dwordx4 v[2:5], v170, off
	v_cmp_gt_u32_e32 vcc, 22, v0
	s_waitcnt vmcnt(0)
	ds_write_b128 v9, v[2:5]
	s_waitcnt lgkmcnt(0)
	; wave barrier
	s_waitcnt lgkmcnt(0)
	s_and_saveexec_b64 s[2:3], vcc
	s_cbranch_execz .LBB124_1015
; %bb.1008:
	ds_read_b128 v[2:5], v9
	s_and_b64 vcc, exec, s[0:1]
	s_cbranch_vccnz .LBB124_1010
; %bb.1009:
	scratch_load_dwordx4 v[192:195], v8, off
	s_waitcnt vmcnt(0) lgkmcnt(0)
	v_mul_f64 v[10:11], v[2:3], v[194:195]
	v_mul_f64 v[6:7], v[4:5], v[194:195]
	v_fmac_f64_e32 v[10:11], v[4:5], v[192:193]
	v_fma_f64 v[2:3], v[2:3], v[192:193], -v[6:7]
	v_mov_b64_e32 v[4:5], v[10:11]
.LBB124_1010:
	v_cmp_ne_u32_e32 vcc, 21, v0
	s_and_saveexec_b64 s[4:5], vcc
	s_cbranch_execz .LBB124_1014
; %bb.1011:
	v_mov_b32_e32 v7, 0
	v_add_u32_e32 v6, 0x3e0, v72
	v_add3_u32 v7, v72, v7, 24
	s_mov_b64 s[6:7], 0
	v_mov_b32_e32 v192, v0
.LBB124_1012:                           ; =>This Inner Loop Header: Depth=1
	v_add_u32_e32 v10, -8, v7
	scratch_load_dwordx4 v[194:197], v10, off
	ds_read_b128 v[198:201], v6
	v_add_u32_e32 v192, 1, v192
	v_cmp_lt_u32_e32 vcc, 20, v192
	v_add_u32_e32 v6, 16, v6
	v_add_u32_e32 v7, 16, v7
	s_or_b64 s[6:7], vcc, s[6:7]
	s_waitcnt vmcnt(0) lgkmcnt(0)
	v_mul_f64 v[10:11], v[200:201], v[196:197]
	v_mul_f64 v[52:53], v[198:199], v[196:197]
	v_fma_f64 v[10:11], v[198:199], v[194:195], -v[10:11]
	v_fmac_f64_e32 v[52:53], v[200:201], v[194:195]
	v_add_f64 v[2:3], v[2:3], v[10:11]
	v_add_f64 v[4:5], v[4:5], v[52:53]
	s_andn2_b64 exec, exec, s[6:7]
	s_cbranch_execnz .LBB124_1012
; %bb.1013:
	s_or_b64 exec, exec, s[6:7]
.LBB124_1014:
	s_or_b64 exec, exec, s[4:5]
	v_mov_b32_e32 v6, 0
	ds_read_b128 v[192:195], v6 offset:352
	s_waitcnt lgkmcnt(0)
	v_mul_f64 v[6:7], v[4:5], v[194:195]
	v_mul_f64 v[196:197], v[2:3], v[194:195]
	v_fma_f64 v[194:195], v[2:3], v[192:193], -v[6:7]
	v_fmac_f64_e32 v[196:197], v[4:5], v[192:193]
	scratch_store_dwordx4 off, v[194:197], off offset:352
.LBB124_1015:
	;; [unrolled: 63-line block ×38, first 2 shown]
	s_or_b64 exec, exec, s[2:3]
	scratch_load_dwordx4 v[2:5], v214, off
	v_cmp_gt_u32_e64 s[2:3], 59, v0
	s_waitcnt vmcnt(0)
	ds_write_b128 v9, v[2:5]
	s_waitcnt lgkmcnt(0)
	; wave barrier
	s_waitcnt lgkmcnt(0)
	s_and_saveexec_b64 s[4:5], s[2:3]
	s_cbranch_execz .LBB124_1311
; %bb.1304:
	ds_read_b128 v[2:5], v9
	s_and_b64 vcc, exec, s[0:1]
	s_cbranch_vccnz .LBB124_1306
; %bb.1305:
	scratch_load_dwordx4 v[192:195], v8, off
	s_waitcnt vmcnt(0) lgkmcnt(0)
	v_mul_f64 v[10:11], v[2:3], v[194:195]
	v_mul_f64 v[6:7], v[4:5], v[194:195]
	v_fmac_f64_e32 v[10:11], v[4:5], v[192:193]
	v_fma_f64 v[2:3], v[2:3], v[192:193], -v[6:7]
	v_mov_b64_e32 v[4:5], v[10:11]
.LBB124_1306:
	v_cmp_ne_u32_e32 vcc, 58, v0
	s_and_saveexec_b64 s[6:7], vcc
	s_cbranch_execz .LBB124_1310
; %bb.1307:
	v_mov_b32_e32 v7, 0
	v_add_u32_e32 v6, 0x3e0, v72
	v_add3_u32 v7, v72, v7, 24
	s_mov_b64 s[8:9], 0
	v_mov_b32_e32 v192, v0
.LBB124_1308:                           ; =>This Inner Loop Header: Depth=1
	v_add_u32_e32 v10, -8, v7
	scratch_load_dwordx4 v[194:197], v10, off
	ds_read_b128 v[198:201], v6
	v_add_u32_e32 v192, 1, v192
	v_cmp_lt_u32_e32 vcc, 57, v192
	v_add_u32_e32 v6, 16, v6
	v_add_u32_e32 v7, 16, v7
	s_or_b64 s[8:9], vcc, s[8:9]
	s_waitcnt vmcnt(0) lgkmcnt(0)
	v_mul_f64 v[10:11], v[200:201], v[196:197]
	v_mul_f64 v[52:53], v[198:199], v[196:197]
	v_fma_f64 v[10:11], v[198:199], v[194:195], -v[10:11]
	v_fmac_f64_e32 v[52:53], v[200:201], v[194:195]
	v_add_f64 v[2:3], v[2:3], v[10:11]
	v_add_f64 v[4:5], v[4:5], v[52:53]
	s_andn2_b64 exec, exec, s[8:9]
	s_cbranch_execnz .LBB124_1308
; %bb.1309:
	s_or_b64 exec, exec, s[8:9]
.LBB124_1310:
	s_or_b64 exec, exec, s[6:7]
	v_mov_b32_e32 v6, 0
	ds_read_b128 v[192:195], v6 offset:944
	s_waitcnt lgkmcnt(0)
	v_mul_f64 v[6:7], v[4:5], v[194:195]
	v_mul_f64 v[196:197], v[2:3], v[194:195]
	v_fma_f64 v[194:195], v[2:3], v[192:193], -v[6:7]
	v_fmac_f64_e32 v[196:197], v[4:5], v[192:193]
	scratch_store_dwordx4 off, v[194:197], off offset:944
.LBB124_1311:
	s_or_b64 exec, exec, s[4:5]
	scratch_load_dwordx4 v[2:5], v1, off
	v_cmp_ne_u32_e32 vcc, 60, v0
                                        ; implicit-def: $vgpr6_vgpr7
                                        ; implicit-def: $vgpr192
	s_waitcnt vmcnt(0)
	ds_write_b128 v9, v[2:5]
	s_waitcnt lgkmcnt(0)
	; wave barrier
	s_waitcnt lgkmcnt(0)
	s_and_saveexec_b64 s[4:5], vcc
	s_cbranch_execz .LBB124_1319
; %bb.1312:
	ds_read_b128 v[2:5], v9
	s_and_b64 vcc, exec, s[0:1]
	s_cbranch_vccnz .LBB124_1314
; %bb.1313:
	scratch_load_dwordx4 v[6:9], v8, off
	s_waitcnt vmcnt(0) lgkmcnt(0)
	v_mul_f64 v[10:11], v[4:5], v[8:9]
	v_mul_f64 v[8:9], v[2:3], v[8:9]
	v_fmac_f64_e32 v[8:9], v[4:5], v[6:7]
	v_fma_f64 v[2:3], v[2:3], v[6:7], -v[10:11]
	v_mov_b64_e32 v[4:5], v[8:9]
.LBB124_1314:
	s_and_saveexec_b64 s[0:1], s[2:3]
	s_cbranch_execz .LBB124_1318
; %bb.1315:
	v_mov_b32_e32 v7, 0
	v_add_u32_e32 v6, 0x3e0, v72
	v_add3_u32 v7, v72, v7, 24
	s_mov_b64 s[2:3], 0
.LBB124_1316:                           ; =>This Inner Loop Header: Depth=1
	v_add_u32_e32 v8, -8, v7
	scratch_load_dwordx4 v[192:195], v8, off
	ds_read_b128 v[196:199], v6
	v_add_u32_e32 v0, 1, v0
	v_cmp_lt_u32_e32 vcc, 58, v0
	v_add_u32_e32 v6, 16, v6
	v_add_u32_e32 v7, 16, v7
	s_or_b64 s[2:3], vcc, s[2:3]
	s_waitcnt vmcnt(0) lgkmcnt(0)
	v_mul_f64 v[8:9], v[198:199], v[194:195]
	v_mul_f64 v[10:11], v[196:197], v[194:195]
	v_fma_f64 v[8:9], v[196:197], v[192:193], -v[8:9]
	v_fmac_f64_e32 v[10:11], v[198:199], v[192:193]
	v_add_f64 v[2:3], v[2:3], v[8:9]
	v_add_f64 v[4:5], v[4:5], v[10:11]
	s_andn2_b64 exec, exec, s[2:3]
	s_cbranch_execnz .LBB124_1316
; %bb.1317:
	s_or_b64 exec, exec, s[2:3]
.LBB124_1318:
	s_or_b64 exec, exec, s[0:1]
	v_mov_b32_e32 v0, 0
	ds_read_b128 v[194:197], v0 offset:960
	v_mov_b32_e32 v0, 0
	v_add_u32_e32 v192, 0x3c8, v0
	s_or_b64 s[10:11], s[10:11], exec
	s_waitcnt lgkmcnt(0)
	v_mul_f64 v[8:9], v[4:5], v[196:197]
	v_mul_f64 v[6:7], v[2:3], v[196:197]
	v_fma_f64 v[2:3], v[2:3], v[194:195], -v[8:9]
	v_fmac_f64_e32 v[6:7], v[4:5], v[194:195]
	scratch_store_dwordx2 off, v[2:3], off offset:960
.LBB124_1319:
	s_or_b64 exec, exec, s[4:5]
.LBB124_1320:
	v_mov_b32_e32 v0, v214
	s_and_saveexec_b64 s[0:1], s[10:11]
	s_cbranch_execz .LBB124_1322
; %bb.1321:
	scratch_store_dwordx2 v192, v[6:7], off
.LBB124_1322:
	s_or_b64 exec, exec, s[0:1]
	scratch_load_dwordx4 v[2:5], off, off
	scratch_load_dwordx4 v[6:9], v191, off
	s_nop 0
	scratch_load_dwordx4 v[190:193], v190, off
	s_nop 0
	scratch_load_dwordx4 v[194:197], v189, off
	scratch_load_dwordx4 v[198:201], v188, off
	scratch_load_dwordx4 v[202:205], v187, off
	s_nop 0
	scratch_load_dwordx4 v[186:189], v186, off
	s_nop 0
	scratch_load_dwordx4 v[206:209], v185, off
	scratch_load_dwordx4 v[210:213], v184, off
	;; [unrolled: 6-line block ×5, first 2 shown]
	scratch_load_dwordx4 v[250:253], v171, off
	s_nop 0
	scratch_load_dwordx4 v[170:173], v170, off
	s_waitcnt vmcnt(22)
	global_store_dwordx4 v[12:13], v[2:5], off
	scratch_load_dwordx4 v[2:5], v169, off
	s_nop 0
	scratch_load_dwordx4 v[10:13], v168, off
	s_waitcnt vmcnt(24)
	global_store_dwordx4 v[14:15], v[6:9], off
	;; [unrolled: 5-line block ×19, first 2 shown]
	scratch_load_dwordx4 v[174:177], v0, off
	s_nop 0
	scratch_load_dwordx4 v[50:53], v1, off
	v_accvgpr_read_b32 v0, a0
	v_accvgpr_read_b32 v1, a1
	s_waitcnt vmcnt(60)
	global_store_dwordx4 v[254:255], v[242:245], off
	s_waitcnt vmcnt(60)
	global_store_dwordx4 v[0:1], v[246:249], off
	;; [unrolled: 2-line block ×42, first 2 shown]
.LBB124_1323:
	s_endpgm
	.section	.rodata,"a",@progbits
	.p2align	6, 0x0
	.amdhsa_kernel _ZN9rocsolver6v33100L18trti2_kernel_smallILi61E19rocblas_complex_numIdEPKPS3_EEv13rocblas_fill_17rocblas_diagonal_T1_iil
		.amdhsa_group_segment_fixed_size 1952
		.amdhsa_private_segment_fixed_size 992
		.amdhsa_kernarg_size 32
		.amdhsa_user_sgpr_count 2
		.amdhsa_user_sgpr_dispatch_ptr 0
		.amdhsa_user_sgpr_queue_ptr 0
		.amdhsa_user_sgpr_kernarg_segment_ptr 1
		.amdhsa_user_sgpr_dispatch_id 0
		.amdhsa_user_sgpr_kernarg_preload_length 0
		.amdhsa_user_sgpr_kernarg_preload_offset 0
		.amdhsa_user_sgpr_private_segment_size 0
		.amdhsa_uses_dynamic_stack 0
		.amdhsa_enable_private_segment 1
		.amdhsa_system_sgpr_workgroup_id_x 1
		.amdhsa_system_sgpr_workgroup_id_y 0
		.amdhsa_system_sgpr_workgroup_id_z 0
		.amdhsa_system_sgpr_workgroup_info 0
		.amdhsa_system_vgpr_workitem_id 0
		.amdhsa_next_free_vgpr 258
		.amdhsa_next_free_sgpr 24
		.amdhsa_accum_offset 256
		.amdhsa_reserve_vcc 1
		.amdhsa_float_round_mode_32 0
		.amdhsa_float_round_mode_16_64 0
		.amdhsa_float_denorm_mode_32 3
		.amdhsa_float_denorm_mode_16_64 3
		.amdhsa_dx10_clamp 1
		.amdhsa_ieee_mode 1
		.amdhsa_fp16_overflow 0
		.amdhsa_tg_split 0
		.amdhsa_exception_fp_ieee_invalid_op 0
		.amdhsa_exception_fp_denorm_src 0
		.amdhsa_exception_fp_ieee_div_zero 0
		.amdhsa_exception_fp_ieee_overflow 0
		.amdhsa_exception_fp_ieee_underflow 0
		.amdhsa_exception_fp_ieee_inexact 0
		.amdhsa_exception_int_div_zero 0
	.end_amdhsa_kernel
	.section	.text._ZN9rocsolver6v33100L18trti2_kernel_smallILi61E19rocblas_complex_numIdEPKPS3_EEv13rocblas_fill_17rocblas_diagonal_T1_iil,"axG",@progbits,_ZN9rocsolver6v33100L18trti2_kernel_smallILi61E19rocblas_complex_numIdEPKPS3_EEv13rocblas_fill_17rocblas_diagonal_T1_iil,comdat
.Lfunc_end124:
	.size	_ZN9rocsolver6v33100L18trti2_kernel_smallILi61E19rocblas_complex_numIdEPKPS3_EEv13rocblas_fill_17rocblas_diagonal_T1_iil, .Lfunc_end124-_ZN9rocsolver6v33100L18trti2_kernel_smallILi61E19rocblas_complex_numIdEPKPS3_EEv13rocblas_fill_17rocblas_diagonal_T1_iil
                                        ; -- End function
	.section	.AMDGPU.csdata,"",@progbits
; Kernel info:
; codeLenInByte = 80176
; NumSgprs: 30
; NumVgprs: 256
; NumAgprs: 2
; TotalNumVgprs: 258
; ScratchSize: 992
; MemoryBound: 0
; FloatMode: 240
; IeeeMode: 1
; LDSByteSize: 1952 bytes/workgroup (compile time only)
; SGPRBlocks: 3
; VGPRBlocks: 32
; NumSGPRsForWavesPerEU: 30
; NumVGPRsForWavesPerEU: 258
; AccumOffset: 256
; Occupancy: 1
; WaveLimiterHint : 1
; COMPUTE_PGM_RSRC2:SCRATCH_EN: 1
; COMPUTE_PGM_RSRC2:USER_SGPR: 2
; COMPUTE_PGM_RSRC2:TRAP_HANDLER: 0
; COMPUTE_PGM_RSRC2:TGID_X_EN: 1
; COMPUTE_PGM_RSRC2:TGID_Y_EN: 0
; COMPUTE_PGM_RSRC2:TGID_Z_EN: 0
; COMPUTE_PGM_RSRC2:TIDIG_COMP_CNT: 0
; COMPUTE_PGM_RSRC3_GFX90A:ACCUM_OFFSET: 63
; COMPUTE_PGM_RSRC3_GFX90A:TG_SPLIT: 0
	.section	.text._ZN9rocsolver6v33100L18trti2_kernel_smallILi62E19rocblas_complex_numIdEPKPS3_EEv13rocblas_fill_17rocblas_diagonal_T1_iil,"axG",@progbits,_ZN9rocsolver6v33100L18trti2_kernel_smallILi62E19rocblas_complex_numIdEPKPS3_EEv13rocblas_fill_17rocblas_diagonal_T1_iil,comdat
	.globl	_ZN9rocsolver6v33100L18trti2_kernel_smallILi62E19rocblas_complex_numIdEPKPS3_EEv13rocblas_fill_17rocblas_diagonal_T1_iil ; -- Begin function _ZN9rocsolver6v33100L18trti2_kernel_smallILi62E19rocblas_complex_numIdEPKPS3_EEv13rocblas_fill_17rocblas_diagonal_T1_iil
	.p2align	8
	.type	_ZN9rocsolver6v33100L18trti2_kernel_smallILi62E19rocblas_complex_numIdEPKPS3_EEv13rocblas_fill_17rocblas_diagonal_T1_iil,@function
_ZN9rocsolver6v33100L18trti2_kernel_smallILi62E19rocblas_complex_numIdEPKPS3_EEv13rocblas_fill_17rocblas_diagonal_T1_iil: ; @_ZN9rocsolver6v33100L18trti2_kernel_smallILi62E19rocblas_complex_numIdEPKPS3_EEv13rocblas_fill_17rocblas_diagonal_T1_iil
; %bb.0:
	v_cmp_gt_u32_e32 vcc, 62, v0
	s_and_saveexec_b64 s[4:5], vcc
	s_cbranch_execz .LBB125_1345
; %bb.1:
	s_load_dwordx2 s[8:9], s[0:1], 0x10
	s_load_dwordx4 s[4:7], s[0:1], 0x0
	s_ashr_i32 s3, s2, 31
	s_lshl_b64 s[0:1], s[2:3], 3
	v_lshlrev_b32_e32 v108, 4, v0
	s_waitcnt lgkmcnt(0)
	s_ashr_i32 s3, s8, 31
	s_add_u32 s0, s6, s0
	s_addc_u32 s1, s7, s1
	s_load_dwordx2 s[0:1], s[0:1], 0x0
	s_mov_b32 s2, s8
	s_lshl_b64 s[2:3], s[2:3], 4
	v_mov_b32_e32 v109, 0
	s_mov_b32 s6, s9
	s_waitcnt lgkmcnt(0)
	s_add_u32 s0, s0, s2
	s_addc_u32 s1, s1, s3
	global_load_dwordx4 v[6:9], v108, s[0:1]
	s_add_i32 s2, s9, s9
	v_add_u32_e32 v2, s2, v0
	v_add_u32_e32 v4, s9, v2
	v_ashrrev_i32_e32 v3, 31, v2
	v_add_u32_e32 v10, s9, v4
	v_lshl_add_u64 v[14:15], v[2:3], 4, s[0:1]
	v_add_u32_e32 v2, s9, v10
	v_ashrrev_i32_e32 v11, 31, v10
	v_add_u32_e32 v12, s9, v2
	v_lshl_add_u64 v[16:17], v[10:11], 4, s[0:1]
	v_add_u32_e32 v10, s9, v12
	v_add_u32_e32 v26, s9, v10
	;; [unrolled: 1-line block ×53, first 2 shown]
	v_ashrrev_i32_e32 v3, 31, v2
	v_add_u32_e32 v252, s9, v250
	v_lshl_add_u64 v[24:25], v[2:3], 4, s[0:1]
	v_add_u32_e32 v2, s9, v252
	s_ashr_i32 s7, s9, 31
	v_lshl_add_u64 v[22:23], s[0:1], 0, v[108:109]
	v_ashrrev_i32_e32 v5, 31, v4
	v_ashrrev_i32_e32 v3, 31, v2
	;; [unrolled: 1-line block ×4, first 2 shown]
	v_lshl_add_u64 v[18:19], s[6:7], 4, v[22:23]
	v_lshl_add_u64 v[20:21], v[4:5], 4, s[0:1]
	;; [unrolled: 1-line block ×4, first 2 shown]
	v_ashrrev_i32_e32 v29, 31, v28
	v_ashrrev_i32_e32 v33, 31, v32
	;; [unrolled: 1-line block ×6, first 2 shown]
	v_lshl_add_u64 v[10:11], v[64:65], 4, s[0:1]
	global_load_dwordx4 v[76:79], v[18:19], off
	global_load_dwordx4 v[80:83], v[14:15], off
	global_load_dwordx4 v[84:87], v[20:21], off
	global_load_dwordx4 v[88:91], v[16:17], off
	v_accvgpr_write_b32 a0, v2
	s_waitcnt vmcnt(4)
	scratch_store_dwordx4 off, v[6:9], off
	v_ashrrev_i32_e32 v13, 31, v12
	v_ashrrev_i32_e32 v27, 31, v26
	v_lshl_add_u64 v[58:59], v[28:29], 4, s[0:1]
	v_ashrrev_i32_e32 v31, 31, v30
	v_lshl_add_u64 v[50:51], v[32:33], 4, s[0:1]
	v_lshl_add_u64 v[44:45], v[34:35], 4, s[0:1]
	;; [unrolled: 1-line block ×3, first 2 shown]
	v_ashrrev_i32_e32 v39, 31, v38
	v_lshl_add_u64 v[42:43], v[40:41], 4, s[0:1]
	v_ashrrev_i32_e32 v53, 31, v52
	v_lshl_add_u64 v[34:35], v[56:57], 4, s[0:1]
	v_accvgpr_write_b32 a4, v10
	v_ashrrev_i32_e32 v67, 31, v66
	v_ashrrev_i32_e32 v69, 31, v68
	v_ashrrev_i32_e32 v71, 31, v70
	v_ashrrev_i32_e32 v73, 31, v72
	v_ashrrev_i32_e32 v75, 31, v74
	v_ashrrev_i32_e32 v171, 31, v170
	v_ashrrev_i32_e32 v179, 31, v178
	v_ashrrev_i32_e32 v187, 31, v186
	v_accvgpr_write_b32 a1, v3
	global_load_dwordx4 v[2:5], v[2:3], off
	v_lshl_add_u64 v[60:61], v[12:13], 4, s[0:1]
	global_load_dwordx4 v[6:9], v[24:25], off
	global_load_dwordx4 v[92:95], v[60:61], off
	v_lshl_add_u64 v[54:55], v[26:27], 4, s[0:1]
	global_load_dwordx4 v[96:99], v[62:63], off
	;; [unrolled: 3-line block ×3, first 2 shown]
	global_load_dwordx4 v[110:113], v[48:49], off
	global_load_dwordx4 v[114:117], v[50:51], off
	;; [unrolled: 1-line block ×3, first 2 shown]
	v_lshl_add_u64 v[38:39], v[38:39], 4, s[0:1]
	global_load_dwordx4 v[122:125], v[46:47], off
	global_load_dwordx4 v[126:129], v[38:39], off
	v_lshl_add_u64 v[32:33], v[52:53], 4, s[0:1]
	global_load_dwordx4 v[130:133], v[42:43], off
	global_load_dwordx4 v[134:137], v[32:33], off
	global_load_dwordx4 v[138:141], v[34:35], off
	global_load_dwordx4 v[142:145], v[10:11], off
	v_accvgpr_write_b32 a5, v11
	v_lshl_add_u64 v[40:41], v[66:67], 4, s[0:1]
	v_lshl_add_u64 v[10:11], v[68:69], 4, s[0:1]
	;; [unrolled: 1-line block ×5, first 2 shown]
	v_ashrrev_i32_e32 v163, 31, v162
	v_lshl_add_u64 v[64:65], v[170:171], 4, s[0:1]
	v_ashrrev_i32_e32 v173, 31, v172
	v_lshl_add_u64 v[68:69], v[178:179], 4, s[0:1]
	;; [unrolled: 2-line block ×3, first 2 shown]
	v_ashrrev_i32_e32 v189, 31, v188
	global_load_dwordx4 v[146:149], v[40:41], off
	global_load_dwordx4 v[150:153], v[10:11], off
	;; [unrolled: 1-line block ×4, first 2 shown]
	v_lshl_add_u64 v[56:57], v[162:163], 4, s[0:1]
	global_load_dwordx4 v[162:165], v[52:53], off
	global_load_dwordx4 v[166:169], v[56:57], off
	v_lshl_add_u64 v[66:67], v[172:173], 4, s[0:1]
	global_load_dwordx4 v[170:173], v[64:65], off
	global_load_dwordx4 v[174:177], v[66:67], off
	;; [unrolled: 3-line block ×4, first 2 shown]
	v_ashrrev_i32_e32 v195, 31, v194
	v_ashrrev_i32_e32 v199, 31, v198
	;; [unrolled: 1-line block ×15, first 2 shown]
	s_waitcnt vmcnt(31)
	scratch_store_dwordx4 off, v[76:79], off offset:16
	s_waitcnt vmcnt(31)
	scratch_store_dwordx4 off, v[80:83], off offset:32
	;; [unrolled: 2-line block ×30, first 2 shown]
	v_lshl_add_u64 v[76:77], v[194:195], 4, s[0:1]
	v_ashrrev_i32_e32 v197, 31, v196
	v_lshl_add_u64 v[80:81], v[198:199], 4, s[0:1]
	v_ashrrev_i32_e32 v201, 31, v200
	;; [unrolled: 2-line block ×15, first 2 shown]
	v_lshl_add_u64 v[78:79], v[196:197], 4, s[0:1]
	global_load_dwordx4 v[6:9], v[76:77], off
	global_load_dwordx4 v[138:141], v[78:79], off
	v_lshl_add_u64 v[82:83], v[200:201], 4, s[0:1]
	global_load_dwordx4 v[142:145], v[80:81], off
	global_load_dwordx4 v[146:149], v[82:83], off
	;; [unrolled: 3-line block ×15, first 2 shown]
	v_accvgpr_write_b32 a2, v10
	s_cmpk_lg_i32 s5, 0x84
	v_accvgpr_write_b32 a3, v11
	s_cselect_b64 s[6:7], -1, 0
	s_cmpk_eq_i32 s5, 0x84
	v_mov_b32_e32 v1, 0
	s_waitcnt vmcnt(29)
	scratch_store_dwordx4 off, v[6:9], off offset:496
	s_waitcnt vmcnt(29)
	scratch_store_dwordx4 off, v[138:141], off offset:512
	;; [unrolled: 2-line block ×30, first 2 shown]
	scratch_store_dwordx4 off, v[2:5], off offset:976
	s_cbranch_scc1 .LBB125_7
; %bb.2:
	scratch_load_dwordx4 v[8:11], v108, off
                                        ; implicit-def: $vgpr6_vgpr7
	s_waitcnt vmcnt(0)
	v_xor_b32_e32 v3, 0x80000000, v9
	v_cmp_gt_f64_e32 vcc, 0, v[8:9]
	v_xor_b32_e32 v4, 0x80000000, v11
	v_mov_b32_e32 v2, v8
	v_cndmask_b32_e32 v3, v9, v3, vcc
	v_cmp_gt_f64_e32 vcc, 0, v[10:11]
	s_nop 1
	v_cndmask_b32_e32 v5, v11, v4, vcc
	v_mov_b32_e32 v4, v10
	v_cmp_ngt_f64_e32 vcc, v[2:3], v[4:5]
                                        ; implicit-def: $vgpr2_vgpr3
	s_and_saveexec_b64 s[0:1], vcc
	s_xor_b64 s[0:1], exec, s[0:1]
	s_cbranch_execz .LBB125_4
; %bb.3:
	v_div_scale_f64 v[2:3], s[2:3], v[10:11], v[10:11], v[8:9]
	v_rcp_f64_e32 v[4:5], v[2:3]
	v_div_scale_f64 v[6:7], vcc, v[8:9], v[10:11], v[8:9]
	v_fma_f64 v[12:13], -v[2:3], v[4:5], 1.0
	v_fmac_f64_e32 v[4:5], v[4:5], v[12:13]
	v_fma_f64 v[12:13], -v[2:3], v[4:5], 1.0
	v_fmac_f64_e32 v[4:5], v[4:5], v[12:13]
	v_mul_f64 v[12:13], v[6:7], v[4:5]
	v_fma_f64 v[2:3], -v[2:3], v[12:13], v[6:7]
	v_div_fmas_f64 v[2:3], v[2:3], v[4:5], v[12:13]
	v_div_fixup_f64 v[2:3], v[2:3], v[10:11], v[8:9]
	v_fmac_f64_e32 v[10:11], v[8:9], v[2:3]
	v_div_scale_f64 v[4:5], s[2:3], v[10:11], v[10:11], 1.0
	v_rcp_f64_e32 v[6:7], v[4:5]
	s_nop 0
	v_fma_f64 v[8:9], -v[4:5], v[6:7], 1.0
	v_fmac_f64_e32 v[6:7], v[6:7], v[8:9]
	v_fma_f64 v[8:9], -v[4:5], v[6:7], 1.0
	v_fmac_f64_e32 v[6:7], v[6:7], v[8:9]
	v_div_scale_f64 v[8:9], vcc, 1.0, v[10:11], 1.0
	v_mul_f64 v[12:13], v[8:9], v[6:7]
	v_fma_f64 v[4:5], -v[4:5], v[12:13], v[8:9]
                                        ; implicit-def: $vgpr8_vgpr9
	s_nop 1
	v_div_fmas_f64 v[4:5], v[4:5], v[6:7], v[12:13]
	v_div_fixup_f64 v[4:5], v[4:5], v[10:11], 1.0
	v_mul_f64 v[2:3], v[2:3], v[4:5]
	v_xor_b32_e32 v5, 0x80000000, v5
	v_xor_b32_e32 v7, 0x80000000, v3
	v_mov_b32_e32 v6, v2
.LBB125_4:
	s_or_saveexec_b64 s[0:1], s[0:1]
	v_add_u32_e32 v109, 0, v108
	s_xor_b64 exec, exec, s[0:1]
	s_cbranch_execz .LBB125_6
; %bb.5:
	v_div_scale_f64 v[2:3], s[2:3], v[8:9], v[8:9], v[10:11]
	v_rcp_f64_e32 v[4:5], v[2:3]
	v_div_scale_f64 v[6:7], vcc, v[10:11], v[8:9], v[10:11]
	v_fma_f64 v[12:13], -v[2:3], v[4:5], 1.0
	v_fmac_f64_e32 v[4:5], v[4:5], v[12:13]
	v_fma_f64 v[12:13], -v[2:3], v[4:5], 1.0
	v_fmac_f64_e32 v[4:5], v[4:5], v[12:13]
	v_mul_f64 v[12:13], v[6:7], v[4:5]
	v_fma_f64 v[2:3], -v[2:3], v[12:13], v[6:7]
	v_div_fmas_f64 v[2:3], v[2:3], v[4:5], v[12:13]
	v_div_fixup_f64 v[4:5], v[2:3], v[8:9], v[10:11]
	v_fmac_f64_e32 v[8:9], v[10:11], v[4:5]
	v_div_scale_f64 v[2:3], s[2:3], v[8:9], v[8:9], 1.0
	v_rcp_f64_e32 v[6:7], v[2:3]
	s_nop 0
	v_fma_f64 v[10:11], -v[2:3], v[6:7], 1.0
	v_fmac_f64_e32 v[6:7], v[6:7], v[10:11]
	v_fma_f64 v[10:11], -v[2:3], v[6:7], 1.0
	v_fmac_f64_e32 v[6:7], v[6:7], v[10:11]
	v_div_scale_f64 v[10:11], vcc, 1.0, v[8:9], 1.0
	v_mul_f64 v[12:13], v[10:11], v[6:7]
	v_fma_f64 v[2:3], -v[2:3], v[12:13], v[10:11]
	s_nop 1
	v_div_fmas_f64 v[2:3], v[2:3], v[6:7], v[12:13]
	v_div_fixup_f64 v[2:3], v[2:3], v[8:9], 1.0
	v_xor_b32_e32 v7, 0x80000000, v3
	v_mov_b32_e32 v6, v2
	v_mul_f64 v[4:5], v[4:5], -v[2:3]
.LBB125_6:
	s_or_b64 exec, exec, s[0:1]
	scratch_store_dwordx4 v109, v[2:5], off
	s_nop 1
	v_xor_b32_e32 v5, 0x80000000, v5
	s_branch .LBB125_8
.LBB125_7:
	s_nop 0
	v_mov_b64_e32 v[4:5], 0
	v_mov_b64_e32 v[6:7], -1.0
.LBB125_8:
	v_mov_b32_e32 v8, v4
	v_mov_b32_e32 v9, v5
	v_add_u32_e32 v194, 16, v1
	v_add_u32_e32 v193, 32, v1
	;; [unrolled: 1-line block ×61, first 2 shown]
	ds_write_b128 v108, v[6:9]
	s_cmpk_eq_i32 s4, 0x79
	v_add_u32_e32 v9, 0x3e0, v108
	v_add_u32_e32 v8, 0, v108
	s_cbranch_scc1 .LBB125_846
; %bb.9:
	scratch_load_dwordx4 v[2:5], v140, off
	v_cmp_eq_u32_e64 s[0:1], 61, v0
	s_waitcnt vmcnt(0)
	ds_write_b128 v9, v[2:5]
	s_waitcnt lgkmcnt(0)
	; wave barrier
	s_waitcnt lgkmcnt(0)
	s_and_saveexec_b64 s[2:3], s[0:1]
	s_cbranch_execz .LBB125_13
; %bb.10:
	ds_read_b128 v[2:5], v9
	s_andn2_b64 vcc, exec, s[6:7]
	s_cbranch_vccnz .LBB125_12
; %bb.11:
	scratch_load_dwordx4 v[196:199], v8, off
	s_waitcnt vmcnt(0) lgkmcnt(0)
	v_mul_f64 v[26:27], v[2:3], v[198:199]
	v_mul_f64 v[6:7], v[4:5], v[198:199]
	v_fmac_f64_e32 v[26:27], v[4:5], v[196:197]
	v_fma_f64 v[2:3], v[2:3], v[196:197], -v[6:7]
	v_mov_b64_e32 v[4:5], v[26:27]
.LBB125_12:
	v_mov_b32_e32 v6, 0
	ds_read_b128 v[196:199], v6 offset:960
	s_waitcnt lgkmcnt(0)
	v_mul_f64 v[6:7], v[4:5], v[198:199]
	v_mul_f64 v[200:201], v[2:3], v[198:199]
	v_fma_f64 v[198:199], v[2:3], v[196:197], -v[6:7]
	v_fmac_f64_e32 v[200:201], v[4:5], v[196:197]
	scratch_store_dwordx4 off, v[198:201], off offset:960
.LBB125_13:
	s_or_b64 exec, exec, s[2:3]
	scratch_load_dwordx4 v[2:5], v141, off
	v_cmp_lt_u32_e64 s[2:3], 59, v0
	s_waitcnt vmcnt(0)
	ds_write_b128 v9, v[2:5]
	s_waitcnt lgkmcnt(0)
	; wave barrier
	s_waitcnt lgkmcnt(0)
	s_and_saveexec_b64 s[4:5], s[2:3]
	s_cbranch_execz .LBB125_19
; %bb.14:
	ds_read_b128 v[2:5], v9
	s_andn2_b64 vcc, exec, s[6:7]
	s_cbranch_vccnz .LBB125_16
; %bb.15:
	scratch_load_dwordx4 v[196:199], v8, off
	s_waitcnt vmcnt(0) lgkmcnt(0)
	v_mul_f64 v[26:27], v[2:3], v[198:199]
	v_mul_f64 v[6:7], v[4:5], v[198:199]
	v_fmac_f64_e32 v[26:27], v[4:5], v[196:197]
	v_fma_f64 v[2:3], v[2:3], v[196:197], -v[6:7]
	v_mov_b64_e32 v[4:5], v[26:27]
.LBB125_16:
	s_and_saveexec_b64 s[8:9], s[0:1]
	s_cbranch_execz .LBB125_18
; %bb.17:
	scratch_load_dwordx4 v[196:199], off, off offset:960
	v_mov_b32_e32 v6, 0
	ds_read_b128 v[200:203], v6 offset:1952
	s_waitcnt vmcnt(0) lgkmcnt(0)
	v_mul_f64 v[6:7], v[200:201], v[198:199]
	v_mul_f64 v[26:27], v[202:203], v[198:199]
	v_fmac_f64_e32 v[6:7], v[202:203], v[196:197]
	v_fma_f64 v[26:27], v[200:201], v[196:197], -v[26:27]
	v_add_f64 v[4:5], v[4:5], v[6:7]
	v_add_f64 v[2:3], v[2:3], v[26:27]
.LBB125_18:
	s_or_b64 exec, exec, s[8:9]
	v_mov_b32_e32 v6, 0
	ds_read_b128 v[196:199], v6 offset:944
	s_waitcnt lgkmcnt(0)
	v_mul_f64 v[6:7], v[4:5], v[198:199]
	v_mul_f64 v[200:201], v[2:3], v[198:199]
	v_fma_f64 v[198:199], v[2:3], v[196:197], -v[6:7]
	v_fmac_f64_e32 v[200:201], v[4:5], v[196:197]
	scratch_store_dwordx4 off, v[198:201], off offset:944
.LBB125_19:
	s_or_b64 exec, exec, s[4:5]
	scratch_load_dwordx4 v[2:5], v142, off
	v_cmp_lt_u32_e64 s[0:1], 58, v0
	s_waitcnt vmcnt(0)
	ds_write_b128 v9, v[2:5]
	s_waitcnt lgkmcnt(0)
	; wave barrier
	s_waitcnt lgkmcnt(0)
	s_and_saveexec_b64 s[4:5], s[0:1]
	s_cbranch_execz .LBB125_33
; %bb.20:
	ds_read_b128 v[2:5], v9
	s_andn2_b64 vcc, exec, s[6:7]
	s_cbranch_vccnz .LBB125_22
; %bb.21:
	scratch_load_dwordx4 v[196:199], v8, off
	s_waitcnt vmcnt(0) lgkmcnt(0)
	v_mul_f64 v[26:27], v[2:3], v[198:199]
	v_mul_f64 v[6:7], v[4:5], v[198:199]
	v_fmac_f64_e32 v[26:27], v[4:5], v[196:197]
	v_fma_f64 v[2:3], v[2:3], v[196:197], -v[6:7]
	v_mov_b64_e32 v[4:5], v[26:27]
.LBB125_22:
	s_and_saveexec_b64 s[8:9], s[2:3]
	s_cbranch_execz .LBB125_32
; %bb.23:
	v_subrev_u32_e32 v7, 60, v0
	v_subrev_u32_e32 v6, 59, v0
	v_cmp_lt_u32_e32 vcc, 6, v7
	v_mov_b32_e32 v196, 59
	s_and_saveexec_b64 s[2:3], vcc
	s_cbranch_execz .LBB125_27
; %bb.24:
	v_and_b32_e32 v7, -8, v6
	s_mov_b32 s12, 0
	s_mov_b64 s[10:11], 0
	v_mov_b32_e32 v195, 0
	s_mov_b32 s13, 0
.LBB125_25:                             ; =>This Inner Loop Header: Depth=1
	v_readfirstlane_b32 s14, v195
	s_add_i32 s14, s14, s12
	s_add_i32 s15, s14, 0x3b0
	v_mov_b32_e32 v13, s12
	ds_read_b128 v[196:199], v13 offset:1936
	ds_read_b128 v[200:203], v13 offset:1952
	;; [unrolled: 1-line block ×4, first 2 shown]
	scratch_load_dwordx4 v[212:215], off, s15
	s_add_i32 s15, s14, 0x3c0
	s_addk_i32 s12, 0x80
	s_waitcnt vmcnt(0) lgkmcnt(3)
	v_mul_f64 v[26:27], v[198:199], v[214:215]
	v_mul_f64 v[28:29], v[196:197], v[214:215]
	v_fma_f64 v[26:27], v[196:197], v[212:213], -v[26:27]
	v_fmac_f64_e32 v[28:29], v[198:199], v[212:213]
	v_add_f64 v[26:27], v[2:3], v[26:27]
	v_add_f64 v[28:29], v[4:5], v[28:29]
	scratch_load_dwordx4 v[2:5], off, s15
	s_add_i32 s15, s14, 0x3d0
	s_waitcnt vmcnt(0) lgkmcnt(2)
	v_mul_f64 v[36:37], v[202:203], v[4:5]
	v_mul_f64 v[4:5], v[200:201], v[4:5]
	v_fmac_f64_e32 v[4:5], v[202:203], v[2:3]
	v_fma_f64 v[36:37], v[200:201], v[2:3], -v[36:37]
	v_add_f64 v[28:29], v[28:29], v[4:5]
	scratch_load_dwordx4 v[2:5], off, s15
	v_add_f64 v[26:27], v[26:27], v[36:37]
	s_add_i32 s15, s14, 0x3e0
	s_waitcnt vmcnt(0) lgkmcnt(1)
	v_mul_f64 v[36:37], v[206:207], v[4:5]
	v_mul_f64 v[4:5], v[204:205], v[4:5]
	v_fmac_f64_e32 v[4:5], v[206:207], v[2:3]
	v_fma_f64 v[36:37], v[204:205], v[2:3], -v[36:37]
	v_add_f64 v[28:29], v[28:29], v[4:5]
	scratch_load_dwordx4 v[2:5], off, s15
	s_add_i32 s15, s14, 0x3f0
	scratch_load_dwordx4 v[196:199], off, s15
	v_add_f64 v[26:27], v[26:27], v[36:37]
	s_add_i32 s15, s14, 0x400
	s_waitcnt vmcnt(1) lgkmcnt(0)
	v_mul_f64 v[36:37], v[210:211], v[4:5]
	v_mul_f64 v[4:5], v[208:209], v[4:5]
	v_fmac_f64_e32 v[4:5], v[210:211], v[2:3]
	v_fma_f64 v[36:37], v[208:209], v[2:3], -v[36:37]
	v_add_f64 v[28:29], v[28:29], v[4:5]
	ds_read_b128 v[2:5], v13 offset:2000
	v_add_f64 v[26:27], v[26:27], v[36:37]
	s_waitcnt vmcnt(0) lgkmcnt(0)
	v_mul_f64 v[36:37], v[4:5], v[198:199]
	v_fma_f64 v[36:37], v[2:3], v[196:197], -v[36:37]
	v_mul_f64 v[2:3], v[2:3], v[198:199]
	v_fmac_f64_e32 v[2:3], v[4:5], v[196:197]
	scratch_load_dwordx4 v[196:199], off, s15
	v_add_f64 v[28:29], v[28:29], v[2:3]
	ds_read_b128 v[2:5], v13 offset:2016
	v_add_f64 v[26:27], v[26:27], v[36:37]
	s_add_i32 s15, s14, 0x410
	s_addk_i32 s14, 0x420
	s_waitcnt vmcnt(0) lgkmcnt(0)
	v_mul_f64 v[36:37], v[4:5], v[198:199]
	v_fma_f64 v[36:37], v[2:3], v[196:197], -v[36:37]
	v_mul_f64 v[2:3], v[2:3], v[198:199]
	v_fmac_f64_e32 v[2:3], v[4:5], v[196:197]
	scratch_load_dwordx4 v[196:199], off, s15
	v_add_f64 v[28:29], v[28:29], v[2:3]
	ds_read_b128 v[2:5], v13 offset:2032
	v_add_f64 v[26:27], v[26:27], v[36:37]
	s_waitcnt vmcnt(0) lgkmcnt(0)
	v_mul_f64 v[36:37], v[4:5], v[198:199]
	v_fma_f64 v[36:37], v[2:3], v[196:197], -v[36:37]
	v_mul_f64 v[2:3], v[2:3], v[198:199]
	v_fmac_f64_e32 v[2:3], v[4:5], v[196:197]
	scratch_load_dwordx4 v[196:199], off, s14
	v_add_f64 v[28:29], v[28:29], v[2:3]
	ds_read_b128 v[2:5], v13 offset:2048
	v_add_f64 v[26:27], v[26:27], v[36:37]
	s_add_i32 s14, s13, 8
	v_cmp_eq_u32_e32 vcc, s14, v7
	s_addk_i32 s13, 0x43
	s_or_b64 s[10:11], vcc, s[10:11]
	s_waitcnt vmcnt(0) lgkmcnt(0)
	v_mul_f64 v[36:37], v[4:5], v[198:199]
	v_mul_f64 v[138:139], v[2:3], v[198:199]
	v_fma_f64 v[36:37], v[2:3], v[196:197], -v[36:37]
	v_fmac_f64_e32 v[138:139], v[4:5], v[196:197]
	v_add_f64 v[2:3], v[26:27], v[36:37]
	v_add_f64 v[4:5], v[28:29], v[138:139]
	v_mov_b32_e32 v196, s13
	s_mov_b32 s13, s14
	s_andn2_b64 exec, exec, s[10:11]
	s_cbranch_execnz .LBB125_25
; %bb.26:
	s_or_b64 exec, exec, s[10:11]
.LBB125_27:
	s_or_b64 exec, exec, s[2:3]
	v_and_b32_e32 v6, 7, v6
	v_cmp_ne_u32_e32 vcc, 0, v6
	s_and_saveexec_b64 s[2:3], vcc
	s_cbranch_execz .LBB125_31
; %bb.28:
	v_lshlrev_b32_e32 v13, 4, v196
	v_add_u32_e32 v7, 0x3e0, v13
	v_add_u32_e32 v195, 0, v13
	s_mov_b64 s[10:11], 0
.LBB125_29:                             ; =>This Inner Loop Header: Depth=1
	scratch_load_dwordx4 v[196:199], v195, off
	ds_read_b128 v[200:203], v7
	v_add_u32_e32 v6, -1, v6
	v_cmp_eq_u32_e32 vcc, 0, v6
	v_add_u32_e32 v7, 16, v7
	v_add_u32_e32 v195, 16, v195
	s_or_b64 s[10:11], vcc, s[10:11]
	s_waitcnt vmcnt(0) lgkmcnt(0)
	v_mul_f64 v[26:27], v[202:203], v[198:199]
	v_mul_f64 v[28:29], v[200:201], v[198:199]
	v_fma_f64 v[26:27], v[200:201], v[196:197], -v[26:27]
	v_fmac_f64_e32 v[28:29], v[202:203], v[196:197]
	v_add_f64 v[2:3], v[2:3], v[26:27]
	v_add_f64 v[4:5], v[4:5], v[28:29]
	s_andn2_b64 exec, exec, s[10:11]
	s_cbranch_execnz .LBB125_29
; %bb.30:
	s_or_b64 exec, exec, s[10:11]
.LBB125_31:
	s_or_b64 exec, exec, s[2:3]
.LBB125_32:
	s_or_b64 exec, exec, s[8:9]
	v_mov_b32_e32 v6, 0
	ds_read_b128 v[196:199], v6 offset:928
	s_waitcnt lgkmcnt(0)
	v_mul_f64 v[6:7], v[4:5], v[198:199]
	v_mul_f64 v[200:201], v[2:3], v[198:199]
	v_fma_f64 v[198:199], v[2:3], v[196:197], -v[6:7]
	v_fmac_f64_e32 v[200:201], v[4:5], v[196:197]
	scratch_store_dwordx4 off, v[198:201], off offset:928
.LBB125_33:
	s_or_b64 exec, exec, s[4:5]
	scratch_load_dwordx4 v[2:5], v143, off
	v_cmp_lt_u32_e64 s[2:3], 57, v0
	s_waitcnt vmcnt(0)
	ds_write_b128 v9, v[2:5]
	s_waitcnt lgkmcnt(0)
	; wave barrier
	s_waitcnt lgkmcnt(0)
	s_and_saveexec_b64 s[4:5], s[2:3]
	s_cbranch_execz .LBB125_47
; %bb.34:
	ds_read_b128 v[2:5], v9
	s_andn2_b64 vcc, exec, s[6:7]
	s_cbranch_vccnz .LBB125_36
; %bb.35:
	scratch_load_dwordx4 v[196:199], v8, off
	s_waitcnt vmcnt(0) lgkmcnt(0)
	v_mul_f64 v[26:27], v[2:3], v[198:199]
	v_mul_f64 v[6:7], v[4:5], v[198:199]
	v_fmac_f64_e32 v[26:27], v[4:5], v[196:197]
	v_fma_f64 v[2:3], v[2:3], v[196:197], -v[6:7]
	v_mov_b64_e32 v[4:5], v[26:27]
.LBB125_36:
	s_and_saveexec_b64 s[8:9], s[0:1]
	s_cbranch_execz .LBB125_46
; %bb.37:
	v_subrev_u32_e32 v7, 59, v0
	v_subrev_u32_e32 v6, 58, v0
	v_cmp_lt_u32_e32 vcc, 6, v7
	v_mov_b32_e32 v196, 58
	s_and_saveexec_b64 s[0:1], vcc
	s_cbranch_execz .LBB125_41
; %bb.38:
	v_and_b32_e32 v7, -8, v6
	s_mov_b32 s12, 0
	s_mov_b64 s[10:11], 0
	v_mov_b32_e32 v195, 0
	s_mov_b32 s13, 0
.LBB125_39:                             ; =>This Inner Loop Header: Depth=1
	v_readfirstlane_b32 s14, v195
	s_add_i32 s14, s14, s12
	s_add_i32 s15, s14, 0x3a0
	v_mov_b32_e32 v13, s12
	ds_read_b128 v[196:199], v13 offset:1920
	ds_read_b128 v[200:203], v13 offset:1936
	;; [unrolled: 1-line block ×4, first 2 shown]
	scratch_load_dwordx4 v[212:215], off, s15
	s_add_i32 s15, s14, 0x3b0
	s_addk_i32 s12, 0x80
	s_waitcnt vmcnt(0) lgkmcnt(3)
	v_mul_f64 v[26:27], v[198:199], v[214:215]
	v_mul_f64 v[28:29], v[196:197], v[214:215]
	v_fma_f64 v[26:27], v[196:197], v[212:213], -v[26:27]
	v_fmac_f64_e32 v[28:29], v[198:199], v[212:213]
	v_add_f64 v[26:27], v[2:3], v[26:27]
	v_add_f64 v[28:29], v[4:5], v[28:29]
	scratch_load_dwordx4 v[2:5], off, s15
	s_add_i32 s15, s14, 0x3c0
	s_waitcnt vmcnt(0) lgkmcnt(2)
	v_mul_f64 v[36:37], v[202:203], v[4:5]
	v_mul_f64 v[4:5], v[200:201], v[4:5]
	v_fmac_f64_e32 v[4:5], v[202:203], v[2:3]
	v_fma_f64 v[36:37], v[200:201], v[2:3], -v[36:37]
	v_add_f64 v[28:29], v[28:29], v[4:5]
	scratch_load_dwordx4 v[2:5], off, s15
	v_add_f64 v[26:27], v[26:27], v[36:37]
	s_add_i32 s15, s14, 0x3d0
	s_waitcnt vmcnt(0) lgkmcnt(1)
	v_mul_f64 v[36:37], v[206:207], v[4:5]
	v_mul_f64 v[4:5], v[204:205], v[4:5]
	v_fmac_f64_e32 v[4:5], v[206:207], v[2:3]
	v_fma_f64 v[36:37], v[204:205], v[2:3], -v[36:37]
	v_add_f64 v[28:29], v[28:29], v[4:5]
	scratch_load_dwordx4 v[2:5], off, s15
	s_add_i32 s15, s14, 0x3e0
	scratch_load_dwordx4 v[196:199], off, s15
	v_add_f64 v[26:27], v[26:27], v[36:37]
	s_add_i32 s15, s14, 0x3f0
	s_waitcnt vmcnt(1) lgkmcnt(0)
	v_mul_f64 v[36:37], v[210:211], v[4:5]
	v_mul_f64 v[4:5], v[208:209], v[4:5]
	v_fmac_f64_e32 v[4:5], v[210:211], v[2:3]
	v_fma_f64 v[36:37], v[208:209], v[2:3], -v[36:37]
	v_add_f64 v[28:29], v[28:29], v[4:5]
	ds_read_b128 v[2:5], v13 offset:1984
	v_add_f64 v[26:27], v[26:27], v[36:37]
	s_waitcnt vmcnt(0) lgkmcnt(0)
	v_mul_f64 v[36:37], v[4:5], v[198:199]
	v_fma_f64 v[36:37], v[2:3], v[196:197], -v[36:37]
	v_mul_f64 v[2:3], v[2:3], v[198:199]
	v_fmac_f64_e32 v[2:3], v[4:5], v[196:197]
	scratch_load_dwordx4 v[196:199], off, s15
	v_add_f64 v[28:29], v[28:29], v[2:3]
	ds_read_b128 v[2:5], v13 offset:2000
	v_add_f64 v[26:27], v[26:27], v[36:37]
	s_add_i32 s15, s14, 0x400
	s_addk_i32 s14, 0x410
	s_waitcnt vmcnt(0) lgkmcnt(0)
	v_mul_f64 v[36:37], v[4:5], v[198:199]
	v_fma_f64 v[36:37], v[2:3], v[196:197], -v[36:37]
	v_mul_f64 v[2:3], v[2:3], v[198:199]
	v_fmac_f64_e32 v[2:3], v[4:5], v[196:197]
	scratch_load_dwordx4 v[196:199], off, s15
	v_add_f64 v[28:29], v[28:29], v[2:3]
	ds_read_b128 v[2:5], v13 offset:2016
	v_add_f64 v[26:27], v[26:27], v[36:37]
	s_waitcnt vmcnt(0) lgkmcnt(0)
	v_mul_f64 v[36:37], v[4:5], v[198:199]
	v_fma_f64 v[36:37], v[2:3], v[196:197], -v[36:37]
	v_mul_f64 v[2:3], v[2:3], v[198:199]
	v_fmac_f64_e32 v[2:3], v[4:5], v[196:197]
	scratch_load_dwordx4 v[196:199], off, s14
	v_add_f64 v[28:29], v[28:29], v[2:3]
	ds_read_b128 v[2:5], v13 offset:2032
	v_add_f64 v[26:27], v[26:27], v[36:37]
	s_add_i32 s14, s13, 8
	v_cmp_eq_u32_e32 vcc, s14, v7
	s_addk_i32 s13, 0x42
	s_or_b64 s[10:11], vcc, s[10:11]
	s_waitcnt vmcnt(0) lgkmcnt(0)
	v_mul_f64 v[36:37], v[4:5], v[198:199]
	v_mul_f64 v[138:139], v[2:3], v[198:199]
	v_fma_f64 v[36:37], v[2:3], v[196:197], -v[36:37]
	v_fmac_f64_e32 v[138:139], v[4:5], v[196:197]
	v_add_f64 v[2:3], v[26:27], v[36:37]
	v_add_f64 v[4:5], v[28:29], v[138:139]
	v_mov_b32_e32 v196, s13
	s_mov_b32 s13, s14
	s_andn2_b64 exec, exec, s[10:11]
	s_cbranch_execnz .LBB125_39
; %bb.40:
	s_or_b64 exec, exec, s[10:11]
.LBB125_41:
	s_or_b64 exec, exec, s[0:1]
	v_and_b32_e32 v6, 7, v6
	v_cmp_ne_u32_e32 vcc, 0, v6
	s_and_saveexec_b64 s[0:1], vcc
	s_cbranch_execz .LBB125_45
; %bb.42:
	v_lshlrev_b32_e32 v13, 4, v196
	v_add_u32_e32 v7, 0x3e0, v13
	v_add_u32_e32 v195, 0, v13
	s_mov_b64 s[10:11], 0
.LBB125_43:                             ; =>This Inner Loop Header: Depth=1
	scratch_load_dwordx4 v[196:199], v195, off
	ds_read_b128 v[200:203], v7
	v_add_u32_e32 v6, -1, v6
	v_cmp_eq_u32_e32 vcc, 0, v6
	v_add_u32_e32 v7, 16, v7
	v_add_u32_e32 v195, 16, v195
	s_or_b64 s[10:11], vcc, s[10:11]
	s_waitcnt vmcnt(0) lgkmcnt(0)
	v_mul_f64 v[26:27], v[202:203], v[198:199]
	v_mul_f64 v[28:29], v[200:201], v[198:199]
	v_fma_f64 v[26:27], v[200:201], v[196:197], -v[26:27]
	v_fmac_f64_e32 v[28:29], v[202:203], v[196:197]
	v_add_f64 v[2:3], v[2:3], v[26:27]
	v_add_f64 v[4:5], v[4:5], v[28:29]
	s_andn2_b64 exec, exec, s[10:11]
	s_cbranch_execnz .LBB125_43
; %bb.44:
	s_or_b64 exec, exec, s[10:11]
.LBB125_45:
	s_or_b64 exec, exec, s[0:1]
.LBB125_46:
	s_or_b64 exec, exec, s[8:9]
	v_mov_b32_e32 v6, 0
	ds_read_b128 v[196:199], v6 offset:912
	s_waitcnt lgkmcnt(0)
	v_mul_f64 v[6:7], v[4:5], v[198:199]
	v_mul_f64 v[200:201], v[2:3], v[198:199]
	v_fma_f64 v[198:199], v[2:3], v[196:197], -v[6:7]
	v_fmac_f64_e32 v[200:201], v[4:5], v[196:197]
	scratch_store_dwordx4 off, v[198:201], off offset:912
.LBB125_47:
	s_or_b64 exec, exec, s[4:5]
	scratch_load_dwordx4 v[2:5], v144, off
	v_cmp_lt_u32_e64 s[0:1], 56, v0
	s_waitcnt vmcnt(0)
	ds_write_b128 v9, v[2:5]
	s_waitcnt lgkmcnt(0)
	; wave barrier
	s_waitcnt lgkmcnt(0)
	s_and_saveexec_b64 s[4:5], s[0:1]
	s_cbranch_execz .LBB125_61
; %bb.48:
	ds_read_b128 v[2:5], v9
	s_andn2_b64 vcc, exec, s[6:7]
	s_cbranch_vccnz .LBB125_50
; %bb.49:
	scratch_load_dwordx4 v[196:199], v8, off
	s_waitcnt vmcnt(0) lgkmcnt(0)
	v_mul_f64 v[26:27], v[2:3], v[198:199]
	v_mul_f64 v[6:7], v[4:5], v[198:199]
	v_fmac_f64_e32 v[26:27], v[4:5], v[196:197]
	v_fma_f64 v[2:3], v[2:3], v[196:197], -v[6:7]
	v_mov_b64_e32 v[4:5], v[26:27]
.LBB125_50:
	s_and_saveexec_b64 s[8:9], s[2:3]
	s_cbranch_execz .LBB125_60
; %bb.51:
	v_subrev_u32_e32 v7, 58, v0
	v_subrev_u32_e32 v6, 57, v0
	v_cmp_lt_u32_e32 vcc, 6, v7
	v_mov_b32_e32 v196, 57
	s_and_saveexec_b64 s[2:3], vcc
	s_cbranch_execz .LBB125_55
; %bb.52:
	v_and_b32_e32 v7, -8, v6
	s_mov_b32 s12, 0
	s_mov_b64 s[10:11], 0
	v_mov_b32_e32 v195, 0
	s_mov_b32 s13, 0
.LBB125_53:                             ; =>This Inner Loop Header: Depth=1
	v_readfirstlane_b32 s14, v195
	s_add_i32 s14, s14, s12
	s_add_i32 s15, s14, 0x390
	v_mov_b32_e32 v13, s12
	ds_read_b128 v[196:199], v13 offset:1904
	ds_read_b128 v[200:203], v13 offset:1920
	;; [unrolled: 1-line block ×4, first 2 shown]
	scratch_load_dwordx4 v[212:215], off, s15
	s_add_i32 s15, s14, 0x3a0
	s_addk_i32 s12, 0x80
	s_waitcnt vmcnt(0) lgkmcnt(3)
	v_mul_f64 v[26:27], v[198:199], v[214:215]
	v_mul_f64 v[28:29], v[196:197], v[214:215]
	v_fma_f64 v[26:27], v[196:197], v[212:213], -v[26:27]
	v_fmac_f64_e32 v[28:29], v[198:199], v[212:213]
	v_add_f64 v[26:27], v[2:3], v[26:27]
	v_add_f64 v[28:29], v[4:5], v[28:29]
	scratch_load_dwordx4 v[2:5], off, s15
	s_add_i32 s15, s14, 0x3b0
	s_waitcnt vmcnt(0) lgkmcnt(2)
	v_mul_f64 v[36:37], v[202:203], v[4:5]
	v_mul_f64 v[4:5], v[200:201], v[4:5]
	v_fmac_f64_e32 v[4:5], v[202:203], v[2:3]
	v_fma_f64 v[36:37], v[200:201], v[2:3], -v[36:37]
	v_add_f64 v[28:29], v[28:29], v[4:5]
	scratch_load_dwordx4 v[2:5], off, s15
	v_add_f64 v[26:27], v[26:27], v[36:37]
	s_add_i32 s15, s14, 0x3c0
	s_waitcnt vmcnt(0) lgkmcnt(1)
	v_mul_f64 v[36:37], v[206:207], v[4:5]
	v_mul_f64 v[4:5], v[204:205], v[4:5]
	v_fmac_f64_e32 v[4:5], v[206:207], v[2:3]
	v_fma_f64 v[36:37], v[204:205], v[2:3], -v[36:37]
	v_add_f64 v[28:29], v[28:29], v[4:5]
	scratch_load_dwordx4 v[2:5], off, s15
	s_add_i32 s15, s14, 0x3d0
	scratch_load_dwordx4 v[196:199], off, s15
	v_add_f64 v[26:27], v[26:27], v[36:37]
	s_add_i32 s15, s14, 0x3e0
	s_waitcnt vmcnt(1) lgkmcnt(0)
	v_mul_f64 v[36:37], v[210:211], v[4:5]
	v_mul_f64 v[4:5], v[208:209], v[4:5]
	v_fmac_f64_e32 v[4:5], v[210:211], v[2:3]
	v_fma_f64 v[36:37], v[208:209], v[2:3], -v[36:37]
	v_add_f64 v[28:29], v[28:29], v[4:5]
	ds_read_b128 v[2:5], v13 offset:1968
	v_add_f64 v[26:27], v[26:27], v[36:37]
	s_waitcnt vmcnt(0) lgkmcnt(0)
	v_mul_f64 v[36:37], v[4:5], v[198:199]
	v_fma_f64 v[36:37], v[2:3], v[196:197], -v[36:37]
	v_mul_f64 v[2:3], v[2:3], v[198:199]
	v_fmac_f64_e32 v[2:3], v[4:5], v[196:197]
	scratch_load_dwordx4 v[196:199], off, s15
	v_add_f64 v[28:29], v[28:29], v[2:3]
	ds_read_b128 v[2:5], v13 offset:1984
	v_add_f64 v[26:27], v[26:27], v[36:37]
	s_add_i32 s15, s14, 0x3f0
	s_addk_i32 s14, 0x400
	s_waitcnt vmcnt(0) lgkmcnt(0)
	v_mul_f64 v[36:37], v[4:5], v[198:199]
	v_fma_f64 v[36:37], v[2:3], v[196:197], -v[36:37]
	v_mul_f64 v[2:3], v[2:3], v[198:199]
	v_fmac_f64_e32 v[2:3], v[4:5], v[196:197]
	scratch_load_dwordx4 v[196:199], off, s15
	v_add_f64 v[28:29], v[28:29], v[2:3]
	ds_read_b128 v[2:5], v13 offset:2000
	v_add_f64 v[26:27], v[26:27], v[36:37]
	s_waitcnt vmcnt(0) lgkmcnt(0)
	v_mul_f64 v[36:37], v[4:5], v[198:199]
	v_fma_f64 v[36:37], v[2:3], v[196:197], -v[36:37]
	v_mul_f64 v[2:3], v[2:3], v[198:199]
	v_fmac_f64_e32 v[2:3], v[4:5], v[196:197]
	scratch_load_dwordx4 v[196:199], off, s14
	v_add_f64 v[28:29], v[28:29], v[2:3]
	ds_read_b128 v[2:5], v13 offset:2016
	v_add_f64 v[26:27], v[26:27], v[36:37]
	s_add_i32 s14, s13, 8
	v_cmp_eq_u32_e32 vcc, s14, v7
	s_addk_i32 s13, 0x41
	s_or_b64 s[10:11], vcc, s[10:11]
	s_waitcnt vmcnt(0) lgkmcnt(0)
	v_mul_f64 v[36:37], v[4:5], v[198:199]
	v_mul_f64 v[138:139], v[2:3], v[198:199]
	v_fma_f64 v[36:37], v[2:3], v[196:197], -v[36:37]
	v_fmac_f64_e32 v[138:139], v[4:5], v[196:197]
	v_add_f64 v[2:3], v[26:27], v[36:37]
	v_add_f64 v[4:5], v[28:29], v[138:139]
	v_mov_b32_e32 v196, s13
	s_mov_b32 s13, s14
	s_andn2_b64 exec, exec, s[10:11]
	s_cbranch_execnz .LBB125_53
; %bb.54:
	s_or_b64 exec, exec, s[10:11]
.LBB125_55:
	s_or_b64 exec, exec, s[2:3]
	v_and_b32_e32 v6, 7, v6
	v_cmp_ne_u32_e32 vcc, 0, v6
	s_and_saveexec_b64 s[2:3], vcc
	s_cbranch_execz .LBB125_59
; %bb.56:
	v_lshlrev_b32_e32 v13, 4, v196
	v_add_u32_e32 v7, 0x3e0, v13
	v_add_u32_e32 v195, 0, v13
	s_mov_b64 s[10:11], 0
.LBB125_57:                             ; =>This Inner Loop Header: Depth=1
	scratch_load_dwordx4 v[196:199], v195, off
	ds_read_b128 v[200:203], v7
	v_add_u32_e32 v6, -1, v6
	v_cmp_eq_u32_e32 vcc, 0, v6
	v_add_u32_e32 v7, 16, v7
	v_add_u32_e32 v195, 16, v195
	s_or_b64 s[10:11], vcc, s[10:11]
	s_waitcnt vmcnt(0) lgkmcnt(0)
	v_mul_f64 v[26:27], v[202:203], v[198:199]
	v_mul_f64 v[28:29], v[200:201], v[198:199]
	v_fma_f64 v[26:27], v[200:201], v[196:197], -v[26:27]
	v_fmac_f64_e32 v[28:29], v[202:203], v[196:197]
	v_add_f64 v[2:3], v[2:3], v[26:27]
	v_add_f64 v[4:5], v[4:5], v[28:29]
	s_andn2_b64 exec, exec, s[10:11]
	s_cbranch_execnz .LBB125_57
; %bb.58:
	s_or_b64 exec, exec, s[10:11]
.LBB125_59:
	s_or_b64 exec, exec, s[2:3]
.LBB125_60:
	s_or_b64 exec, exec, s[8:9]
	v_mov_b32_e32 v6, 0
	ds_read_b128 v[196:199], v6 offset:896
	s_waitcnt lgkmcnt(0)
	v_mul_f64 v[6:7], v[4:5], v[198:199]
	v_mul_f64 v[200:201], v[2:3], v[198:199]
	v_fma_f64 v[198:199], v[2:3], v[196:197], -v[6:7]
	v_fmac_f64_e32 v[200:201], v[4:5], v[196:197]
	scratch_store_dwordx4 off, v[198:201], off offset:896
.LBB125_61:
	s_or_b64 exec, exec, s[4:5]
	scratch_load_dwordx4 v[2:5], v145, off
	v_cmp_lt_u32_e64 s[2:3], 55, v0
	s_waitcnt vmcnt(0)
	ds_write_b128 v9, v[2:5]
	s_waitcnt lgkmcnt(0)
	; wave barrier
	s_waitcnt lgkmcnt(0)
	s_and_saveexec_b64 s[4:5], s[2:3]
	s_cbranch_execz .LBB125_75
; %bb.62:
	ds_read_b128 v[2:5], v9
	s_andn2_b64 vcc, exec, s[6:7]
	s_cbranch_vccnz .LBB125_64
; %bb.63:
	scratch_load_dwordx4 v[196:199], v8, off
	s_waitcnt vmcnt(0) lgkmcnt(0)
	v_mul_f64 v[26:27], v[2:3], v[198:199]
	v_mul_f64 v[6:7], v[4:5], v[198:199]
	v_fmac_f64_e32 v[26:27], v[4:5], v[196:197]
	v_fma_f64 v[2:3], v[2:3], v[196:197], -v[6:7]
	v_mov_b64_e32 v[4:5], v[26:27]
.LBB125_64:
	s_and_saveexec_b64 s[8:9], s[0:1]
	s_cbranch_execz .LBB125_74
; %bb.65:
	v_subrev_u32_e32 v6, 57, v0
	v_cmp_lt_u32_e32 vcc, 6, v6
	v_mov_b32_e32 v6, 56
	s_and_saveexec_b64 s[0:1], vcc
	s_cbranch_execz .LBB125_69
; %bb.66:
	s_mov_b32 s12, 56
	v_and_b32_e32 v6, 56, v0
	s_mov_b32 s13, 0
	s_mov_b64 s[10:11], 0
	v_mov_b32_e32 v7, 0
.LBB125_67:                             ; =>This Inner Loop Header: Depth=1
	s_nop 0
	v_readfirstlane_b32 s14, v7
	s_add_i32 s14, s14, s13
	s_add_i32 s15, s14, 0x380
	v_mov_b32_e32 v13, s13
	ds_read_b128 v[196:199], v13 offset:1888
	ds_read_b128 v[200:203], v13 offset:1904
	;; [unrolled: 1-line block ×4, first 2 shown]
	scratch_load_dwordx4 v[212:215], off, s15
	s_add_i32 s15, s14, 0x390
	s_add_i32 s12, s12, 8
	s_addk_i32 s13, 0x80
	v_cmp_eq_u32_e32 vcc, s12, v6
	s_waitcnt vmcnt(0) lgkmcnt(3)
	v_mul_f64 v[26:27], v[198:199], v[214:215]
	v_mul_f64 v[28:29], v[196:197], v[214:215]
	v_fma_f64 v[26:27], v[196:197], v[212:213], -v[26:27]
	v_fmac_f64_e32 v[28:29], v[198:199], v[212:213]
	v_add_f64 v[26:27], v[2:3], v[26:27]
	v_add_f64 v[28:29], v[4:5], v[28:29]
	scratch_load_dwordx4 v[2:5], off, s15
	s_add_i32 s15, s14, 0x3a0
	s_waitcnt vmcnt(0) lgkmcnt(2)
	v_mul_f64 v[36:37], v[202:203], v[4:5]
	v_mul_f64 v[4:5], v[200:201], v[4:5]
	v_fmac_f64_e32 v[4:5], v[202:203], v[2:3]
	v_fma_f64 v[36:37], v[200:201], v[2:3], -v[36:37]
	v_add_f64 v[28:29], v[28:29], v[4:5]
	scratch_load_dwordx4 v[2:5], off, s15
	v_add_f64 v[26:27], v[26:27], v[36:37]
	s_add_i32 s15, s14, 0x3b0
	s_waitcnt vmcnt(0) lgkmcnt(1)
	v_mul_f64 v[36:37], v[206:207], v[4:5]
	v_mul_f64 v[4:5], v[204:205], v[4:5]
	v_fmac_f64_e32 v[4:5], v[206:207], v[2:3]
	v_fma_f64 v[36:37], v[204:205], v[2:3], -v[36:37]
	v_add_f64 v[28:29], v[28:29], v[4:5]
	scratch_load_dwordx4 v[2:5], off, s15
	s_add_i32 s15, s14, 0x3c0
	scratch_load_dwordx4 v[196:199], off, s15
	v_add_f64 v[26:27], v[26:27], v[36:37]
	s_add_i32 s15, s14, 0x3d0
	s_waitcnt vmcnt(1) lgkmcnt(0)
	v_mul_f64 v[36:37], v[210:211], v[4:5]
	v_mul_f64 v[4:5], v[208:209], v[4:5]
	v_fmac_f64_e32 v[4:5], v[210:211], v[2:3]
	v_fma_f64 v[36:37], v[208:209], v[2:3], -v[36:37]
	v_add_f64 v[28:29], v[28:29], v[4:5]
	ds_read_b128 v[2:5], v13 offset:1952
	v_add_f64 v[26:27], v[26:27], v[36:37]
	s_waitcnt vmcnt(0) lgkmcnt(0)
	v_mul_f64 v[36:37], v[4:5], v[198:199]
	v_fma_f64 v[36:37], v[2:3], v[196:197], -v[36:37]
	v_mul_f64 v[2:3], v[2:3], v[198:199]
	v_fmac_f64_e32 v[2:3], v[4:5], v[196:197]
	scratch_load_dwordx4 v[196:199], off, s15
	v_add_f64 v[28:29], v[28:29], v[2:3]
	ds_read_b128 v[2:5], v13 offset:1968
	v_add_f64 v[26:27], v[26:27], v[36:37]
	s_add_i32 s15, s14, 0x3e0
	s_addk_i32 s14, 0x3f0
	s_or_b64 s[10:11], vcc, s[10:11]
	s_waitcnt vmcnt(0) lgkmcnt(0)
	v_mul_f64 v[36:37], v[4:5], v[198:199]
	v_fma_f64 v[36:37], v[2:3], v[196:197], -v[36:37]
	v_mul_f64 v[2:3], v[2:3], v[198:199]
	v_fmac_f64_e32 v[2:3], v[4:5], v[196:197]
	scratch_load_dwordx4 v[196:199], off, s15
	v_add_f64 v[28:29], v[28:29], v[2:3]
	ds_read_b128 v[2:5], v13 offset:1984
	v_add_f64 v[26:27], v[26:27], v[36:37]
	s_waitcnt vmcnt(0) lgkmcnt(0)
	v_mul_f64 v[36:37], v[4:5], v[198:199]
	v_fma_f64 v[36:37], v[2:3], v[196:197], -v[36:37]
	v_mul_f64 v[2:3], v[2:3], v[198:199]
	v_fmac_f64_e32 v[2:3], v[4:5], v[196:197]
	scratch_load_dwordx4 v[196:199], off, s14
	v_add_f64 v[28:29], v[28:29], v[2:3]
	ds_read_b128 v[2:5], v13 offset:2000
	v_add_f64 v[26:27], v[26:27], v[36:37]
	s_waitcnt vmcnt(0) lgkmcnt(0)
	v_mul_f64 v[36:37], v[4:5], v[198:199]
	v_mul_f64 v[138:139], v[2:3], v[198:199]
	v_fma_f64 v[36:37], v[2:3], v[196:197], -v[36:37]
	v_fmac_f64_e32 v[138:139], v[4:5], v[196:197]
	v_add_f64 v[2:3], v[26:27], v[36:37]
	v_add_f64 v[4:5], v[28:29], v[138:139]
	s_andn2_b64 exec, exec, s[10:11]
	s_cbranch_execnz .LBB125_67
; %bb.68:
	s_or_b64 exec, exec, s[10:11]
.LBB125_69:
	s_or_b64 exec, exec, s[0:1]
	v_and_b32_e32 v7, 7, v0
	v_cmp_ne_u32_e32 vcc, 0, v7
	s_and_saveexec_b64 s[0:1], vcc
	s_cbranch_execz .LBB125_73
; %bb.70:
	v_lshlrev_b32_e32 v13, 4, v6
	v_add_u32_e32 v6, 0x3e0, v13
	v_add_u32_e32 v195, 0, v13
	s_mov_b64 s[10:11], 0
.LBB125_71:                             ; =>This Inner Loop Header: Depth=1
	scratch_load_dwordx4 v[196:199], v195, off
	ds_read_b128 v[200:203], v6
	v_add_u32_e32 v7, -1, v7
	v_cmp_eq_u32_e32 vcc, 0, v7
	v_add_u32_e32 v6, 16, v6
	v_add_u32_e32 v195, 16, v195
	s_or_b64 s[10:11], vcc, s[10:11]
	s_waitcnt vmcnt(0) lgkmcnt(0)
	v_mul_f64 v[26:27], v[202:203], v[198:199]
	v_mul_f64 v[28:29], v[200:201], v[198:199]
	v_fma_f64 v[26:27], v[200:201], v[196:197], -v[26:27]
	v_fmac_f64_e32 v[28:29], v[202:203], v[196:197]
	v_add_f64 v[2:3], v[2:3], v[26:27]
	v_add_f64 v[4:5], v[4:5], v[28:29]
	s_andn2_b64 exec, exec, s[10:11]
	s_cbranch_execnz .LBB125_71
; %bb.72:
	s_or_b64 exec, exec, s[10:11]
.LBB125_73:
	s_or_b64 exec, exec, s[0:1]
.LBB125_74:
	s_or_b64 exec, exec, s[8:9]
	v_mov_b32_e32 v6, 0
	ds_read_b128 v[196:199], v6 offset:880
	s_waitcnt lgkmcnt(0)
	v_mul_f64 v[6:7], v[4:5], v[198:199]
	v_mul_f64 v[200:201], v[2:3], v[198:199]
	v_fma_f64 v[198:199], v[2:3], v[196:197], -v[6:7]
	v_fmac_f64_e32 v[200:201], v[4:5], v[196:197]
	scratch_store_dwordx4 off, v[198:201], off offset:880
.LBB125_75:
	s_or_b64 exec, exec, s[4:5]
	scratch_load_dwordx4 v[2:5], v216, off
	v_cmp_lt_u32_e64 s[0:1], 54, v0
	s_waitcnt vmcnt(0)
	ds_write_b128 v9, v[2:5]
	s_waitcnt lgkmcnt(0)
	; wave barrier
	s_waitcnt lgkmcnt(0)
	s_and_saveexec_b64 s[4:5], s[0:1]
	s_cbranch_execz .LBB125_89
; %bb.76:
	ds_read_b128 v[2:5], v9
	s_andn2_b64 vcc, exec, s[6:7]
	s_cbranch_vccnz .LBB125_78
; %bb.77:
	scratch_load_dwordx4 v[196:199], v8, off
	s_waitcnt vmcnt(0) lgkmcnt(0)
	v_mul_f64 v[26:27], v[2:3], v[198:199]
	v_mul_f64 v[6:7], v[4:5], v[198:199]
	v_fmac_f64_e32 v[26:27], v[4:5], v[196:197]
	v_fma_f64 v[2:3], v[2:3], v[196:197], -v[6:7]
	v_mov_b64_e32 v[4:5], v[26:27]
.LBB125_78:
	s_and_saveexec_b64 s[8:9], s[2:3]
	s_cbranch_execz .LBB125_88
; %bb.79:
	v_subrev_u32_e32 v7, 56, v0
	v_subrev_u32_e32 v6, 55, v0
	v_cmp_lt_u32_e32 vcc, 6, v7
	v_mov_b32_e32 v196, 55
	s_and_saveexec_b64 s[2:3], vcc
	s_cbranch_execz .LBB125_83
; %bb.80:
	v_and_b32_e32 v7, -8, v6
	s_mov_b32 s12, 0
	s_mov_b64 s[10:11], 0
	v_mov_b32_e32 v195, 0
	s_mov_b32 s13, 0
.LBB125_81:                             ; =>This Inner Loop Header: Depth=1
	v_readfirstlane_b32 s14, v195
	s_add_i32 s14, s14, s12
	s_add_i32 s15, s14, 0x370
	v_mov_b32_e32 v13, s12
	ds_read_b128 v[196:199], v13 offset:1872
	ds_read_b128 v[200:203], v13 offset:1888
	;; [unrolled: 1-line block ×4, first 2 shown]
	scratch_load_dwordx4 v[212:215], off, s15
	s_add_i32 s15, s14, 0x380
	s_addk_i32 s12, 0x80
	s_waitcnt vmcnt(0) lgkmcnt(3)
	v_mul_f64 v[26:27], v[198:199], v[214:215]
	v_mul_f64 v[28:29], v[196:197], v[214:215]
	v_fma_f64 v[26:27], v[196:197], v[212:213], -v[26:27]
	v_fmac_f64_e32 v[28:29], v[198:199], v[212:213]
	v_add_f64 v[26:27], v[2:3], v[26:27]
	v_add_f64 v[28:29], v[4:5], v[28:29]
	scratch_load_dwordx4 v[2:5], off, s15
	s_add_i32 s15, s14, 0x390
	s_waitcnt vmcnt(0) lgkmcnt(2)
	v_mul_f64 v[36:37], v[202:203], v[4:5]
	v_mul_f64 v[4:5], v[200:201], v[4:5]
	v_fmac_f64_e32 v[4:5], v[202:203], v[2:3]
	v_fma_f64 v[36:37], v[200:201], v[2:3], -v[36:37]
	v_add_f64 v[28:29], v[28:29], v[4:5]
	scratch_load_dwordx4 v[2:5], off, s15
	v_add_f64 v[26:27], v[26:27], v[36:37]
	s_add_i32 s15, s14, 0x3a0
	s_waitcnt vmcnt(0) lgkmcnt(1)
	v_mul_f64 v[36:37], v[206:207], v[4:5]
	v_mul_f64 v[4:5], v[204:205], v[4:5]
	v_fmac_f64_e32 v[4:5], v[206:207], v[2:3]
	v_fma_f64 v[36:37], v[204:205], v[2:3], -v[36:37]
	v_add_f64 v[28:29], v[28:29], v[4:5]
	scratch_load_dwordx4 v[2:5], off, s15
	s_add_i32 s15, s14, 0x3b0
	scratch_load_dwordx4 v[196:199], off, s15
	v_add_f64 v[26:27], v[26:27], v[36:37]
	s_add_i32 s15, s14, 0x3c0
	s_waitcnt vmcnt(1) lgkmcnt(0)
	v_mul_f64 v[36:37], v[210:211], v[4:5]
	v_mul_f64 v[4:5], v[208:209], v[4:5]
	v_fmac_f64_e32 v[4:5], v[210:211], v[2:3]
	v_fma_f64 v[36:37], v[208:209], v[2:3], -v[36:37]
	v_add_f64 v[28:29], v[28:29], v[4:5]
	ds_read_b128 v[2:5], v13 offset:1936
	v_add_f64 v[26:27], v[26:27], v[36:37]
	s_waitcnt vmcnt(0) lgkmcnt(0)
	v_mul_f64 v[36:37], v[4:5], v[198:199]
	v_fma_f64 v[36:37], v[2:3], v[196:197], -v[36:37]
	v_mul_f64 v[2:3], v[2:3], v[198:199]
	v_fmac_f64_e32 v[2:3], v[4:5], v[196:197]
	scratch_load_dwordx4 v[196:199], off, s15
	v_add_f64 v[28:29], v[28:29], v[2:3]
	ds_read_b128 v[2:5], v13 offset:1952
	v_add_f64 v[26:27], v[26:27], v[36:37]
	s_add_i32 s15, s14, 0x3d0
	s_addk_i32 s14, 0x3e0
	s_waitcnt vmcnt(0) lgkmcnt(0)
	v_mul_f64 v[36:37], v[4:5], v[198:199]
	v_fma_f64 v[36:37], v[2:3], v[196:197], -v[36:37]
	v_mul_f64 v[2:3], v[2:3], v[198:199]
	v_fmac_f64_e32 v[2:3], v[4:5], v[196:197]
	scratch_load_dwordx4 v[196:199], off, s15
	v_add_f64 v[28:29], v[28:29], v[2:3]
	ds_read_b128 v[2:5], v13 offset:1968
	v_add_f64 v[26:27], v[26:27], v[36:37]
	s_waitcnt vmcnt(0) lgkmcnt(0)
	v_mul_f64 v[36:37], v[4:5], v[198:199]
	v_fma_f64 v[36:37], v[2:3], v[196:197], -v[36:37]
	v_mul_f64 v[2:3], v[2:3], v[198:199]
	v_fmac_f64_e32 v[2:3], v[4:5], v[196:197]
	scratch_load_dwordx4 v[196:199], off, s14
	v_add_f64 v[28:29], v[28:29], v[2:3]
	ds_read_b128 v[2:5], v13 offset:1984
	v_add_f64 v[26:27], v[26:27], v[36:37]
	s_add_i32 s14, s13, 8
	v_cmp_eq_u32_e32 vcc, s14, v7
	s_add_i32 s13, s13, 63
	s_or_b64 s[10:11], vcc, s[10:11]
	s_waitcnt vmcnt(0) lgkmcnt(0)
	v_mul_f64 v[36:37], v[4:5], v[198:199]
	v_mul_f64 v[138:139], v[2:3], v[198:199]
	v_fma_f64 v[36:37], v[2:3], v[196:197], -v[36:37]
	v_fmac_f64_e32 v[138:139], v[4:5], v[196:197]
	v_add_f64 v[2:3], v[26:27], v[36:37]
	v_add_f64 v[4:5], v[28:29], v[138:139]
	v_mov_b32_e32 v196, s13
	s_mov_b32 s13, s14
	s_andn2_b64 exec, exec, s[10:11]
	s_cbranch_execnz .LBB125_81
; %bb.82:
	s_or_b64 exec, exec, s[10:11]
.LBB125_83:
	s_or_b64 exec, exec, s[2:3]
	v_and_b32_e32 v6, 7, v6
	v_cmp_ne_u32_e32 vcc, 0, v6
	s_and_saveexec_b64 s[2:3], vcc
	s_cbranch_execz .LBB125_87
; %bb.84:
	v_lshlrev_b32_e32 v13, 4, v196
	v_add_u32_e32 v7, 0x3e0, v13
	v_add_u32_e32 v195, 0, v13
	s_mov_b64 s[10:11], 0
.LBB125_85:                             ; =>This Inner Loop Header: Depth=1
	scratch_load_dwordx4 v[196:199], v195, off
	ds_read_b128 v[200:203], v7
	v_add_u32_e32 v6, -1, v6
	v_cmp_eq_u32_e32 vcc, 0, v6
	v_add_u32_e32 v7, 16, v7
	v_add_u32_e32 v195, 16, v195
	s_or_b64 s[10:11], vcc, s[10:11]
	s_waitcnt vmcnt(0) lgkmcnt(0)
	v_mul_f64 v[26:27], v[202:203], v[198:199]
	v_mul_f64 v[28:29], v[200:201], v[198:199]
	v_fma_f64 v[26:27], v[200:201], v[196:197], -v[26:27]
	v_fmac_f64_e32 v[28:29], v[202:203], v[196:197]
	v_add_f64 v[2:3], v[2:3], v[26:27]
	v_add_f64 v[4:5], v[4:5], v[28:29]
	s_andn2_b64 exec, exec, s[10:11]
	s_cbranch_execnz .LBB125_85
; %bb.86:
	s_or_b64 exec, exec, s[10:11]
.LBB125_87:
	s_or_b64 exec, exec, s[2:3]
.LBB125_88:
	s_or_b64 exec, exec, s[8:9]
	v_mov_b32_e32 v6, 0
	ds_read_b128 v[196:199], v6 offset:864
	s_waitcnt lgkmcnt(0)
	v_mul_f64 v[6:7], v[4:5], v[198:199]
	v_mul_f64 v[200:201], v[2:3], v[198:199]
	v_fma_f64 v[198:199], v[2:3], v[196:197], -v[6:7]
	v_fmac_f64_e32 v[200:201], v[4:5], v[196:197]
	scratch_store_dwordx4 off, v[198:201], off offset:864
.LBB125_89:
	s_or_b64 exec, exec, s[4:5]
	scratch_load_dwordx4 v[2:5], v109, off
	v_cmp_lt_u32_e64 s[2:3], 53, v0
	s_waitcnt vmcnt(0)
	ds_write_b128 v9, v[2:5]
	s_waitcnt lgkmcnt(0)
	; wave barrier
	s_waitcnt lgkmcnt(0)
	s_and_saveexec_b64 s[4:5], s[2:3]
	s_cbranch_execz .LBB125_103
; %bb.90:
	ds_read_b128 v[2:5], v9
	s_andn2_b64 vcc, exec, s[6:7]
	s_cbranch_vccnz .LBB125_92
; %bb.91:
	scratch_load_dwordx4 v[196:199], v8, off
	s_waitcnt vmcnt(0) lgkmcnt(0)
	v_mul_f64 v[26:27], v[2:3], v[198:199]
	v_mul_f64 v[6:7], v[4:5], v[198:199]
	v_fmac_f64_e32 v[26:27], v[4:5], v[196:197]
	v_fma_f64 v[2:3], v[2:3], v[196:197], -v[6:7]
	v_mov_b64_e32 v[4:5], v[26:27]
.LBB125_92:
	s_and_saveexec_b64 s[8:9], s[0:1]
	s_cbranch_execz .LBB125_102
; %bb.93:
	v_subrev_u32_e32 v7, 55, v0
	v_subrev_u32_e32 v6, 54, v0
	v_cmp_lt_u32_e32 vcc, 6, v7
	v_mov_b32_e32 v196, 54
	s_and_saveexec_b64 s[0:1], vcc
	s_cbranch_execz .LBB125_97
; %bb.94:
	v_and_b32_e32 v7, -8, v6
	s_mov_b32 s12, 0
	s_mov_b64 s[10:11], 0
	v_mov_b32_e32 v195, 0
	s_mov_b32 s13, 0
.LBB125_95:                             ; =>This Inner Loop Header: Depth=1
	v_readfirstlane_b32 s14, v195
	s_add_i32 s14, s14, s12
	s_add_i32 s15, s14, 0x360
	v_mov_b32_e32 v13, s12
	ds_read_b128 v[196:199], v13 offset:1856
	ds_read_b128 v[200:203], v13 offset:1872
	;; [unrolled: 1-line block ×4, first 2 shown]
	scratch_load_dwordx4 v[212:215], off, s15
	s_add_i32 s15, s14, 0x370
	s_addk_i32 s12, 0x80
	s_waitcnt vmcnt(0) lgkmcnt(3)
	v_mul_f64 v[26:27], v[198:199], v[214:215]
	v_mul_f64 v[28:29], v[196:197], v[214:215]
	v_fma_f64 v[26:27], v[196:197], v[212:213], -v[26:27]
	v_fmac_f64_e32 v[28:29], v[198:199], v[212:213]
	v_add_f64 v[26:27], v[2:3], v[26:27]
	v_add_f64 v[28:29], v[4:5], v[28:29]
	scratch_load_dwordx4 v[2:5], off, s15
	s_add_i32 s15, s14, 0x380
	s_waitcnt vmcnt(0) lgkmcnt(2)
	v_mul_f64 v[36:37], v[202:203], v[4:5]
	v_mul_f64 v[4:5], v[200:201], v[4:5]
	v_fmac_f64_e32 v[4:5], v[202:203], v[2:3]
	v_fma_f64 v[36:37], v[200:201], v[2:3], -v[36:37]
	v_add_f64 v[28:29], v[28:29], v[4:5]
	scratch_load_dwordx4 v[2:5], off, s15
	v_add_f64 v[26:27], v[26:27], v[36:37]
	s_add_i32 s15, s14, 0x390
	s_waitcnt vmcnt(0) lgkmcnt(1)
	v_mul_f64 v[36:37], v[206:207], v[4:5]
	v_mul_f64 v[4:5], v[204:205], v[4:5]
	v_fmac_f64_e32 v[4:5], v[206:207], v[2:3]
	v_fma_f64 v[36:37], v[204:205], v[2:3], -v[36:37]
	v_add_f64 v[28:29], v[28:29], v[4:5]
	scratch_load_dwordx4 v[2:5], off, s15
	s_add_i32 s15, s14, 0x3a0
	scratch_load_dwordx4 v[196:199], off, s15
	v_add_f64 v[26:27], v[26:27], v[36:37]
	s_add_i32 s15, s14, 0x3b0
	s_waitcnt vmcnt(1) lgkmcnt(0)
	v_mul_f64 v[36:37], v[210:211], v[4:5]
	v_mul_f64 v[4:5], v[208:209], v[4:5]
	v_fmac_f64_e32 v[4:5], v[210:211], v[2:3]
	v_fma_f64 v[36:37], v[208:209], v[2:3], -v[36:37]
	v_add_f64 v[28:29], v[28:29], v[4:5]
	ds_read_b128 v[2:5], v13 offset:1920
	v_add_f64 v[26:27], v[26:27], v[36:37]
	s_waitcnt vmcnt(0) lgkmcnt(0)
	v_mul_f64 v[36:37], v[4:5], v[198:199]
	v_fma_f64 v[36:37], v[2:3], v[196:197], -v[36:37]
	v_mul_f64 v[2:3], v[2:3], v[198:199]
	v_fmac_f64_e32 v[2:3], v[4:5], v[196:197]
	scratch_load_dwordx4 v[196:199], off, s15
	v_add_f64 v[28:29], v[28:29], v[2:3]
	ds_read_b128 v[2:5], v13 offset:1936
	v_add_f64 v[26:27], v[26:27], v[36:37]
	s_add_i32 s15, s14, 0x3c0
	s_addk_i32 s14, 0x3d0
	s_waitcnt vmcnt(0) lgkmcnt(0)
	v_mul_f64 v[36:37], v[4:5], v[198:199]
	v_fma_f64 v[36:37], v[2:3], v[196:197], -v[36:37]
	v_mul_f64 v[2:3], v[2:3], v[198:199]
	v_fmac_f64_e32 v[2:3], v[4:5], v[196:197]
	scratch_load_dwordx4 v[196:199], off, s15
	v_add_f64 v[28:29], v[28:29], v[2:3]
	ds_read_b128 v[2:5], v13 offset:1952
	v_add_f64 v[26:27], v[26:27], v[36:37]
	s_waitcnt vmcnt(0) lgkmcnt(0)
	v_mul_f64 v[36:37], v[4:5], v[198:199]
	v_fma_f64 v[36:37], v[2:3], v[196:197], -v[36:37]
	v_mul_f64 v[2:3], v[2:3], v[198:199]
	v_fmac_f64_e32 v[2:3], v[4:5], v[196:197]
	scratch_load_dwordx4 v[196:199], off, s14
	v_add_f64 v[28:29], v[28:29], v[2:3]
	ds_read_b128 v[2:5], v13 offset:1968
	v_add_f64 v[26:27], v[26:27], v[36:37]
	s_add_i32 s14, s13, 8
	v_cmp_eq_u32_e32 vcc, s14, v7
	s_add_i32 s13, s13, 62
	s_or_b64 s[10:11], vcc, s[10:11]
	s_waitcnt vmcnt(0) lgkmcnt(0)
	v_mul_f64 v[36:37], v[4:5], v[198:199]
	v_mul_f64 v[138:139], v[2:3], v[198:199]
	v_fma_f64 v[36:37], v[2:3], v[196:197], -v[36:37]
	v_fmac_f64_e32 v[138:139], v[4:5], v[196:197]
	v_add_f64 v[2:3], v[26:27], v[36:37]
	v_add_f64 v[4:5], v[28:29], v[138:139]
	v_mov_b32_e32 v196, s13
	s_mov_b32 s13, s14
	s_andn2_b64 exec, exec, s[10:11]
	s_cbranch_execnz .LBB125_95
; %bb.96:
	s_or_b64 exec, exec, s[10:11]
.LBB125_97:
	s_or_b64 exec, exec, s[0:1]
	v_and_b32_e32 v6, 7, v6
	v_cmp_ne_u32_e32 vcc, 0, v6
	s_and_saveexec_b64 s[0:1], vcc
	s_cbranch_execz .LBB125_101
; %bb.98:
	v_lshlrev_b32_e32 v13, 4, v196
	v_add_u32_e32 v7, 0x3e0, v13
	v_add_u32_e32 v195, 0, v13
	s_mov_b64 s[10:11], 0
.LBB125_99:                             ; =>This Inner Loop Header: Depth=1
	scratch_load_dwordx4 v[196:199], v195, off
	ds_read_b128 v[200:203], v7
	v_add_u32_e32 v6, -1, v6
	v_cmp_eq_u32_e32 vcc, 0, v6
	v_add_u32_e32 v7, 16, v7
	v_add_u32_e32 v195, 16, v195
	s_or_b64 s[10:11], vcc, s[10:11]
	s_waitcnt vmcnt(0) lgkmcnt(0)
	v_mul_f64 v[26:27], v[202:203], v[198:199]
	v_mul_f64 v[28:29], v[200:201], v[198:199]
	v_fma_f64 v[26:27], v[200:201], v[196:197], -v[26:27]
	v_fmac_f64_e32 v[28:29], v[202:203], v[196:197]
	v_add_f64 v[2:3], v[2:3], v[26:27]
	v_add_f64 v[4:5], v[4:5], v[28:29]
	s_andn2_b64 exec, exec, s[10:11]
	s_cbranch_execnz .LBB125_99
; %bb.100:
	s_or_b64 exec, exec, s[10:11]
.LBB125_101:
	s_or_b64 exec, exec, s[0:1]
.LBB125_102:
	s_or_b64 exec, exec, s[8:9]
	v_mov_b32_e32 v6, 0
	ds_read_b128 v[196:199], v6 offset:848
	s_waitcnt lgkmcnt(0)
	v_mul_f64 v[6:7], v[4:5], v[198:199]
	v_mul_f64 v[200:201], v[2:3], v[198:199]
	v_fma_f64 v[198:199], v[2:3], v[196:197], -v[6:7]
	v_fmac_f64_e32 v[200:201], v[4:5], v[196:197]
	scratch_store_dwordx4 off, v[198:201], off offset:848
.LBB125_103:
	s_or_b64 exec, exec, s[4:5]
	scratch_load_dwordx4 v[2:5], v11, off
	v_cmp_lt_u32_e64 s[0:1], 52, v0
	s_waitcnt vmcnt(0)
	ds_write_b128 v9, v[2:5]
	s_waitcnt lgkmcnt(0)
	; wave barrier
	s_waitcnt lgkmcnt(0)
	s_and_saveexec_b64 s[4:5], s[0:1]
	s_cbranch_execz .LBB125_117
; %bb.104:
	ds_read_b128 v[2:5], v9
	s_andn2_b64 vcc, exec, s[6:7]
	s_cbranch_vccnz .LBB125_106
; %bb.105:
	scratch_load_dwordx4 v[196:199], v8, off
	s_waitcnt vmcnt(0) lgkmcnt(0)
	v_mul_f64 v[26:27], v[2:3], v[198:199]
	v_mul_f64 v[6:7], v[4:5], v[198:199]
	v_fmac_f64_e32 v[26:27], v[4:5], v[196:197]
	v_fma_f64 v[2:3], v[2:3], v[196:197], -v[6:7]
	v_mov_b64_e32 v[4:5], v[26:27]
.LBB125_106:
	s_and_saveexec_b64 s[8:9], s[2:3]
	s_cbranch_execz .LBB125_116
; %bb.107:
	v_subrev_u32_e32 v7, 54, v0
	v_subrev_u32_e32 v6, 53, v0
	v_cmp_lt_u32_e32 vcc, 6, v7
	v_mov_b32_e32 v196, 53
	s_and_saveexec_b64 s[2:3], vcc
	s_cbranch_execz .LBB125_111
; %bb.108:
	v_and_b32_e32 v7, -8, v6
	s_mov_b32 s12, 0
	s_mov_b64 s[10:11], 0
	v_mov_b32_e32 v195, 0
	s_mov_b32 s13, 0
.LBB125_109:                            ; =>This Inner Loop Header: Depth=1
	v_readfirstlane_b32 s14, v195
	s_add_i32 s14, s14, s12
	s_add_i32 s15, s14, 0x350
	v_mov_b32_e32 v13, s12
	ds_read_b128 v[196:199], v13 offset:1840
	ds_read_b128 v[200:203], v13 offset:1856
	;; [unrolled: 1-line block ×4, first 2 shown]
	scratch_load_dwordx4 v[212:215], off, s15
	s_add_i32 s15, s14, 0x360
	s_addk_i32 s12, 0x80
	s_waitcnt vmcnt(0) lgkmcnt(3)
	v_mul_f64 v[26:27], v[198:199], v[214:215]
	v_mul_f64 v[28:29], v[196:197], v[214:215]
	v_fma_f64 v[26:27], v[196:197], v[212:213], -v[26:27]
	v_fmac_f64_e32 v[28:29], v[198:199], v[212:213]
	v_add_f64 v[26:27], v[2:3], v[26:27]
	v_add_f64 v[28:29], v[4:5], v[28:29]
	scratch_load_dwordx4 v[2:5], off, s15
	s_add_i32 s15, s14, 0x370
	s_waitcnt vmcnt(0) lgkmcnt(2)
	v_mul_f64 v[36:37], v[202:203], v[4:5]
	v_mul_f64 v[4:5], v[200:201], v[4:5]
	v_fmac_f64_e32 v[4:5], v[202:203], v[2:3]
	v_fma_f64 v[36:37], v[200:201], v[2:3], -v[36:37]
	v_add_f64 v[28:29], v[28:29], v[4:5]
	scratch_load_dwordx4 v[2:5], off, s15
	v_add_f64 v[26:27], v[26:27], v[36:37]
	s_add_i32 s15, s14, 0x380
	s_waitcnt vmcnt(0) lgkmcnt(1)
	v_mul_f64 v[36:37], v[206:207], v[4:5]
	v_mul_f64 v[4:5], v[204:205], v[4:5]
	v_fmac_f64_e32 v[4:5], v[206:207], v[2:3]
	v_fma_f64 v[36:37], v[204:205], v[2:3], -v[36:37]
	v_add_f64 v[28:29], v[28:29], v[4:5]
	scratch_load_dwordx4 v[2:5], off, s15
	s_add_i32 s15, s14, 0x390
	scratch_load_dwordx4 v[196:199], off, s15
	v_add_f64 v[26:27], v[26:27], v[36:37]
	s_add_i32 s15, s14, 0x3a0
	s_waitcnt vmcnt(1) lgkmcnt(0)
	v_mul_f64 v[36:37], v[210:211], v[4:5]
	v_mul_f64 v[4:5], v[208:209], v[4:5]
	v_fmac_f64_e32 v[4:5], v[210:211], v[2:3]
	v_fma_f64 v[36:37], v[208:209], v[2:3], -v[36:37]
	v_add_f64 v[28:29], v[28:29], v[4:5]
	ds_read_b128 v[2:5], v13 offset:1904
	v_add_f64 v[26:27], v[26:27], v[36:37]
	s_waitcnt vmcnt(0) lgkmcnt(0)
	v_mul_f64 v[36:37], v[4:5], v[198:199]
	v_fma_f64 v[36:37], v[2:3], v[196:197], -v[36:37]
	v_mul_f64 v[2:3], v[2:3], v[198:199]
	v_fmac_f64_e32 v[2:3], v[4:5], v[196:197]
	scratch_load_dwordx4 v[196:199], off, s15
	v_add_f64 v[28:29], v[28:29], v[2:3]
	ds_read_b128 v[2:5], v13 offset:1920
	v_add_f64 v[26:27], v[26:27], v[36:37]
	s_add_i32 s15, s14, 0x3b0
	s_addk_i32 s14, 0x3c0
	s_waitcnt vmcnt(0) lgkmcnt(0)
	v_mul_f64 v[36:37], v[4:5], v[198:199]
	v_fma_f64 v[36:37], v[2:3], v[196:197], -v[36:37]
	v_mul_f64 v[2:3], v[2:3], v[198:199]
	v_fmac_f64_e32 v[2:3], v[4:5], v[196:197]
	scratch_load_dwordx4 v[196:199], off, s15
	v_add_f64 v[28:29], v[28:29], v[2:3]
	ds_read_b128 v[2:5], v13 offset:1936
	v_add_f64 v[26:27], v[26:27], v[36:37]
	s_waitcnt vmcnt(0) lgkmcnt(0)
	v_mul_f64 v[36:37], v[4:5], v[198:199]
	v_fma_f64 v[36:37], v[2:3], v[196:197], -v[36:37]
	v_mul_f64 v[2:3], v[2:3], v[198:199]
	v_fmac_f64_e32 v[2:3], v[4:5], v[196:197]
	scratch_load_dwordx4 v[196:199], off, s14
	v_add_f64 v[28:29], v[28:29], v[2:3]
	ds_read_b128 v[2:5], v13 offset:1952
	v_add_f64 v[26:27], v[26:27], v[36:37]
	s_add_i32 s14, s13, 8
	v_cmp_eq_u32_e32 vcc, s14, v7
	s_add_i32 s13, s13, 61
	s_or_b64 s[10:11], vcc, s[10:11]
	s_waitcnt vmcnt(0) lgkmcnt(0)
	v_mul_f64 v[36:37], v[4:5], v[198:199]
	v_mul_f64 v[138:139], v[2:3], v[198:199]
	v_fma_f64 v[36:37], v[2:3], v[196:197], -v[36:37]
	v_fmac_f64_e32 v[138:139], v[4:5], v[196:197]
	v_add_f64 v[2:3], v[26:27], v[36:37]
	v_add_f64 v[4:5], v[28:29], v[138:139]
	v_mov_b32_e32 v196, s13
	s_mov_b32 s13, s14
	s_andn2_b64 exec, exec, s[10:11]
	s_cbranch_execnz .LBB125_109
; %bb.110:
	s_or_b64 exec, exec, s[10:11]
.LBB125_111:
	s_or_b64 exec, exec, s[2:3]
	v_and_b32_e32 v6, 7, v6
	v_cmp_ne_u32_e32 vcc, 0, v6
	s_and_saveexec_b64 s[2:3], vcc
	s_cbranch_execz .LBB125_115
; %bb.112:
	v_lshlrev_b32_e32 v13, 4, v196
	v_add_u32_e32 v7, 0x3e0, v13
	v_add_u32_e32 v195, 0, v13
	s_mov_b64 s[10:11], 0
.LBB125_113:                            ; =>This Inner Loop Header: Depth=1
	scratch_load_dwordx4 v[196:199], v195, off
	ds_read_b128 v[200:203], v7
	v_add_u32_e32 v6, -1, v6
	v_cmp_eq_u32_e32 vcc, 0, v6
	v_add_u32_e32 v7, 16, v7
	v_add_u32_e32 v195, 16, v195
	s_or_b64 s[10:11], vcc, s[10:11]
	s_waitcnt vmcnt(0) lgkmcnt(0)
	v_mul_f64 v[26:27], v[202:203], v[198:199]
	v_mul_f64 v[28:29], v[200:201], v[198:199]
	v_fma_f64 v[26:27], v[200:201], v[196:197], -v[26:27]
	v_fmac_f64_e32 v[28:29], v[202:203], v[196:197]
	v_add_f64 v[2:3], v[2:3], v[26:27]
	v_add_f64 v[4:5], v[4:5], v[28:29]
	s_andn2_b64 exec, exec, s[10:11]
	s_cbranch_execnz .LBB125_113
; %bb.114:
	s_or_b64 exec, exec, s[10:11]
.LBB125_115:
	s_or_b64 exec, exec, s[2:3]
.LBB125_116:
	s_or_b64 exec, exec, s[8:9]
	v_mov_b32_e32 v6, 0
	ds_read_b128 v[196:199], v6 offset:832
	s_waitcnt lgkmcnt(0)
	v_mul_f64 v[6:7], v[4:5], v[198:199]
	v_mul_f64 v[200:201], v[2:3], v[198:199]
	v_fma_f64 v[198:199], v[2:3], v[196:197], -v[6:7]
	v_fmac_f64_e32 v[200:201], v[4:5], v[196:197]
	scratch_store_dwordx4 off, v[198:201], off offset:832
.LBB125_117:
	s_or_b64 exec, exec, s[4:5]
	scratch_load_dwordx4 v[2:5], v12, off
	v_cmp_lt_u32_e64 s[2:3], 51, v0
	s_waitcnt vmcnt(0)
	ds_write_b128 v9, v[2:5]
	s_waitcnt lgkmcnt(0)
	; wave barrier
	s_waitcnt lgkmcnt(0)
	s_and_saveexec_b64 s[4:5], s[2:3]
	s_cbranch_execz .LBB125_131
; %bb.118:
	ds_read_b128 v[2:5], v9
	s_andn2_b64 vcc, exec, s[6:7]
	s_cbranch_vccnz .LBB125_120
; %bb.119:
	scratch_load_dwordx4 v[196:199], v8, off
	s_waitcnt vmcnt(0) lgkmcnt(0)
	v_mul_f64 v[26:27], v[2:3], v[198:199]
	v_mul_f64 v[6:7], v[4:5], v[198:199]
	v_fmac_f64_e32 v[26:27], v[4:5], v[196:197]
	v_fma_f64 v[2:3], v[2:3], v[196:197], -v[6:7]
	v_mov_b64_e32 v[4:5], v[26:27]
.LBB125_120:
	s_and_saveexec_b64 s[8:9], s[0:1]
	s_cbranch_execz .LBB125_130
; %bb.121:
	v_subrev_u32_e32 v7, 53, v0
	v_subrev_u32_e32 v6, 52, v0
	v_cmp_lt_u32_e32 vcc, 6, v7
	v_mov_b32_e32 v196, 52
	s_and_saveexec_b64 s[0:1], vcc
	s_cbranch_execz .LBB125_125
; %bb.122:
	v_and_b32_e32 v7, -8, v6
	s_mov_b32 s12, 0
	s_mov_b64 s[10:11], 0
	v_mov_b32_e32 v195, 0
	s_mov_b32 s13, 0
.LBB125_123:                            ; =>This Inner Loop Header: Depth=1
	v_readfirstlane_b32 s14, v195
	s_add_i32 s14, s14, s12
	s_add_i32 s15, s14, 0x340
	v_mov_b32_e32 v13, s12
	ds_read_b128 v[196:199], v13 offset:1824
	ds_read_b128 v[200:203], v13 offset:1840
	ds_read_b128 v[204:207], v13 offset:1856
	ds_read_b128 v[208:211], v13 offset:1872
	scratch_load_dwordx4 v[212:215], off, s15
	s_add_i32 s15, s14, 0x350
	s_addk_i32 s12, 0x80
	s_waitcnt vmcnt(0) lgkmcnt(3)
	v_mul_f64 v[26:27], v[198:199], v[214:215]
	v_mul_f64 v[28:29], v[196:197], v[214:215]
	v_fma_f64 v[26:27], v[196:197], v[212:213], -v[26:27]
	v_fmac_f64_e32 v[28:29], v[198:199], v[212:213]
	v_add_f64 v[26:27], v[2:3], v[26:27]
	v_add_f64 v[28:29], v[4:5], v[28:29]
	scratch_load_dwordx4 v[2:5], off, s15
	s_add_i32 s15, s14, 0x360
	s_waitcnt vmcnt(0) lgkmcnt(2)
	v_mul_f64 v[36:37], v[202:203], v[4:5]
	v_mul_f64 v[4:5], v[200:201], v[4:5]
	v_fmac_f64_e32 v[4:5], v[202:203], v[2:3]
	v_fma_f64 v[36:37], v[200:201], v[2:3], -v[36:37]
	v_add_f64 v[28:29], v[28:29], v[4:5]
	scratch_load_dwordx4 v[2:5], off, s15
	v_add_f64 v[26:27], v[26:27], v[36:37]
	s_add_i32 s15, s14, 0x370
	s_waitcnt vmcnt(0) lgkmcnt(1)
	v_mul_f64 v[36:37], v[206:207], v[4:5]
	v_mul_f64 v[4:5], v[204:205], v[4:5]
	v_fmac_f64_e32 v[4:5], v[206:207], v[2:3]
	v_fma_f64 v[36:37], v[204:205], v[2:3], -v[36:37]
	v_add_f64 v[28:29], v[28:29], v[4:5]
	scratch_load_dwordx4 v[2:5], off, s15
	s_add_i32 s15, s14, 0x380
	scratch_load_dwordx4 v[196:199], off, s15
	v_add_f64 v[26:27], v[26:27], v[36:37]
	s_add_i32 s15, s14, 0x390
	s_waitcnt vmcnt(1) lgkmcnt(0)
	v_mul_f64 v[36:37], v[210:211], v[4:5]
	v_mul_f64 v[4:5], v[208:209], v[4:5]
	v_fmac_f64_e32 v[4:5], v[210:211], v[2:3]
	v_fma_f64 v[36:37], v[208:209], v[2:3], -v[36:37]
	v_add_f64 v[28:29], v[28:29], v[4:5]
	ds_read_b128 v[2:5], v13 offset:1888
	v_add_f64 v[26:27], v[26:27], v[36:37]
	s_waitcnt vmcnt(0) lgkmcnt(0)
	v_mul_f64 v[36:37], v[4:5], v[198:199]
	v_fma_f64 v[36:37], v[2:3], v[196:197], -v[36:37]
	v_mul_f64 v[2:3], v[2:3], v[198:199]
	v_fmac_f64_e32 v[2:3], v[4:5], v[196:197]
	scratch_load_dwordx4 v[196:199], off, s15
	v_add_f64 v[28:29], v[28:29], v[2:3]
	ds_read_b128 v[2:5], v13 offset:1904
	v_add_f64 v[26:27], v[26:27], v[36:37]
	s_add_i32 s15, s14, 0x3a0
	s_addk_i32 s14, 0x3b0
	s_waitcnt vmcnt(0) lgkmcnt(0)
	v_mul_f64 v[36:37], v[4:5], v[198:199]
	v_fma_f64 v[36:37], v[2:3], v[196:197], -v[36:37]
	v_mul_f64 v[2:3], v[2:3], v[198:199]
	v_fmac_f64_e32 v[2:3], v[4:5], v[196:197]
	scratch_load_dwordx4 v[196:199], off, s15
	v_add_f64 v[28:29], v[28:29], v[2:3]
	ds_read_b128 v[2:5], v13 offset:1920
	v_add_f64 v[26:27], v[26:27], v[36:37]
	s_waitcnt vmcnt(0) lgkmcnt(0)
	v_mul_f64 v[36:37], v[4:5], v[198:199]
	v_fma_f64 v[36:37], v[2:3], v[196:197], -v[36:37]
	v_mul_f64 v[2:3], v[2:3], v[198:199]
	v_fmac_f64_e32 v[2:3], v[4:5], v[196:197]
	scratch_load_dwordx4 v[196:199], off, s14
	v_add_f64 v[28:29], v[28:29], v[2:3]
	ds_read_b128 v[2:5], v13 offset:1936
	v_add_f64 v[26:27], v[26:27], v[36:37]
	s_add_i32 s14, s13, 8
	v_cmp_eq_u32_e32 vcc, s14, v7
	s_add_i32 s13, s13, 60
	s_or_b64 s[10:11], vcc, s[10:11]
	s_waitcnt vmcnt(0) lgkmcnt(0)
	v_mul_f64 v[36:37], v[4:5], v[198:199]
	v_mul_f64 v[138:139], v[2:3], v[198:199]
	v_fma_f64 v[36:37], v[2:3], v[196:197], -v[36:37]
	v_fmac_f64_e32 v[138:139], v[4:5], v[196:197]
	v_add_f64 v[2:3], v[26:27], v[36:37]
	v_add_f64 v[4:5], v[28:29], v[138:139]
	v_mov_b32_e32 v196, s13
	s_mov_b32 s13, s14
	s_andn2_b64 exec, exec, s[10:11]
	s_cbranch_execnz .LBB125_123
; %bb.124:
	s_or_b64 exec, exec, s[10:11]
.LBB125_125:
	s_or_b64 exec, exec, s[0:1]
	v_and_b32_e32 v6, 7, v6
	v_cmp_ne_u32_e32 vcc, 0, v6
	s_and_saveexec_b64 s[0:1], vcc
	s_cbranch_execz .LBB125_129
; %bb.126:
	v_lshlrev_b32_e32 v13, 4, v196
	v_add_u32_e32 v7, 0x3e0, v13
	v_add_u32_e32 v195, 0, v13
	s_mov_b64 s[10:11], 0
.LBB125_127:                            ; =>This Inner Loop Header: Depth=1
	scratch_load_dwordx4 v[196:199], v195, off
	ds_read_b128 v[200:203], v7
	v_add_u32_e32 v6, -1, v6
	v_cmp_eq_u32_e32 vcc, 0, v6
	v_add_u32_e32 v7, 16, v7
	v_add_u32_e32 v195, 16, v195
	s_or_b64 s[10:11], vcc, s[10:11]
	s_waitcnt vmcnt(0) lgkmcnt(0)
	v_mul_f64 v[26:27], v[202:203], v[198:199]
	v_mul_f64 v[28:29], v[200:201], v[198:199]
	v_fma_f64 v[26:27], v[200:201], v[196:197], -v[26:27]
	v_fmac_f64_e32 v[28:29], v[202:203], v[196:197]
	v_add_f64 v[2:3], v[2:3], v[26:27]
	v_add_f64 v[4:5], v[4:5], v[28:29]
	s_andn2_b64 exec, exec, s[10:11]
	s_cbranch_execnz .LBB125_127
; %bb.128:
	s_or_b64 exec, exec, s[10:11]
.LBB125_129:
	s_or_b64 exec, exec, s[0:1]
.LBB125_130:
	s_or_b64 exec, exec, s[8:9]
	v_mov_b32_e32 v6, 0
	ds_read_b128 v[196:199], v6 offset:816
	s_waitcnt lgkmcnt(0)
	v_mul_f64 v[6:7], v[4:5], v[198:199]
	v_mul_f64 v[200:201], v[2:3], v[198:199]
	v_fma_f64 v[198:199], v[2:3], v[196:197], -v[6:7]
	v_fmac_f64_e32 v[200:201], v[4:5], v[196:197]
	scratch_store_dwordx4 off, v[198:201], off offset:816
.LBB125_131:
	s_or_b64 exec, exec, s[4:5]
	scratch_load_dwordx4 v[2:5], v10, off
	v_cmp_lt_u32_e64 s[0:1], 50, v0
	s_waitcnt vmcnt(0)
	ds_write_b128 v9, v[2:5]
	s_waitcnt lgkmcnt(0)
	; wave barrier
	s_waitcnt lgkmcnt(0)
	s_and_saveexec_b64 s[4:5], s[0:1]
	s_cbranch_execz .LBB125_145
; %bb.132:
	ds_read_b128 v[2:5], v9
	s_andn2_b64 vcc, exec, s[6:7]
	s_cbranch_vccnz .LBB125_134
; %bb.133:
	scratch_load_dwordx4 v[196:199], v8, off
	s_waitcnt vmcnt(0) lgkmcnt(0)
	v_mul_f64 v[26:27], v[2:3], v[198:199]
	v_mul_f64 v[6:7], v[4:5], v[198:199]
	v_fmac_f64_e32 v[26:27], v[4:5], v[196:197]
	v_fma_f64 v[2:3], v[2:3], v[196:197], -v[6:7]
	v_mov_b64_e32 v[4:5], v[26:27]
.LBB125_134:
	s_and_saveexec_b64 s[8:9], s[2:3]
	s_cbranch_execz .LBB125_144
; %bb.135:
	v_subrev_u32_e32 v7, 52, v0
	v_subrev_u32_e32 v6, 51, v0
	v_cmp_lt_u32_e32 vcc, 6, v7
	v_mov_b32_e32 v196, 51
	s_and_saveexec_b64 s[2:3], vcc
	s_cbranch_execz .LBB125_139
; %bb.136:
	v_and_b32_e32 v7, -8, v6
	s_mov_b32 s12, 0
	s_mov_b64 s[10:11], 0
	v_mov_b32_e32 v195, 0
	s_mov_b32 s13, 0
.LBB125_137:                            ; =>This Inner Loop Header: Depth=1
	v_readfirstlane_b32 s14, v195
	s_add_i32 s14, s14, s12
	s_add_i32 s15, s14, 0x330
	v_mov_b32_e32 v13, s12
	ds_read_b128 v[196:199], v13 offset:1808
	ds_read_b128 v[200:203], v13 offset:1824
	ds_read_b128 v[204:207], v13 offset:1840
	ds_read_b128 v[208:211], v13 offset:1856
	scratch_load_dwordx4 v[212:215], off, s15
	s_add_i32 s15, s14, 0x340
	s_addk_i32 s12, 0x80
	s_waitcnt vmcnt(0) lgkmcnt(3)
	v_mul_f64 v[26:27], v[198:199], v[214:215]
	v_mul_f64 v[28:29], v[196:197], v[214:215]
	v_fma_f64 v[26:27], v[196:197], v[212:213], -v[26:27]
	v_fmac_f64_e32 v[28:29], v[198:199], v[212:213]
	v_add_f64 v[26:27], v[2:3], v[26:27]
	v_add_f64 v[28:29], v[4:5], v[28:29]
	scratch_load_dwordx4 v[2:5], off, s15
	s_add_i32 s15, s14, 0x350
	s_waitcnt vmcnt(0) lgkmcnt(2)
	v_mul_f64 v[36:37], v[202:203], v[4:5]
	v_mul_f64 v[4:5], v[200:201], v[4:5]
	v_fmac_f64_e32 v[4:5], v[202:203], v[2:3]
	v_fma_f64 v[36:37], v[200:201], v[2:3], -v[36:37]
	v_add_f64 v[28:29], v[28:29], v[4:5]
	scratch_load_dwordx4 v[2:5], off, s15
	v_add_f64 v[26:27], v[26:27], v[36:37]
	s_add_i32 s15, s14, 0x360
	s_waitcnt vmcnt(0) lgkmcnt(1)
	v_mul_f64 v[36:37], v[206:207], v[4:5]
	v_mul_f64 v[4:5], v[204:205], v[4:5]
	v_fmac_f64_e32 v[4:5], v[206:207], v[2:3]
	v_fma_f64 v[36:37], v[204:205], v[2:3], -v[36:37]
	v_add_f64 v[28:29], v[28:29], v[4:5]
	scratch_load_dwordx4 v[2:5], off, s15
	s_add_i32 s15, s14, 0x370
	scratch_load_dwordx4 v[196:199], off, s15
	v_add_f64 v[26:27], v[26:27], v[36:37]
	s_add_i32 s15, s14, 0x380
	s_waitcnt vmcnt(1) lgkmcnt(0)
	v_mul_f64 v[36:37], v[210:211], v[4:5]
	v_mul_f64 v[4:5], v[208:209], v[4:5]
	v_fmac_f64_e32 v[4:5], v[210:211], v[2:3]
	v_fma_f64 v[36:37], v[208:209], v[2:3], -v[36:37]
	v_add_f64 v[28:29], v[28:29], v[4:5]
	ds_read_b128 v[2:5], v13 offset:1872
	v_add_f64 v[26:27], v[26:27], v[36:37]
	s_waitcnt vmcnt(0) lgkmcnt(0)
	v_mul_f64 v[36:37], v[4:5], v[198:199]
	v_fma_f64 v[36:37], v[2:3], v[196:197], -v[36:37]
	v_mul_f64 v[2:3], v[2:3], v[198:199]
	v_fmac_f64_e32 v[2:3], v[4:5], v[196:197]
	scratch_load_dwordx4 v[196:199], off, s15
	v_add_f64 v[28:29], v[28:29], v[2:3]
	ds_read_b128 v[2:5], v13 offset:1888
	v_add_f64 v[26:27], v[26:27], v[36:37]
	s_add_i32 s15, s14, 0x390
	s_addk_i32 s14, 0x3a0
	s_waitcnt vmcnt(0) lgkmcnt(0)
	v_mul_f64 v[36:37], v[4:5], v[198:199]
	v_fma_f64 v[36:37], v[2:3], v[196:197], -v[36:37]
	v_mul_f64 v[2:3], v[2:3], v[198:199]
	v_fmac_f64_e32 v[2:3], v[4:5], v[196:197]
	scratch_load_dwordx4 v[196:199], off, s15
	v_add_f64 v[28:29], v[28:29], v[2:3]
	ds_read_b128 v[2:5], v13 offset:1904
	v_add_f64 v[26:27], v[26:27], v[36:37]
	s_waitcnt vmcnt(0) lgkmcnt(0)
	v_mul_f64 v[36:37], v[4:5], v[198:199]
	v_fma_f64 v[36:37], v[2:3], v[196:197], -v[36:37]
	v_mul_f64 v[2:3], v[2:3], v[198:199]
	v_fmac_f64_e32 v[2:3], v[4:5], v[196:197]
	scratch_load_dwordx4 v[196:199], off, s14
	v_add_f64 v[28:29], v[28:29], v[2:3]
	ds_read_b128 v[2:5], v13 offset:1920
	v_add_f64 v[26:27], v[26:27], v[36:37]
	s_add_i32 s14, s13, 8
	v_cmp_eq_u32_e32 vcc, s14, v7
	s_add_i32 s13, s13, 59
	s_or_b64 s[10:11], vcc, s[10:11]
	s_waitcnt vmcnt(0) lgkmcnt(0)
	v_mul_f64 v[36:37], v[4:5], v[198:199]
	v_mul_f64 v[138:139], v[2:3], v[198:199]
	v_fma_f64 v[36:37], v[2:3], v[196:197], -v[36:37]
	v_fmac_f64_e32 v[138:139], v[4:5], v[196:197]
	v_add_f64 v[2:3], v[26:27], v[36:37]
	v_add_f64 v[4:5], v[28:29], v[138:139]
	v_mov_b32_e32 v196, s13
	s_mov_b32 s13, s14
	s_andn2_b64 exec, exec, s[10:11]
	s_cbranch_execnz .LBB125_137
; %bb.138:
	s_or_b64 exec, exec, s[10:11]
.LBB125_139:
	s_or_b64 exec, exec, s[2:3]
	v_and_b32_e32 v6, 7, v6
	v_cmp_ne_u32_e32 vcc, 0, v6
	s_and_saveexec_b64 s[2:3], vcc
	s_cbranch_execz .LBB125_143
; %bb.140:
	v_lshlrev_b32_e32 v13, 4, v196
	v_add_u32_e32 v7, 0x3e0, v13
	v_add_u32_e32 v195, 0, v13
	s_mov_b64 s[10:11], 0
.LBB125_141:                            ; =>This Inner Loop Header: Depth=1
	scratch_load_dwordx4 v[196:199], v195, off
	ds_read_b128 v[200:203], v7
	v_add_u32_e32 v6, -1, v6
	v_cmp_eq_u32_e32 vcc, 0, v6
	v_add_u32_e32 v7, 16, v7
	v_add_u32_e32 v195, 16, v195
	s_or_b64 s[10:11], vcc, s[10:11]
	s_waitcnt vmcnt(0) lgkmcnt(0)
	v_mul_f64 v[26:27], v[202:203], v[198:199]
	v_mul_f64 v[28:29], v[200:201], v[198:199]
	v_fma_f64 v[26:27], v[200:201], v[196:197], -v[26:27]
	v_fmac_f64_e32 v[28:29], v[202:203], v[196:197]
	v_add_f64 v[2:3], v[2:3], v[26:27]
	v_add_f64 v[4:5], v[4:5], v[28:29]
	s_andn2_b64 exec, exec, s[10:11]
	s_cbranch_execnz .LBB125_141
; %bb.142:
	s_or_b64 exec, exec, s[10:11]
.LBB125_143:
	s_or_b64 exec, exec, s[2:3]
.LBB125_144:
	s_or_b64 exec, exec, s[8:9]
	v_mov_b32_e32 v6, 0
	ds_read_b128 v[196:199], v6 offset:800
	s_waitcnt lgkmcnt(0)
	v_mul_f64 v[6:7], v[4:5], v[198:199]
	v_mul_f64 v[200:201], v[2:3], v[198:199]
	v_fma_f64 v[198:199], v[2:3], v[196:197], -v[6:7]
	v_fmac_f64_e32 v[200:201], v[4:5], v[196:197]
	scratch_store_dwordx4 off, v[198:201], off offset:800
.LBB125_145:
	s_or_b64 exec, exec, s[4:5]
	scratch_load_dwordx4 v[2:5], v146, off
	v_cmp_lt_u32_e64 s[2:3], 49, v0
	s_waitcnt vmcnt(0)
	ds_write_b128 v9, v[2:5]
	s_waitcnt lgkmcnt(0)
	; wave barrier
	s_waitcnt lgkmcnt(0)
	s_and_saveexec_b64 s[4:5], s[2:3]
	s_cbranch_execz .LBB125_159
; %bb.146:
	ds_read_b128 v[2:5], v9
	s_andn2_b64 vcc, exec, s[6:7]
	s_cbranch_vccnz .LBB125_148
; %bb.147:
	scratch_load_dwordx4 v[196:199], v8, off
	s_waitcnt vmcnt(0) lgkmcnt(0)
	v_mul_f64 v[26:27], v[2:3], v[198:199]
	v_mul_f64 v[6:7], v[4:5], v[198:199]
	v_fmac_f64_e32 v[26:27], v[4:5], v[196:197]
	v_fma_f64 v[2:3], v[2:3], v[196:197], -v[6:7]
	v_mov_b64_e32 v[4:5], v[26:27]
.LBB125_148:
	s_and_saveexec_b64 s[8:9], s[0:1]
	s_cbranch_execz .LBB125_158
; %bb.149:
	v_subrev_u32_e32 v7, 51, v0
	v_subrev_u32_e32 v6, 50, v0
	v_cmp_lt_u32_e32 vcc, 6, v7
	v_mov_b32_e32 v196, 50
	s_and_saveexec_b64 s[0:1], vcc
	s_cbranch_execz .LBB125_153
; %bb.150:
	v_and_b32_e32 v7, -8, v6
	s_mov_b32 s12, 0
	s_mov_b64 s[10:11], 0
	v_mov_b32_e32 v195, 0
	s_mov_b32 s13, 0
.LBB125_151:                            ; =>This Inner Loop Header: Depth=1
	v_readfirstlane_b32 s14, v195
	s_add_i32 s14, s14, s12
	s_add_i32 s15, s14, 0x320
	v_mov_b32_e32 v13, s12
	ds_read_b128 v[196:199], v13 offset:1792
	ds_read_b128 v[200:203], v13 offset:1808
	;; [unrolled: 1-line block ×4, first 2 shown]
	scratch_load_dwordx4 v[212:215], off, s15
	s_add_i32 s15, s14, 0x330
	s_addk_i32 s12, 0x80
	s_waitcnt vmcnt(0) lgkmcnt(3)
	v_mul_f64 v[26:27], v[198:199], v[214:215]
	v_mul_f64 v[28:29], v[196:197], v[214:215]
	v_fma_f64 v[26:27], v[196:197], v[212:213], -v[26:27]
	v_fmac_f64_e32 v[28:29], v[198:199], v[212:213]
	v_add_f64 v[26:27], v[2:3], v[26:27]
	v_add_f64 v[28:29], v[4:5], v[28:29]
	scratch_load_dwordx4 v[2:5], off, s15
	s_add_i32 s15, s14, 0x340
	s_waitcnt vmcnt(0) lgkmcnt(2)
	v_mul_f64 v[36:37], v[202:203], v[4:5]
	v_mul_f64 v[4:5], v[200:201], v[4:5]
	v_fmac_f64_e32 v[4:5], v[202:203], v[2:3]
	v_fma_f64 v[36:37], v[200:201], v[2:3], -v[36:37]
	v_add_f64 v[28:29], v[28:29], v[4:5]
	scratch_load_dwordx4 v[2:5], off, s15
	v_add_f64 v[26:27], v[26:27], v[36:37]
	s_add_i32 s15, s14, 0x350
	s_waitcnt vmcnt(0) lgkmcnt(1)
	v_mul_f64 v[36:37], v[206:207], v[4:5]
	v_mul_f64 v[4:5], v[204:205], v[4:5]
	v_fmac_f64_e32 v[4:5], v[206:207], v[2:3]
	v_fma_f64 v[36:37], v[204:205], v[2:3], -v[36:37]
	v_add_f64 v[28:29], v[28:29], v[4:5]
	scratch_load_dwordx4 v[2:5], off, s15
	s_add_i32 s15, s14, 0x360
	scratch_load_dwordx4 v[196:199], off, s15
	v_add_f64 v[26:27], v[26:27], v[36:37]
	s_add_i32 s15, s14, 0x370
	s_waitcnt vmcnt(1) lgkmcnt(0)
	v_mul_f64 v[36:37], v[210:211], v[4:5]
	v_mul_f64 v[4:5], v[208:209], v[4:5]
	v_fmac_f64_e32 v[4:5], v[210:211], v[2:3]
	v_fma_f64 v[36:37], v[208:209], v[2:3], -v[36:37]
	v_add_f64 v[28:29], v[28:29], v[4:5]
	ds_read_b128 v[2:5], v13 offset:1856
	v_add_f64 v[26:27], v[26:27], v[36:37]
	s_waitcnt vmcnt(0) lgkmcnt(0)
	v_mul_f64 v[36:37], v[4:5], v[198:199]
	v_fma_f64 v[36:37], v[2:3], v[196:197], -v[36:37]
	v_mul_f64 v[2:3], v[2:3], v[198:199]
	v_fmac_f64_e32 v[2:3], v[4:5], v[196:197]
	scratch_load_dwordx4 v[196:199], off, s15
	v_add_f64 v[28:29], v[28:29], v[2:3]
	ds_read_b128 v[2:5], v13 offset:1872
	v_add_f64 v[26:27], v[26:27], v[36:37]
	s_add_i32 s15, s14, 0x380
	s_addk_i32 s14, 0x390
	s_waitcnt vmcnt(0) lgkmcnt(0)
	v_mul_f64 v[36:37], v[4:5], v[198:199]
	v_fma_f64 v[36:37], v[2:3], v[196:197], -v[36:37]
	v_mul_f64 v[2:3], v[2:3], v[198:199]
	v_fmac_f64_e32 v[2:3], v[4:5], v[196:197]
	scratch_load_dwordx4 v[196:199], off, s15
	v_add_f64 v[28:29], v[28:29], v[2:3]
	ds_read_b128 v[2:5], v13 offset:1888
	v_add_f64 v[26:27], v[26:27], v[36:37]
	s_waitcnt vmcnt(0) lgkmcnt(0)
	v_mul_f64 v[36:37], v[4:5], v[198:199]
	v_fma_f64 v[36:37], v[2:3], v[196:197], -v[36:37]
	v_mul_f64 v[2:3], v[2:3], v[198:199]
	v_fmac_f64_e32 v[2:3], v[4:5], v[196:197]
	scratch_load_dwordx4 v[196:199], off, s14
	v_add_f64 v[28:29], v[28:29], v[2:3]
	ds_read_b128 v[2:5], v13 offset:1904
	v_add_f64 v[26:27], v[26:27], v[36:37]
	s_add_i32 s14, s13, 8
	v_cmp_eq_u32_e32 vcc, s14, v7
	s_add_i32 s13, s13, 58
	s_or_b64 s[10:11], vcc, s[10:11]
	s_waitcnt vmcnt(0) lgkmcnt(0)
	v_mul_f64 v[36:37], v[4:5], v[198:199]
	v_mul_f64 v[138:139], v[2:3], v[198:199]
	v_fma_f64 v[36:37], v[2:3], v[196:197], -v[36:37]
	v_fmac_f64_e32 v[138:139], v[4:5], v[196:197]
	v_add_f64 v[2:3], v[26:27], v[36:37]
	v_add_f64 v[4:5], v[28:29], v[138:139]
	v_mov_b32_e32 v196, s13
	s_mov_b32 s13, s14
	s_andn2_b64 exec, exec, s[10:11]
	s_cbranch_execnz .LBB125_151
; %bb.152:
	s_or_b64 exec, exec, s[10:11]
.LBB125_153:
	s_or_b64 exec, exec, s[0:1]
	v_and_b32_e32 v6, 7, v6
	v_cmp_ne_u32_e32 vcc, 0, v6
	s_and_saveexec_b64 s[0:1], vcc
	s_cbranch_execz .LBB125_157
; %bb.154:
	v_lshlrev_b32_e32 v13, 4, v196
	v_add_u32_e32 v7, 0x3e0, v13
	v_add_u32_e32 v195, 0, v13
	s_mov_b64 s[10:11], 0
.LBB125_155:                            ; =>This Inner Loop Header: Depth=1
	scratch_load_dwordx4 v[196:199], v195, off
	ds_read_b128 v[200:203], v7
	v_add_u32_e32 v6, -1, v6
	v_cmp_eq_u32_e32 vcc, 0, v6
	v_add_u32_e32 v7, 16, v7
	v_add_u32_e32 v195, 16, v195
	s_or_b64 s[10:11], vcc, s[10:11]
	s_waitcnt vmcnt(0) lgkmcnt(0)
	v_mul_f64 v[26:27], v[202:203], v[198:199]
	v_mul_f64 v[28:29], v[200:201], v[198:199]
	v_fma_f64 v[26:27], v[200:201], v[196:197], -v[26:27]
	v_fmac_f64_e32 v[28:29], v[202:203], v[196:197]
	v_add_f64 v[2:3], v[2:3], v[26:27]
	v_add_f64 v[4:5], v[4:5], v[28:29]
	s_andn2_b64 exec, exec, s[10:11]
	s_cbranch_execnz .LBB125_155
; %bb.156:
	s_or_b64 exec, exec, s[10:11]
.LBB125_157:
	s_or_b64 exec, exec, s[0:1]
.LBB125_158:
	s_or_b64 exec, exec, s[8:9]
	v_mov_b32_e32 v6, 0
	ds_read_b128 v[196:199], v6 offset:784
	s_waitcnt lgkmcnt(0)
	v_mul_f64 v[6:7], v[4:5], v[198:199]
	v_mul_f64 v[200:201], v[2:3], v[198:199]
	v_fma_f64 v[198:199], v[2:3], v[196:197], -v[6:7]
	v_fmac_f64_e32 v[200:201], v[4:5], v[196:197]
	scratch_store_dwordx4 off, v[198:201], off offset:784
.LBB125_159:
	s_or_b64 exec, exec, s[4:5]
	scratch_load_dwordx4 v[2:5], v147, off
	v_cmp_lt_u32_e64 s[0:1], 48, v0
	s_waitcnt vmcnt(0)
	ds_write_b128 v9, v[2:5]
	s_waitcnt lgkmcnt(0)
	; wave barrier
	s_waitcnt lgkmcnt(0)
	s_and_saveexec_b64 s[4:5], s[0:1]
	s_cbranch_execz .LBB125_173
; %bb.160:
	ds_read_b128 v[2:5], v9
	s_andn2_b64 vcc, exec, s[6:7]
	s_cbranch_vccnz .LBB125_162
; %bb.161:
	scratch_load_dwordx4 v[196:199], v8, off
	s_waitcnt vmcnt(0) lgkmcnt(0)
	v_mul_f64 v[26:27], v[2:3], v[198:199]
	v_mul_f64 v[6:7], v[4:5], v[198:199]
	v_fmac_f64_e32 v[26:27], v[4:5], v[196:197]
	v_fma_f64 v[2:3], v[2:3], v[196:197], -v[6:7]
	v_mov_b64_e32 v[4:5], v[26:27]
.LBB125_162:
	s_and_saveexec_b64 s[8:9], s[2:3]
	s_cbranch_execz .LBB125_172
; %bb.163:
	v_subrev_u32_e32 v7, 50, v0
	v_subrev_u32_e32 v6, 49, v0
	v_cmp_lt_u32_e32 vcc, 6, v7
	v_mov_b32_e32 v196, 49
	s_and_saveexec_b64 s[2:3], vcc
	s_cbranch_execz .LBB125_167
; %bb.164:
	v_and_b32_e32 v7, -8, v6
	s_mov_b32 s12, 0
	s_mov_b64 s[10:11], 0
	v_mov_b32_e32 v195, 0
	s_mov_b32 s13, 0
.LBB125_165:                            ; =>This Inner Loop Header: Depth=1
	v_readfirstlane_b32 s14, v195
	s_add_i32 s14, s14, s12
	s_add_i32 s15, s14, 0x310
	v_mov_b32_e32 v13, s12
	ds_read_b128 v[196:199], v13 offset:1776
	ds_read_b128 v[200:203], v13 offset:1792
	;; [unrolled: 1-line block ×4, first 2 shown]
	scratch_load_dwordx4 v[212:215], off, s15
	s_add_i32 s15, s14, 0x320
	s_addk_i32 s12, 0x80
	s_waitcnt vmcnt(0) lgkmcnt(3)
	v_mul_f64 v[26:27], v[198:199], v[214:215]
	v_mul_f64 v[28:29], v[196:197], v[214:215]
	v_fma_f64 v[26:27], v[196:197], v[212:213], -v[26:27]
	v_fmac_f64_e32 v[28:29], v[198:199], v[212:213]
	v_add_f64 v[26:27], v[2:3], v[26:27]
	v_add_f64 v[28:29], v[4:5], v[28:29]
	scratch_load_dwordx4 v[2:5], off, s15
	s_add_i32 s15, s14, 0x330
	s_waitcnt vmcnt(0) lgkmcnt(2)
	v_mul_f64 v[36:37], v[202:203], v[4:5]
	v_mul_f64 v[4:5], v[200:201], v[4:5]
	v_fmac_f64_e32 v[4:5], v[202:203], v[2:3]
	v_fma_f64 v[36:37], v[200:201], v[2:3], -v[36:37]
	v_add_f64 v[28:29], v[28:29], v[4:5]
	scratch_load_dwordx4 v[2:5], off, s15
	v_add_f64 v[26:27], v[26:27], v[36:37]
	s_add_i32 s15, s14, 0x340
	s_waitcnt vmcnt(0) lgkmcnt(1)
	v_mul_f64 v[36:37], v[206:207], v[4:5]
	v_mul_f64 v[4:5], v[204:205], v[4:5]
	v_fmac_f64_e32 v[4:5], v[206:207], v[2:3]
	v_fma_f64 v[36:37], v[204:205], v[2:3], -v[36:37]
	v_add_f64 v[28:29], v[28:29], v[4:5]
	scratch_load_dwordx4 v[2:5], off, s15
	s_add_i32 s15, s14, 0x350
	scratch_load_dwordx4 v[196:199], off, s15
	v_add_f64 v[26:27], v[26:27], v[36:37]
	s_add_i32 s15, s14, 0x360
	s_waitcnt vmcnt(1) lgkmcnt(0)
	v_mul_f64 v[36:37], v[210:211], v[4:5]
	v_mul_f64 v[4:5], v[208:209], v[4:5]
	v_fmac_f64_e32 v[4:5], v[210:211], v[2:3]
	v_fma_f64 v[36:37], v[208:209], v[2:3], -v[36:37]
	v_add_f64 v[28:29], v[28:29], v[4:5]
	ds_read_b128 v[2:5], v13 offset:1840
	v_add_f64 v[26:27], v[26:27], v[36:37]
	s_waitcnt vmcnt(0) lgkmcnt(0)
	v_mul_f64 v[36:37], v[4:5], v[198:199]
	v_fma_f64 v[36:37], v[2:3], v[196:197], -v[36:37]
	v_mul_f64 v[2:3], v[2:3], v[198:199]
	v_fmac_f64_e32 v[2:3], v[4:5], v[196:197]
	scratch_load_dwordx4 v[196:199], off, s15
	v_add_f64 v[28:29], v[28:29], v[2:3]
	ds_read_b128 v[2:5], v13 offset:1856
	v_add_f64 v[26:27], v[26:27], v[36:37]
	s_add_i32 s15, s14, 0x370
	s_addk_i32 s14, 0x380
	s_waitcnt vmcnt(0) lgkmcnt(0)
	v_mul_f64 v[36:37], v[4:5], v[198:199]
	v_fma_f64 v[36:37], v[2:3], v[196:197], -v[36:37]
	v_mul_f64 v[2:3], v[2:3], v[198:199]
	v_fmac_f64_e32 v[2:3], v[4:5], v[196:197]
	scratch_load_dwordx4 v[196:199], off, s15
	v_add_f64 v[28:29], v[28:29], v[2:3]
	ds_read_b128 v[2:5], v13 offset:1872
	v_add_f64 v[26:27], v[26:27], v[36:37]
	s_waitcnt vmcnt(0) lgkmcnt(0)
	v_mul_f64 v[36:37], v[4:5], v[198:199]
	v_fma_f64 v[36:37], v[2:3], v[196:197], -v[36:37]
	v_mul_f64 v[2:3], v[2:3], v[198:199]
	v_fmac_f64_e32 v[2:3], v[4:5], v[196:197]
	scratch_load_dwordx4 v[196:199], off, s14
	v_add_f64 v[28:29], v[28:29], v[2:3]
	ds_read_b128 v[2:5], v13 offset:1888
	v_add_f64 v[26:27], v[26:27], v[36:37]
	s_add_i32 s14, s13, 8
	v_cmp_eq_u32_e32 vcc, s14, v7
	s_add_i32 s13, s13, 57
	s_or_b64 s[10:11], vcc, s[10:11]
	s_waitcnt vmcnt(0) lgkmcnt(0)
	v_mul_f64 v[36:37], v[4:5], v[198:199]
	v_mul_f64 v[138:139], v[2:3], v[198:199]
	v_fma_f64 v[36:37], v[2:3], v[196:197], -v[36:37]
	v_fmac_f64_e32 v[138:139], v[4:5], v[196:197]
	v_add_f64 v[2:3], v[26:27], v[36:37]
	v_add_f64 v[4:5], v[28:29], v[138:139]
	v_mov_b32_e32 v196, s13
	s_mov_b32 s13, s14
	s_andn2_b64 exec, exec, s[10:11]
	s_cbranch_execnz .LBB125_165
; %bb.166:
	s_or_b64 exec, exec, s[10:11]
.LBB125_167:
	s_or_b64 exec, exec, s[2:3]
	v_and_b32_e32 v6, 7, v6
	v_cmp_ne_u32_e32 vcc, 0, v6
	s_and_saveexec_b64 s[2:3], vcc
	s_cbranch_execz .LBB125_171
; %bb.168:
	v_lshlrev_b32_e32 v13, 4, v196
	v_add_u32_e32 v7, 0x3e0, v13
	v_add_u32_e32 v195, 0, v13
	s_mov_b64 s[10:11], 0
.LBB125_169:                            ; =>This Inner Loop Header: Depth=1
	scratch_load_dwordx4 v[196:199], v195, off
	ds_read_b128 v[200:203], v7
	v_add_u32_e32 v6, -1, v6
	v_cmp_eq_u32_e32 vcc, 0, v6
	v_add_u32_e32 v7, 16, v7
	v_add_u32_e32 v195, 16, v195
	s_or_b64 s[10:11], vcc, s[10:11]
	s_waitcnt vmcnt(0) lgkmcnt(0)
	v_mul_f64 v[26:27], v[202:203], v[198:199]
	v_mul_f64 v[28:29], v[200:201], v[198:199]
	v_fma_f64 v[26:27], v[200:201], v[196:197], -v[26:27]
	v_fmac_f64_e32 v[28:29], v[202:203], v[196:197]
	v_add_f64 v[2:3], v[2:3], v[26:27]
	v_add_f64 v[4:5], v[4:5], v[28:29]
	s_andn2_b64 exec, exec, s[10:11]
	s_cbranch_execnz .LBB125_169
; %bb.170:
	s_or_b64 exec, exec, s[10:11]
.LBB125_171:
	s_or_b64 exec, exec, s[2:3]
.LBB125_172:
	s_or_b64 exec, exec, s[8:9]
	v_mov_b32_e32 v6, 0
	ds_read_b128 v[196:199], v6 offset:768
	s_waitcnt lgkmcnt(0)
	v_mul_f64 v[6:7], v[4:5], v[198:199]
	v_mul_f64 v[200:201], v[2:3], v[198:199]
	v_fma_f64 v[198:199], v[2:3], v[196:197], -v[6:7]
	v_fmac_f64_e32 v[200:201], v[4:5], v[196:197]
	scratch_store_dwordx4 off, v[198:201], off offset:768
.LBB125_173:
	s_or_b64 exec, exec, s[4:5]
	scratch_load_dwordx4 v[2:5], v148, off
	v_cmp_lt_u32_e64 s[2:3], 47, v0
	s_waitcnt vmcnt(0)
	ds_write_b128 v9, v[2:5]
	s_waitcnt lgkmcnt(0)
	; wave barrier
	s_waitcnt lgkmcnt(0)
	s_and_saveexec_b64 s[4:5], s[2:3]
	s_cbranch_execz .LBB125_187
; %bb.174:
	ds_read_b128 v[2:5], v9
	s_andn2_b64 vcc, exec, s[6:7]
	s_cbranch_vccnz .LBB125_176
; %bb.175:
	scratch_load_dwordx4 v[196:199], v8, off
	s_waitcnt vmcnt(0) lgkmcnt(0)
	v_mul_f64 v[26:27], v[2:3], v[198:199]
	v_mul_f64 v[6:7], v[4:5], v[198:199]
	v_fmac_f64_e32 v[26:27], v[4:5], v[196:197]
	v_fma_f64 v[2:3], v[2:3], v[196:197], -v[6:7]
	v_mov_b64_e32 v[4:5], v[26:27]
.LBB125_176:
	s_and_saveexec_b64 s[8:9], s[0:1]
	s_cbranch_execz .LBB125_186
; %bb.177:
	v_subrev_u32_e32 v6, 49, v0
	v_cmp_lt_u32_e32 vcc, 6, v6
	v_mov_b32_e32 v6, 48
	s_and_saveexec_b64 s[0:1], vcc
	s_cbranch_execz .LBB125_181
; %bb.178:
	v_and_b32_e32 v6, 56, v0
	s_mov_b32 s12, 48
	s_mov_b32 s13, 0
	s_mov_b64 s[10:11], 0
	v_mov_b32_e32 v7, 0
.LBB125_179:                            ; =>This Inner Loop Header: Depth=1
	s_nop 0
	v_readfirstlane_b32 s14, v7
	s_add_i32 s14, s14, s13
	s_add_i32 s15, s14, 0x300
	v_mov_b32_e32 v13, s13
	ds_read_b128 v[196:199], v13 offset:1760
	ds_read_b128 v[200:203], v13 offset:1776
	;; [unrolled: 1-line block ×4, first 2 shown]
	scratch_load_dwordx4 v[212:215], off, s15
	s_add_i32 s15, s14, 0x310
	s_add_i32 s12, s12, 8
	s_addk_i32 s13, 0x80
	v_cmp_eq_u32_e32 vcc, s12, v6
	s_waitcnt vmcnt(0) lgkmcnt(3)
	v_mul_f64 v[26:27], v[198:199], v[214:215]
	v_mul_f64 v[28:29], v[196:197], v[214:215]
	v_fma_f64 v[26:27], v[196:197], v[212:213], -v[26:27]
	v_fmac_f64_e32 v[28:29], v[198:199], v[212:213]
	v_add_f64 v[26:27], v[2:3], v[26:27]
	v_add_f64 v[28:29], v[4:5], v[28:29]
	scratch_load_dwordx4 v[2:5], off, s15
	s_add_i32 s15, s14, 0x320
	s_waitcnt vmcnt(0) lgkmcnt(2)
	v_mul_f64 v[36:37], v[202:203], v[4:5]
	v_mul_f64 v[4:5], v[200:201], v[4:5]
	v_fmac_f64_e32 v[4:5], v[202:203], v[2:3]
	v_fma_f64 v[36:37], v[200:201], v[2:3], -v[36:37]
	v_add_f64 v[28:29], v[28:29], v[4:5]
	scratch_load_dwordx4 v[2:5], off, s15
	v_add_f64 v[26:27], v[26:27], v[36:37]
	s_add_i32 s15, s14, 0x330
	s_waitcnt vmcnt(0) lgkmcnt(1)
	v_mul_f64 v[36:37], v[206:207], v[4:5]
	v_mul_f64 v[4:5], v[204:205], v[4:5]
	v_fmac_f64_e32 v[4:5], v[206:207], v[2:3]
	v_fma_f64 v[36:37], v[204:205], v[2:3], -v[36:37]
	v_add_f64 v[28:29], v[28:29], v[4:5]
	scratch_load_dwordx4 v[2:5], off, s15
	s_add_i32 s15, s14, 0x340
	scratch_load_dwordx4 v[196:199], off, s15
	v_add_f64 v[26:27], v[26:27], v[36:37]
	s_add_i32 s15, s14, 0x350
	s_waitcnt vmcnt(1) lgkmcnt(0)
	v_mul_f64 v[36:37], v[210:211], v[4:5]
	v_mul_f64 v[4:5], v[208:209], v[4:5]
	v_fmac_f64_e32 v[4:5], v[210:211], v[2:3]
	v_fma_f64 v[36:37], v[208:209], v[2:3], -v[36:37]
	v_add_f64 v[28:29], v[28:29], v[4:5]
	ds_read_b128 v[2:5], v13 offset:1824
	v_add_f64 v[26:27], v[26:27], v[36:37]
	s_waitcnt vmcnt(0) lgkmcnt(0)
	v_mul_f64 v[36:37], v[4:5], v[198:199]
	v_fma_f64 v[36:37], v[2:3], v[196:197], -v[36:37]
	v_mul_f64 v[2:3], v[2:3], v[198:199]
	v_fmac_f64_e32 v[2:3], v[4:5], v[196:197]
	scratch_load_dwordx4 v[196:199], off, s15
	v_add_f64 v[28:29], v[28:29], v[2:3]
	ds_read_b128 v[2:5], v13 offset:1840
	v_add_f64 v[26:27], v[26:27], v[36:37]
	s_add_i32 s15, s14, 0x360
	s_addk_i32 s14, 0x370
	s_or_b64 s[10:11], vcc, s[10:11]
	s_waitcnt vmcnt(0) lgkmcnt(0)
	v_mul_f64 v[36:37], v[4:5], v[198:199]
	v_fma_f64 v[36:37], v[2:3], v[196:197], -v[36:37]
	v_mul_f64 v[2:3], v[2:3], v[198:199]
	v_fmac_f64_e32 v[2:3], v[4:5], v[196:197]
	scratch_load_dwordx4 v[196:199], off, s15
	v_add_f64 v[28:29], v[28:29], v[2:3]
	ds_read_b128 v[2:5], v13 offset:1856
	v_add_f64 v[26:27], v[26:27], v[36:37]
	s_waitcnt vmcnt(0) lgkmcnt(0)
	v_mul_f64 v[36:37], v[4:5], v[198:199]
	v_fma_f64 v[36:37], v[2:3], v[196:197], -v[36:37]
	v_mul_f64 v[2:3], v[2:3], v[198:199]
	v_fmac_f64_e32 v[2:3], v[4:5], v[196:197]
	scratch_load_dwordx4 v[196:199], off, s14
	v_add_f64 v[28:29], v[28:29], v[2:3]
	ds_read_b128 v[2:5], v13 offset:1872
	v_add_f64 v[26:27], v[26:27], v[36:37]
	s_waitcnt vmcnt(0) lgkmcnt(0)
	v_mul_f64 v[36:37], v[4:5], v[198:199]
	v_mul_f64 v[138:139], v[2:3], v[198:199]
	v_fma_f64 v[36:37], v[2:3], v[196:197], -v[36:37]
	v_fmac_f64_e32 v[138:139], v[4:5], v[196:197]
	v_add_f64 v[2:3], v[26:27], v[36:37]
	v_add_f64 v[4:5], v[28:29], v[138:139]
	s_andn2_b64 exec, exec, s[10:11]
	s_cbranch_execnz .LBB125_179
; %bb.180:
	s_or_b64 exec, exec, s[10:11]
.LBB125_181:
	s_or_b64 exec, exec, s[0:1]
	v_and_b32_e32 v7, 7, v0
	v_cmp_ne_u32_e32 vcc, 0, v7
	s_and_saveexec_b64 s[0:1], vcc
	s_cbranch_execz .LBB125_185
; %bb.182:
	v_lshlrev_b32_e32 v13, 4, v6
	v_add_u32_e32 v6, 0x3e0, v13
	v_add_u32_e32 v195, 0, v13
	s_mov_b64 s[10:11], 0
.LBB125_183:                            ; =>This Inner Loop Header: Depth=1
	scratch_load_dwordx4 v[196:199], v195, off
	ds_read_b128 v[200:203], v6
	v_add_u32_e32 v7, -1, v7
	v_cmp_eq_u32_e32 vcc, 0, v7
	v_add_u32_e32 v6, 16, v6
	v_add_u32_e32 v195, 16, v195
	s_or_b64 s[10:11], vcc, s[10:11]
	s_waitcnt vmcnt(0) lgkmcnt(0)
	v_mul_f64 v[26:27], v[202:203], v[198:199]
	v_mul_f64 v[28:29], v[200:201], v[198:199]
	v_fma_f64 v[26:27], v[200:201], v[196:197], -v[26:27]
	v_fmac_f64_e32 v[28:29], v[202:203], v[196:197]
	v_add_f64 v[2:3], v[2:3], v[26:27]
	v_add_f64 v[4:5], v[4:5], v[28:29]
	s_andn2_b64 exec, exec, s[10:11]
	s_cbranch_execnz .LBB125_183
; %bb.184:
	s_or_b64 exec, exec, s[10:11]
.LBB125_185:
	s_or_b64 exec, exec, s[0:1]
.LBB125_186:
	s_or_b64 exec, exec, s[8:9]
	v_mov_b32_e32 v6, 0
	ds_read_b128 v[196:199], v6 offset:752
	s_waitcnt lgkmcnt(0)
	v_mul_f64 v[6:7], v[4:5], v[198:199]
	v_mul_f64 v[200:201], v[2:3], v[198:199]
	v_fma_f64 v[198:199], v[2:3], v[196:197], -v[6:7]
	v_fmac_f64_e32 v[200:201], v[4:5], v[196:197]
	scratch_store_dwordx4 off, v[198:201], off offset:752
.LBB125_187:
	s_or_b64 exec, exec, s[4:5]
	scratch_load_dwordx4 v[2:5], v149, off
	v_cmp_lt_u32_e64 s[0:1], 46, v0
	s_waitcnt vmcnt(0)
	ds_write_b128 v9, v[2:5]
	s_waitcnt lgkmcnt(0)
	; wave barrier
	s_waitcnt lgkmcnt(0)
	s_and_saveexec_b64 s[4:5], s[0:1]
	s_cbranch_execz .LBB125_201
; %bb.188:
	ds_read_b128 v[2:5], v9
	s_andn2_b64 vcc, exec, s[6:7]
	s_cbranch_vccnz .LBB125_190
; %bb.189:
	scratch_load_dwordx4 v[196:199], v8, off
	s_waitcnt vmcnt(0) lgkmcnt(0)
	v_mul_f64 v[26:27], v[2:3], v[198:199]
	v_mul_f64 v[6:7], v[4:5], v[198:199]
	v_fmac_f64_e32 v[26:27], v[4:5], v[196:197]
	v_fma_f64 v[2:3], v[2:3], v[196:197], -v[6:7]
	v_mov_b64_e32 v[4:5], v[26:27]
.LBB125_190:
	s_and_saveexec_b64 s[8:9], s[2:3]
	s_cbranch_execz .LBB125_200
; %bb.191:
	v_subrev_u32_e32 v7, 48, v0
	v_subrev_u32_e32 v6, 47, v0
	v_cmp_lt_u32_e32 vcc, 6, v7
	v_mov_b32_e32 v196, 47
	s_and_saveexec_b64 s[2:3], vcc
	s_cbranch_execz .LBB125_195
; %bb.192:
	v_and_b32_e32 v7, -8, v6
	s_mov_b32 s12, 0
	s_mov_b64 s[10:11], 0
	v_mov_b32_e32 v195, 0
	s_mov_b32 s13, 0
.LBB125_193:                            ; =>This Inner Loop Header: Depth=1
	v_readfirstlane_b32 s14, v195
	s_add_i32 s14, s14, s12
	s_add_i32 s15, s14, 0x2f0
	v_mov_b32_e32 v13, s12
	ds_read_b128 v[196:199], v13 offset:1744
	ds_read_b128 v[200:203], v13 offset:1760
	;; [unrolled: 1-line block ×4, first 2 shown]
	scratch_load_dwordx4 v[212:215], off, s15
	s_add_i32 s15, s14, 0x300
	s_addk_i32 s12, 0x80
	s_waitcnt vmcnt(0) lgkmcnt(3)
	v_mul_f64 v[26:27], v[198:199], v[214:215]
	v_mul_f64 v[28:29], v[196:197], v[214:215]
	v_fma_f64 v[26:27], v[196:197], v[212:213], -v[26:27]
	v_fmac_f64_e32 v[28:29], v[198:199], v[212:213]
	v_add_f64 v[26:27], v[2:3], v[26:27]
	v_add_f64 v[28:29], v[4:5], v[28:29]
	scratch_load_dwordx4 v[2:5], off, s15
	s_add_i32 s15, s14, 0x310
	s_waitcnt vmcnt(0) lgkmcnt(2)
	v_mul_f64 v[36:37], v[202:203], v[4:5]
	v_mul_f64 v[4:5], v[200:201], v[4:5]
	v_fmac_f64_e32 v[4:5], v[202:203], v[2:3]
	v_fma_f64 v[36:37], v[200:201], v[2:3], -v[36:37]
	v_add_f64 v[28:29], v[28:29], v[4:5]
	scratch_load_dwordx4 v[2:5], off, s15
	v_add_f64 v[26:27], v[26:27], v[36:37]
	s_add_i32 s15, s14, 0x320
	s_waitcnt vmcnt(0) lgkmcnt(1)
	v_mul_f64 v[36:37], v[206:207], v[4:5]
	v_mul_f64 v[4:5], v[204:205], v[4:5]
	v_fmac_f64_e32 v[4:5], v[206:207], v[2:3]
	v_fma_f64 v[36:37], v[204:205], v[2:3], -v[36:37]
	v_add_f64 v[28:29], v[28:29], v[4:5]
	scratch_load_dwordx4 v[2:5], off, s15
	s_add_i32 s15, s14, 0x330
	scratch_load_dwordx4 v[196:199], off, s15
	v_add_f64 v[26:27], v[26:27], v[36:37]
	s_add_i32 s15, s14, 0x340
	s_waitcnt vmcnt(1) lgkmcnt(0)
	v_mul_f64 v[36:37], v[210:211], v[4:5]
	v_mul_f64 v[4:5], v[208:209], v[4:5]
	v_fmac_f64_e32 v[4:5], v[210:211], v[2:3]
	v_fma_f64 v[36:37], v[208:209], v[2:3], -v[36:37]
	v_add_f64 v[28:29], v[28:29], v[4:5]
	ds_read_b128 v[2:5], v13 offset:1808
	v_add_f64 v[26:27], v[26:27], v[36:37]
	s_waitcnt vmcnt(0) lgkmcnt(0)
	v_mul_f64 v[36:37], v[4:5], v[198:199]
	v_fma_f64 v[36:37], v[2:3], v[196:197], -v[36:37]
	v_mul_f64 v[2:3], v[2:3], v[198:199]
	v_fmac_f64_e32 v[2:3], v[4:5], v[196:197]
	scratch_load_dwordx4 v[196:199], off, s15
	v_add_f64 v[28:29], v[28:29], v[2:3]
	ds_read_b128 v[2:5], v13 offset:1824
	v_add_f64 v[26:27], v[26:27], v[36:37]
	s_add_i32 s15, s14, 0x350
	s_addk_i32 s14, 0x360
	s_waitcnt vmcnt(0) lgkmcnt(0)
	v_mul_f64 v[36:37], v[4:5], v[198:199]
	v_fma_f64 v[36:37], v[2:3], v[196:197], -v[36:37]
	v_mul_f64 v[2:3], v[2:3], v[198:199]
	v_fmac_f64_e32 v[2:3], v[4:5], v[196:197]
	scratch_load_dwordx4 v[196:199], off, s15
	v_add_f64 v[28:29], v[28:29], v[2:3]
	ds_read_b128 v[2:5], v13 offset:1840
	v_add_f64 v[26:27], v[26:27], v[36:37]
	s_waitcnt vmcnt(0) lgkmcnt(0)
	v_mul_f64 v[36:37], v[4:5], v[198:199]
	v_fma_f64 v[36:37], v[2:3], v[196:197], -v[36:37]
	v_mul_f64 v[2:3], v[2:3], v[198:199]
	v_fmac_f64_e32 v[2:3], v[4:5], v[196:197]
	scratch_load_dwordx4 v[196:199], off, s14
	v_add_f64 v[28:29], v[28:29], v[2:3]
	ds_read_b128 v[2:5], v13 offset:1856
	v_add_f64 v[26:27], v[26:27], v[36:37]
	s_add_i32 s14, s13, 8
	v_cmp_eq_u32_e32 vcc, s14, v7
	s_add_i32 s13, s13, 55
	s_or_b64 s[10:11], vcc, s[10:11]
	s_waitcnt vmcnt(0) lgkmcnt(0)
	v_mul_f64 v[36:37], v[4:5], v[198:199]
	v_mul_f64 v[138:139], v[2:3], v[198:199]
	v_fma_f64 v[36:37], v[2:3], v[196:197], -v[36:37]
	v_fmac_f64_e32 v[138:139], v[4:5], v[196:197]
	v_add_f64 v[2:3], v[26:27], v[36:37]
	v_add_f64 v[4:5], v[28:29], v[138:139]
	v_mov_b32_e32 v196, s13
	s_mov_b32 s13, s14
	s_andn2_b64 exec, exec, s[10:11]
	s_cbranch_execnz .LBB125_193
; %bb.194:
	s_or_b64 exec, exec, s[10:11]
.LBB125_195:
	s_or_b64 exec, exec, s[2:3]
	v_and_b32_e32 v6, 7, v6
	v_cmp_ne_u32_e32 vcc, 0, v6
	s_and_saveexec_b64 s[2:3], vcc
	s_cbranch_execz .LBB125_199
; %bb.196:
	v_lshlrev_b32_e32 v13, 4, v196
	v_add_u32_e32 v7, 0x3e0, v13
	v_add_u32_e32 v195, 0, v13
	s_mov_b64 s[10:11], 0
.LBB125_197:                            ; =>This Inner Loop Header: Depth=1
	scratch_load_dwordx4 v[196:199], v195, off
	ds_read_b128 v[200:203], v7
	v_add_u32_e32 v6, -1, v6
	v_cmp_eq_u32_e32 vcc, 0, v6
	v_add_u32_e32 v7, 16, v7
	v_add_u32_e32 v195, 16, v195
	s_or_b64 s[10:11], vcc, s[10:11]
	s_waitcnt vmcnt(0) lgkmcnt(0)
	v_mul_f64 v[26:27], v[202:203], v[198:199]
	v_mul_f64 v[28:29], v[200:201], v[198:199]
	v_fma_f64 v[26:27], v[200:201], v[196:197], -v[26:27]
	v_fmac_f64_e32 v[28:29], v[202:203], v[196:197]
	v_add_f64 v[2:3], v[2:3], v[26:27]
	v_add_f64 v[4:5], v[4:5], v[28:29]
	s_andn2_b64 exec, exec, s[10:11]
	s_cbranch_execnz .LBB125_197
; %bb.198:
	s_or_b64 exec, exec, s[10:11]
.LBB125_199:
	s_or_b64 exec, exec, s[2:3]
.LBB125_200:
	s_or_b64 exec, exec, s[8:9]
	v_mov_b32_e32 v6, 0
	ds_read_b128 v[196:199], v6 offset:736
	s_waitcnt lgkmcnt(0)
	v_mul_f64 v[6:7], v[4:5], v[198:199]
	v_mul_f64 v[200:201], v[2:3], v[198:199]
	v_fma_f64 v[198:199], v[2:3], v[196:197], -v[6:7]
	v_fmac_f64_e32 v[200:201], v[4:5], v[196:197]
	scratch_store_dwordx4 off, v[198:201], off offset:736
.LBB125_201:
	s_or_b64 exec, exec, s[4:5]
	scratch_load_dwordx4 v[2:5], v150, off
	v_cmp_lt_u32_e64 s[2:3], 45, v0
	s_waitcnt vmcnt(0)
	ds_write_b128 v9, v[2:5]
	s_waitcnt lgkmcnt(0)
	; wave barrier
	s_waitcnt lgkmcnt(0)
	s_and_saveexec_b64 s[4:5], s[2:3]
	s_cbranch_execz .LBB125_215
; %bb.202:
	ds_read_b128 v[2:5], v9
	s_andn2_b64 vcc, exec, s[6:7]
	s_cbranch_vccnz .LBB125_204
; %bb.203:
	scratch_load_dwordx4 v[196:199], v8, off
	s_waitcnt vmcnt(0) lgkmcnt(0)
	v_mul_f64 v[26:27], v[2:3], v[198:199]
	v_mul_f64 v[6:7], v[4:5], v[198:199]
	v_fmac_f64_e32 v[26:27], v[4:5], v[196:197]
	v_fma_f64 v[2:3], v[2:3], v[196:197], -v[6:7]
	v_mov_b64_e32 v[4:5], v[26:27]
.LBB125_204:
	s_and_saveexec_b64 s[8:9], s[0:1]
	s_cbranch_execz .LBB125_214
; %bb.205:
	v_subrev_u32_e32 v7, 47, v0
	v_subrev_u32_e32 v6, 46, v0
	v_cmp_lt_u32_e32 vcc, 6, v7
	v_mov_b32_e32 v196, 46
	s_and_saveexec_b64 s[0:1], vcc
	s_cbranch_execz .LBB125_209
; %bb.206:
	v_and_b32_e32 v7, -8, v6
	s_mov_b32 s12, 0
	s_mov_b64 s[10:11], 0
	v_mov_b32_e32 v195, 0
	s_mov_b32 s13, 0
.LBB125_207:                            ; =>This Inner Loop Header: Depth=1
	v_readfirstlane_b32 s14, v195
	s_add_i32 s14, s14, s12
	s_add_i32 s15, s14, 0x2e0
	v_mov_b32_e32 v13, s12
	ds_read_b128 v[196:199], v13 offset:1728
	ds_read_b128 v[200:203], v13 offset:1744
	;; [unrolled: 1-line block ×4, first 2 shown]
	scratch_load_dwordx4 v[212:215], off, s15
	s_add_i32 s15, s14, 0x2f0
	s_addk_i32 s12, 0x80
	s_waitcnt vmcnt(0) lgkmcnt(3)
	v_mul_f64 v[26:27], v[198:199], v[214:215]
	v_mul_f64 v[28:29], v[196:197], v[214:215]
	v_fma_f64 v[26:27], v[196:197], v[212:213], -v[26:27]
	v_fmac_f64_e32 v[28:29], v[198:199], v[212:213]
	v_add_f64 v[26:27], v[2:3], v[26:27]
	v_add_f64 v[28:29], v[4:5], v[28:29]
	scratch_load_dwordx4 v[2:5], off, s15
	s_add_i32 s15, s14, 0x300
	s_waitcnt vmcnt(0) lgkmcnt(2)
	v_mul_f64 v[36:37], v[202:203], v[4:5]
	v_mul_f64 v[4:5], v[200:201], v[4:5]
	v_fmac_f64_e32 v[4:5], v[202:203], v[2:3]
	v_fma_f64 v[36:37], v[200:201], v[2:3], -v[36:37]
	v_add_f64 v[28:29], v[28:29], v[4:5]
	scratch_load_dwordx4 v[2:5], off, s15
	v_add_f64 v[26:27], v[26:27], v[36:37]
	s_add_i32 s15, s14, 0x310
	s_waitcnt vmcnt(0) lgkmcnt(1)
	v_mul_f64 v[36:37], v[206:207], v[4:5]
	v_mul_f64 v[4:5], v[204:205], v[4:5]
	v_fmac_f64_e32 v[4:5], v[206:207], v[2:3]
	v_fma_f64 v[36:37], v[204:205], v[2:3], -v[36:37]
	v_add_f64 v[28:29], v[28:29], v[4:5]
	scratch_load_dwordx4 v[2:5], off, s15
	s_add_i32 s15, s14, 0x320
	scratch_load_dwordx4 v[196:199], off, s15
	v_add_f64 v[26:27], v[26:27], v[36:37]
	s_add_i32 s15, s14, 0x330
	s_waitcnt vmcnt(1) lgkmcnt(0)
	v_mul_f64 v[36:37], v[210:211], v[4:5]
	v_mul_f64 v[4:5], v[208:209], v[4:5]
	v_fmac_f64_e32 v[4:5], v[210:211], v[2:3]
	v_fma_f64 v[36:37], v[208:209], v[2:3], -v[36:37]
	v_add_f64 v[28:29], v[28:29], v[4:5]
	ds_read_b128 v[2:5], v13 offset:1792
	v_add_f64 v[26:27], v[26:27], v[36:37]
	s_waitcnt vmcnt(0) lgkmcnt(0)
	v_mul_f64 v[36:37], v[4:5], v[198:199]
	v_fma_f64 v[36:37], v[2:3], v[196:197], -v[36:37]
	v_mul_f64 v[2:3], v[2:3], v[198:199]
	v_fmac_f64_e32 v[2:3], v[4:5], v[196:197]
	scratch_load_dwordx4 v[196:199], off, s15
	v_add_f64 v[28:29], v[28:29], v[2:3]
	ds_read_b128 v[2:5], v13 offset:1808
	v_add_f64 v[26:27], v[26:27], v[36:37]
	s_add_i32 s15, s14, 0x340
	s_addk_i32 s14, 0x350
	s_waitcnt vmcnt(0) lgkmcnt(0)
	v_mul_f64 v[36:37], v[4:5], v[198:199]
	v_fma_f64 v[36:37], v[2:3], v[196:197], -v[36:37]
	v_mul_f64 v[2:3], v[2:3], v[198:199]
	v_fmac_f64_e32 v[2:3], v[4:5], v[196:197]
	scratch_load_dwordx4 v[196:199], off, s15
	v_add_f64 v[28:29], v[28:29], v[2:3]
	ds_read_b128 v[2:5], v13 offset:1824
	v_add_f64 v[26:27], v[26:27], v[36:37]
	s_waitcnt vmcnt(0) lgkmcnt(0)
	v_mul_f64 v[36:37], v[4:5], v[198:199]
	v_fma_f64 v[36:37], v[2:3], v[196:197], -v[36:37]
	v_mul_f64 v[2:3], v[2:3], v[198:199]
	v_fmac_f64_e32 v[2:3], v[4:5], v[196:197]
	scratch_load_dwordx4 v[196:199], off, s14
	v_add_f64 v[28:29], v[28:29], v[2:3]
	ds_read_b128 v[2:5], v13 offset:1840
	v_add_f64 v[26:27], v[26:27], v[36:37]
	s_add_i32 s14, s13, 8
	v_cmp_eq_u32_e32 vcc, s14, v7
	s_add_i32 s13, s13, 54
	s_or_b64 s[10:11], vcc, s[10:11]
	s_waitcnt vmcnt(0) lgkmcnt(0)
	v_mul_f64 v[36:37], v[4:5], v[198:199]
	v_mul_f64 v[138:139], v[2:3], v[198:199]
	v_fma_f64 v[36:37], v[2:3], v[196:197], -v[36:37]
	v_fmac_f64_e32 v[138:139], v[4:5], v[196:197]
	v_add_f64 v[2:3], v[26:27], v[36:37]
	v_add_f64 v[4:5], v[28:29], v[138:139]
	v_mov_b32_e32 v196, s13
	s_mov_b32 s13, s14
	s_andn2_b64 exec, exec, s[10:11]
	s_cbranch_execnz .LBB125_207
; %bb.208:
	s_or_b64 exec, exec, s[10:11]
.LBB125_209:
	s_or_b64 exec, exec, s[0:1]
	v_and_b32_e32 v6, 7, v6
	v_cmp_ne_u32_e32 vcc, 0, v6
	s_and_saveexec_b64 s[0:1], vcc
	s_cbranch_execz .LBB125_213
; %bb.210:
	v_lshlrev_b32_e32 v13, 4, v196
	v_add_u32_e32 v7, 0x3e0, v13
	v_add_u32_e32 v195, 0, v13
	s_mov_b64 s[10:11], 0
.LBB125_211:                            ; =>This Inner Loop Header: Depth=1
	scratch_load_dwordx4 v[196:199], v195, off
	ds_read_b128 v[200:203], v7
	v_add_u32_e32 v6, -1, v6
	v_cmp_eq_u32_e32 vcc, 0, v6
	v_add_u32_e32 v7, 16, v7
	v_add_u32_e32 v195, 16, v195
	s_or_b64 s[10:11], vcc, s[10:11]
	s_waitcnt vmcnt(0) lgkmcnt(0)
	v_mul_f64 v[26:27], v[202:203], v[198:199]
	v_mul_f64 v[28:29], v[200:201], v[198:199]
	v_fma_f64 v[26:27], v[200:201], v[196:197], -v[26:27]
	v_fmac_f64_e32 v[28:29], v[202:203], v[196:197]
	v_add_f64 v[2:3], v[2:3], v[26:27]
	v_add_f64 v[4:5], v[4:5], v[28:29]
	s_andn2_b64 exec, exec, s[10:11]
	s_cbranch_execnz .LBB125_211
; %bb.212:
	s_or_b64 exec, exec, s[10:11]
.LBB125_213:
	s_or_b64 exec, exec, s[0:1]
.LBB125_214:
	s_or_b64 exec, exec, s[8:9]
	v_mov_b32_e32 v6, 0
	ds_read_b128 v[196:199], v6 offset:720
	s_waitcnt lgkmcnt(0)
	v_mul_f64 v[6:7], v[4:5], v[198:199]
	v_mul_f64 v[200:201], v[2:3], v[198:199]
	v_fma_f64 v[198:199], v[2:3], v[196:197], -v[6:7]
	v_fmac_f64_e32 v[200:201], v[4:5], v[196:197]
	scratch_store_dwordx4 off, v[198:201], off offset:720
.LBB125_215:
	s_or_b64 exec, exec, s[4:5]
	scratch_load_dwordx4 v[2:5], v151, off
	v_cmp_lt_u32_e64 s[0:1], 44, v0
	s_waitcnt vmcnt(0)
	ds_write_b128 v9, v[2:5]
	s_waitcnt lgkmcnt(0)
	; wave barrier
	s_waitcnt lgkmcnt(0)
	s_and_saveexec_b64 s[4:5], s[0:1]
	s_cbranch_execz .LBB125_229
; %bb.216:
	ds_read_b128 v[2:5], v9
	s_andn2_b64 vcc, exec, s[6:7]
	s_cbranch_vccnz .LBB125_218
; %bb.217:
	scratch_load_dwordx4 v[196:199], v8, off
	s_waitcnt vmcnt(0) lgkmcnt(0)
	v_mul_f64 v[26:27], v[2:3], v[198:199]
	v_mul_f64 v[6:7], v[4:5], v[198:199]
	v_fmac_f64_e32 v[26:27], v[4:5], v[196:197]
	v_fma_f64 v[2:3], v[2:3], v[196:197], -v[6:7]
	v_mov_b64_e32 v[4:5], v[26:27]
.LBB125_218:
	s_and_saveexec_b64 s[8:9], s[2:3]
	s_cbranch_execz .LBB125_228
; %bb.219:
	v_subrev_u32_e32 v7, 46, v0
	v_subrev_u32_e32 v6, 45, v0
	v_cmp_lt_u32_e32 vcc, 6, v7
	v_mov_b32_e32 v196, 45
	s_and_saveexec_b64 s[2:3], vcc
	s_cbranch_execz .LBB125_223
; %bb.220:
	v_and_b32_e32 v7, -8, v6
	s_mov_b32 s12, 0
	s_mov_b64 s[10:11], 0
	v_mov_b32_e32 v195, 0
	s_mov_b32 s13, 0
.LBB125_221:                            ; =>This Inner Loop Header: Depth=1
	v_readfirstlane_b32 s14, v195
	s_add_i32 s14, s14, s12
	s_add_i32 s15, s14, 0x2d0
	v_mov_b32_e32 v13, s12
	ds_read_b128 v[196:199], v13 offset:1712
	ds_read_b128 v[200:203], v13 offset:1728
	;; [unrolled: 1-line block ×4, first 2 shown]
	scratch_load_dwordx4 v[212:215], off, s15
	s_add_i32 s15, s14, 0x2e0
	s_addk_i32 s12, 0x80
	s_waitcnt vmcnt(0) lgkmcnt(3)
	v_mul_f64 v[26:27], v[198:199], v[214:215]
	v_mul_f64 v[28:29], v[196:197], v[214:215]
	v_fma_f64 v[26:27], v[196:197], v[212:213], -v[26:27]
	v_fmac_f64_e32 v[28:29], v[198:199], v[212:213]
	v_add_f64 v[26:27], v[2:3], v[26:27]
	v_add_f64 v[28:29], v[4:5], v[28:29]
	scratch_load_dwordx4 v[2:5], off, s15
	s_add_i32 s15, s14, 0x2f0
	s_waitcnt vmcnt(0) lgkmcnt(2)
	v_mul_f64 v[36:37], v[202:203], v[4:5]
	v_mul_f64 v[4:5], v[200:201], v[4:5]
	v_fmac_f64_e32 v[4:5], v[202:203], v[2:3]
	v_fma_f64 v[36:37], v[200:201], v[2:3], -v[36:37]
	v_add_f64 v[28:29], v[28:29], v[4:5]
	scratch_load_dwordx4 v[2:5], off, s15
	v_add_f64 v[26:27], v[26:27], v[36:37]
	s_add_i32 s15, s14, 0x300
	s_waitcnt vmcnt(0) lgkmcnt(1)
	v_mul_f64 v[36:37], v[206:207], v[4:5]
	v_mul_f64 v[4:5], v[204:205], v[4:5]
	v_fmac_f64_e32 v[4:5], v[206:207], v[2:3]
	v_fma_f64 v[36:37], v[204:205], v[2:3], -v[36:37]
	v_add_f64 v[28:29], v[28:29], v[4:5]
	scratch_load_dwordx4 v[2:5], off, s15
	s_add_i32 s15, s14, 0x310
	scratch_load_dwordx4 v[196:199], off, s15
	v_add_f64 v[26:27], v[26:27], v[36:37]
	s_add_i32 s15, s14, 0x320
	s_waitcnt vmcnt(1) lgkmcnt(0)
	v_mul_f64 v[36:37], v[210:211], v[4:5]
	v_mul_f64 v[4:5], v[208:209], v[4:5]
	v_fmac_f64_e32 v[4:5], v[210:211], v[2:3]
	v_fma_f64 v[36:37], v[208:209], v[2:3], -v[36:37]
	v_add_f64 v[28:29], v[28:29], v[4:5]
	ds_read_b128 v[2:5], v13 offset:1776
	v_add_f64 v[26:27], v[26:27], v[36:37]
	s_waitcnt vmcnt(0) lgkmcnt(0)
	v_mul_f64 v[36:37], v[4:5], v[198:199]
	v_fma_f64 v[36:37], v[2:3], v[196:197], -v[36:37]
	v_mul_f64 v[2:3], v[2:3], v[198:199]
	v_fmac_f64_e32 v[2:3], v[4:5], v[196:197]
	scratch_load_dwordx4 v[196:199], off, s15
	v_add_f64 v[28:29], v[28:29], v[2:3]
	ds_read_b128 v[2:5], v13 offset:1792
	v_add_f64 v[26:27], v[26:27], v[36:37]
	s_add_i32 s15, s14, 0x330
	s_addk_i32 s14, 0x340
	s_waitcnt vmcnt(0) lgkmcnt(0)
	v_mul_f64 v[36:37], v[4:5], v[198:199]
	v_fma_f64 v[36:37], v[2:3], v[196:197], -v[36:37]
	v_mul_f64 v[2:3], v[2:3], v[198:199]
	v_fmac_f64_e32 v[2:3], v[4:5], v[196:197]
	scratch_load_dwordx4 v[196:199], off, s15
	v_add_f64 v[28:29], v[28:29], v[2:3]
	ds_read_b128 v[2:5], v13 offset:1808
	v_add_f64 v[26:27], v[26:27], v[36:37]
	s_waitcnt vmcnt(0) lgkmcnt(0)
	v_mul_f64 v[36:37], v[4:5], v[198:199]
	v_fma_f64 v[36:37], v[2:3], v[196:197], -v[36:37]
	v_mul_f64 v[2:3], v[2:3], v[198:199]
	v_fmac_f64_e32 v[2:3], v[4:5], v[196:197]
	scratch_load_dwordx4 v[196:199], off, s14
	v_add_f64 v[28:29], v[28:29], v[2:3]
	ds_read_b128 v[2:5], v13 offset:1824
	v_add_f64 v[26:27], v[26:27], v[36:37]
	s_add_i32 s14, s13, 8
	v_cmp_eq_u32_e32 vcc, s14, v7
	s_add_i32 s13, s13, 53
	s_or_b64 s[10:11], vcc, s[10:11]
	s_waitcnt vmcnt(0) lgkmcnt(0)
	v_mul_f64 v[36:37], v[4:5], v[198:199]
	v_mul_f64 v[138:139], v[2:3], v[198:199]
	v_fma_f64 v[36:37], v[2:3], v[196:197], -v[36:37]
	v_fmac_f64_e32 v[138:139], v[4:5], v[196:197]
	v_add_f64 v[2:3], v[26:27], v[36:37]
	v_add_f64 v[4:5], v[28:29], v[138:139]
	v_mov_b32_e32 v196, s13
	s_mov_b32 s13, s14
	s_andn2_b64 exec, exec, s[10:11]
	s_cbranch_execnz .LBB125_221
; %bb.222:
	s_or_b64 exec, exec, s[10:11]
.LBB125_223:
	s_or_b64 exec, exec, s[2:3]
	v_and_b32_e32 v6, 7, v6
	v_cmp_ne_u32_e32 vcc, 0, v6
	s_and_saveexec_b64 s[2:3], vcc
	s_cbranch_execz .LBB125_227
; %bb.224:
	v_lshlrev_b32_e32 v13, 4, v196
	v_add_u32_e32 v7, 0x3e0, v13
	v_add_u32_e32 v195, 0, v13
	s_mov_b64 s[10:11], 0
.LBB125_225:                            ; =>This Inner Loop Header: Depth=1
	scratch_load_dwordx4 v[196:199], v195, off
	ds_read_b128 v[200:203], v7
	v_add_u32_e32 v6, -1, v6
	v_cmp_eq_u32_e32 vcc, 0, v6
	v_add_u32_e32 v7, 16, v7
	v_add_u32_e32 v195, 16, v195
	s_or_b64 s[10:11], vcc, s[10:11]
	s_waitcnt vmcnt(0) lgkmcnt(0)
	v_mul_f64 v[26:27], v[202:203], v[198:199]
	v_mul_f64 v[28:29], v[200:201], v[198:199]
	v_fma_f64 v[26:27], v[200:201], v[196:197], -v[26:27]
	v_fmac_f64_e32 v[28:29], v[202:203], v[196:197]
	v_add_f64 v[2:3], v[2:3], v[26:27]
	v_add_f64 v[4:5], v[4:5], v[28:29]
	s_andn2_b64 exec, exec, s[10:11]
	s_cbranch_execnz .LBB125_225
; %bb.226:
	s_or_b64 exec, exec, s[10:11]
.LBB125_227:
	s_or_b64 exec, exec, s[2:3]
.LBB125_228:
	s_or_b64 exec, exec, s[8:9]
	v_mov_b32_e32 v6, 0
	ds_read_b128 v[196:199], v6 offset:704
	s_waitcnt lgkmcnt(0)
	v_mul_f64 v[6:7], v[4:5], v[198:199]
	v_mul_f64 v[200:201], v[2:3], v[198:199]
	v_fma_f64 v[198:199], v[2:3], v[196:197], -v[6:7]
	v_fmac_f64_e32 v[200:201], v[4:5], v[196:197]
	scratch_store_dwordx4 off, v[198:201], off offset:704
.LBB125_229:
	s_or_b64 exec, exec, s[4:5]
	scratch_load_dwordx4 v[2:5], v152, off
	v_cmp_lt_u32_e64 s[2:3], 43, v0
	s_waitcnt vmcnt(0)
	ds_write_b128 v9, v[2:5]
	s_waitcnt lgkmcnt(0)
	; wave barrier
	s_waitcnt lgkmcnt(0)
	s_and_saveexec_b64 s[4:5], s[2:3]
	s_cbranch_execz .LBB125_243
; %bb.230:
	ds_read_b128 v[2:5], v9
	s_andn2_b64 vcc, exec, s[6:7]
	s_cbranch_vccnz .LBB125_232
; %bb.231:
	scratch_load_dwordx4 v[196:199], v8, off
	s_waitcnt vmcnt(0) lgkmcnt(0)
	v_mul_f64 v[26:27], v[2:3], v[198:199]
	v_mul_f64 v[6:7], v[4:5], v[198:199]
	v_fmac_f64_e32 v[26:27], v[4:5], v[196:197]
	v_fma_f64 v[2:3], v[2:3], v[196:197], -v[6:7]
	v_mov_b64_e32 v[4:5], v[26:27]
.LBB125_232:
	s_and_saveexec_b64 s[8:9], s[0:1]
	s_cbranch_execz .LBB125_242
; %bb.233:
	v_subrev_u32_e32 v7, 45, v0
	v_subrev_u32_e32 v6, 44, v0
	v_cmp_lt_u32_e32 vcc, 6, v7
	v_mov_b32_e32 v196, 44
	s_and_saveexec_b64 s[0:1], vcc
	s_cbranch_execz .LBB125_237
; %bb.234:
	v_and_b32_e32 v7, -8, v6
	s_mov_b32 s12, 0
	s_mov_b64 s[10:11], 0
	v_mov_b32_e32 v195, 0
	s_mov_b32 s13, 0
.LBB125_235:                            ; =>This Inner Loop Header: Depth=1
	v_readfirstlane_b32 s14, v195
	s_add_i32 s14, s14, s12
	s_add_i32 s15, s14, 0x2c0
	v_mov_b32_e32 v13, s12
	ds_read_b128 v[196:199], v13 offset:1696
	ds_read_b128 v[200:203], v13 offset:1712
	;; [unrolled: 1-line block ×4, first 2 shown]
	scratch_load_dwordx4 v[212:215], off, s15
	s_add_i32 s15, s14, 0x2d0
	s_addk_i32 s12, 0x80
	s_waitcnt vmcnt(0) lgkmcnt(3)
	v_mul_f64 v[26:27], v[198:199], v[214:215]
	v_mul_f64 v[28:29], v[196:197], v[214:215]
	v_fma_f64 v[26:27], v[196:197], v[212:213], -v[26:27]
	v_fmac_f64_e32 v[28:29], v[198:199], v[212:213]
	v_add_f64 v[26:27], v[2:3], v[26:27]
	v_add_f64 v[28:29], v[4:5], v[28:29]
	scratch_load_dwordx4 v[2:5], off, s15
	s_add_i32 s15, s14, 0x2e0
	s_waitcnt vmcnt(0) lgkmcnt(2)
	v_mul_f64 v[36:37], v[202:203], v[4:5]
	v_mul_f64 v[4:5], v[200:201], v[4:5]
	v_fmac_f64_e32 v[4:5], v[202:203], v[2:3]
	v_fma_f64 v[36:37], v[200:201], v[2:3], -v[36:37]
	v_add_f64 v[28:29], v[28:29], v[4:5]
	scratch_load_dwordx4 v[2:5], off, s15
	v_add_f64 v[26:27], v[26:27], v[36:37]
	s_add_i32 s15, s14, 0x2f0
	s_waitcnt vmcnt(0) lgkmcnt(1)
	v_mul_f64 v[36:37], v[206:207], v[4:5]
	v_mul_f64 v[4:5], v[204:205], v[4:5]
	v_fmac_f64_e32 v[4:5], v[206:207], v[2:3]
	v_fma_f64 v[36:37], v[204:205], v[2:3], -v[36:37]
	v_add_f64 v[28:29], v[28:29], v[4:5]
	scratch_load_dwordx4 v[2:5], off, s15
	s_add_i32 s15, s14, 0x300
	scratch_load_dwordx4 v[196:199], off, s15
	v_add_f64 v[26:27], v[26:27], v[36:37]
	s_add_i32 s15, s14, 0x310
	s_waitcnt vmcnt(1) lgkmcnt(0)
	v_mul_f64 v[36:37], v[210:211], v[4:5]
	v_mul_f64 v[4:5], v[208:209], v[4:5]
	v_fmac_f64_e32 v[4:5], v[210:211], v[2:3]
	v_fma_f64 v[36:37], v[208:209], v[2:3], -v[36:37]
	v_add_f64 v[28:29], v[28:29], v[4:5]
	ds_read_b128 v[2:5], v13 offset:1760
	v_add_f64 v[26:27], v[26:27], v[36:37]
	s_waitcnt vmcnt(0) lgkmcnt(0)
	v_mul_f64 v[36:37], v[4:5], v[198:199]
	v_fma_f64 v[36:37], v[2:3], v[196:197], -v[36:37]
	v_mul_f64 v[2:3], v[2:3], v[198:199]
	v_fmac_f64_e32 v[2:3], v[4:5], v[196:197]
	scratch_load_dwordx4 v[196:199], off, s15
	v_add_f64 v[28:29], v[28:29], v[2:3]
	ds_read_b128 v[2:5], v13 offset:1776
	v_add_f64 v[26:27], v[26:27], v[36:37]
	s_add_i32 s15, s14, 0x320
	s_addk_i32 s14, 0x330
	s_waitcnt vmcnt(0) lgkmcnt(0)
	v_mul_f64 v[36:37], v[4:5], v[198:199]
	v_fma_f64 v[36:37], v[2:3], v[196:197], -v[36:37]
	v_mul_f64 v[2:3], v[2:3], v[198:199]
	v_fmac_f64_e32 v[2:3], v[4:5], v[196:197]
	scratch_load_dwordx4 v[196:199], off, s15
	v_add_f64 v[28:29], v[28:29], v[2:3]
	ds_read_b128 v[2:5], v13 offset:1792
	v_add_f64 v[26:27], v[26:27], v[36:37]
	s_waitcnt vmcnt(0) lgkmcnt(0)
	v_mul_f64 v[36:37], v[4:5], v[198:199]
	v_fma_f64 v[36:37], v[2:3], v[196:197], -v[36:37]
	v_mul_f64 v[2:3], v[2:3], v[198:199]
	v_fmac_f64_e32 v[2:3], v[4:5], v[196:197]
	scratch_load_dwordx4 v[196:199], off, s14
	v_add_f64 v[28:29], v[28:29], v[2:3]
	ds_read_b128 v[2:5], v13 offset:1808
	v_add_f64 v[26:27], v[26:27], v[36:37]
	s_add_i32 s14, s13, 8
	v_cmp_eq_u32_e32 vcc, s14, v7
	s_add_i32 s13, s13, 52
	s_or_b64 s[10:11], vcc, s[10:11]
	s_waitcnt vmcnt(0) lgkmcnt(0)
	v_mul_f64 v[36:37], v[4:5], v[198:199]
	v_mul_f64 v[138:139], v[2:3], v[198:199]
	v_fma_f64 v[36:37], v[2:3], v[196:197], -v[36:37]
	v_fmac_f64_e32 v[138:139], v[4:5], v[196:197]
	v_add_f64 v[2:3], v[26:27], v[36:37]
	v_add_f64 v[4:5], v[28:29], v[138:139]
	v_mov_b32_e32 v196, s13
	s_mov_b32 s13, s14
	s_andn2_b64 exec, exec, s[10:11]
	s_cbranch_execnz .LBB125_235
; %bb.236:
	s_or_b64 exec, exec, s[10:11]
.LBB125_237:
	s_or_b64 exec, exec, s[0:1]
	v_and_b32_e32 v6, 7, v6
	v_cmp_ne_u32_e32 vcc, 0, v6
	s_and_saveexec_b64 s[0:1], vcc
	s_cbranch_execz .LBB125_241
; %bb.238:
	v_lshlrev_b32_e32 v13, 4, v196
	v_add_u32_e32 v7, 0x3e0, v13
	v_add_u32_e32 v195, 0, v13
	s_mov_b64 s[10:11], 0
.LBB125_239:                            ; =>This Inner Loop Header: Depth=1
	scratch_load_dwordx4 v[196:199], v195, off
	ds_read_b128 v[200:203], v7
	v_add_u32_e32 v6, -1, v6
	v_cmp_eq_u32_e32 vcc, 0, v6
	v_add_u32_e32 v7, 16, v7
	v_add_u32_e32 v195, 16, v195
	s_or_b64 s[10:11], vcc, s[10:11]
	s_waitcnt vmcnt(0) lgkmcnt(0)
	v_mul_f64 v[26:27], v[202:203], v[198:199]
	v_mul_f64 v[28:29], v[200:201], v[198:199]
	v_fma_f64 v[26:27], v[200:201], v[196:197], -v[26:27]
	v_fmac_f64_e32 v[28:29], v[202:203], v[196:197]
	v_add_f64 v[2:3], v[2:3], v[26:27]
	v_add_f64 v[4:5], v[4:5], v[28:29]
	s_andn2_b64 exec, exec, s[10:11]
	s_cbranch_execnz .LBB125_239
; %bb.240:
	s_or_b64 exec, exec, s[10:11]
.LBB125_241:
	s_or_b64 exec, exec, s[0:1]
.LBB125_242:
	s_or_b64 exec, exec, s[8:9]
	v_mov_b32_e32 v6, 0
	ds_read_b128 v[196:199], v6 offset:688
	s_waitcnt lgkmcnt(0)
	v_mul_f64 v[6:7], v[4:5], v[198:199]
	v_mul_f64 v[200:201], v[2:3], v[198:199]
	v_fma_f64 v[198:199], v[2:3], v[196:197], -v[6:7]
	v_fmac_f64_e32 v[200:201], v[4:5], v[196:197]
	scratch_store_dwordx4 off, v[198:201], off offset:688
.LBB125_243:
	s_or_b64 exec, exec, s[4:5]
	scratch_load_dwordx4 v[2:5], v153, off
	v_cmp_lt_u32_e64 s[0:1], 42, v0
	s_waitcnt vmcnt(0)
	ds_write_b128 v9, v[2:5]
	s_waitcnt lgkmcnt(0)
	; wave barrier
	s_waitcnt lgkmcnt(0)
	s_and_saveexec_b64 s[4:5], s[0:1]
	s_cbranch_execz .LBB125_257
; %bb.244:
	ds_read_b128 v[2:5], v9
	s_andn2_b64 vcc, exec, s[6:7]
	s_cbranch_vccnz .LBB125_246
; %bb.245:
	scratch_load_dwordx4 v[196:199], v8, off
	s_waitcnt vmcnt(0) lgkmcnt(0)
	v_mul_f64 v[26:27], v[2:3], v[198:199]
	v_mul_f64 v[6:7], v[4:5], v[198:199]
	v_fmac_f64_e32 v[26:27], v[4:5], v[196:197]
	v_fma_f64 v[2:3], v[2:3], v[196:197], -v[6:7]
	v_mov_b64_e32 v[4:5], v[26:27]
.LBB125_246:
	s_and_saveexec_b64 s[8:9], s[2:3]
	s_cbranch_execz .LBB125_256
; %bb.247:
	v_subrev_u32_e32 v7, 44, v0
	v_subrev_u32_e32 v6, 43, v0
	v_cmp_lt_u32_e32 vcc, 6, v7
	v_mov_b32_e32 v196, 43
	s_and_saveexec_b64 s[2:3], vcc
	s_cbranch_execz .LBB125_251
; %bb.248:
	v_and_b32_e32 v7, -8, v6
	s_mov_b32 s12, 0
	s_mov_b64 s[10:11], 0
	v_mov_b32_e32 v195, 0
	s_mov_b32 s13, 0
.LBB125_249:                            ; =>This Inner Loop Header: Depth=1
	v_readfirstlane_b32 s14, v195
	s_add_i32 s14, s14, s12
	s_add_i32 s15, s14, 0x2b0
	v_mov_b32_e32 v13, s12
	ds_read_b128 v[196:199], v13 offset:1680
	ds_read_b128 v[200:203], v13 offset:1696
	;; [unrolled: 1-line block ×4, first 2 shown]
	scratch_load_dwordx4 v[212:215], off, s15
	s_add_i32 s15, s14, 0x2c0
	s_addk_i32 s12, 0x80
	s_waitcnt vmcnt(0) lgkmcnt(3)
	v_mul_f64 v[26:27], v[198:199], v[214:215]
	v_mul_f64 v[28:29], v[196:197], v[214:215]
	v_fma_f64 v[26:27], v[196:197], v[212:213], -v[26:27]
	v_fmac_f64_e32 v[28:29], v[198:199], v[212:213]
	v_add_f64 v[26:27], v[2:3], v[26:27]
	v_add_f64 v[28:29], v[4:5], v[28:29]
	scratch_load_dwordx4 v[2:5], off, s15
	s_add_i32 s15, s14, 0x2d0
	s_waitcnt vmcnt(0) lgkmcnt(2)
	v_mul_f64 v[36:37], v[202:203], v[4:5]
	v_mul_f64 v[4:5], v[200:201], v[4:5]
	v_fmac_f64_e32 v[4:5], v[202:203], v[2:3]
	v_fma_f64 v[36:37], v[200:201], v[2:3], -v[36:37]
	v_add_f64 v[28:29], v[28:29], v[4:5]
	scratch_load_dwordx4 v[2:5], off, s15
	v_add_f64 v[26:27], v[26:27], v[36:37]
	s_add_i32 s15, s14, 0x2e0
	s_waitcnt vmcnt(0) lgkmcnt(1)
	v_mul_f64 v[36:37], v[206:207], v[4:5]
	v_mul_f64 v[4:5], v[204:205], v[4:5]
	v_fmac_f64_e32 v[4:5], v[206:207], v[2:3]
	v_fma_f64 v[36:37], v[204:205], v[2:3], -v[36:37]
	v_add_f64 v[28:29], v[28:29], v[4:5]
	scratch_load_dwordx4 v[2:5], off, s15
	s_add_i32 s15, s14, 0x2f0
	scratch_load_dwordx4 v[196:199], off, s15
	v_add_f64 v[26:27], v[26:27], v[36:37]
	s_add_i32 s15, s14, 0x300
	s_waitcnt vmcnt(1) lgkmcnt(0)
	v_mul_f64 v[36:37], v[210:211], v[4:5]
	v_mul_f64 v[4:5], v[208:209], v[4:5]
	v_fmac_f64_e32 v[4:5], v[210:211], v[2:3]
	v_fma_f64 v[36:37], v[208:209], v[2:3], -v[36:37]
	v_add_f64 v[28:29], v[28:29], v[4:5]
	ds_read_b128 v[2:5], v13 offset:1744
	v_add_f64 v[26:27], v[26:27], v[36:37]
	s_waitcnt vmcnt(0) lgkmcnt(0)
	v_mul_f64 v[36:37], v[4:5], v[198:199]
	v_fma_f64 v[36:37], v[2:3], v[196:197], -v[36:37]
	v_mul_f64 v[2:3], v[2:3], v[198:199]
	v_fmac_f64_e32 v[2:3], v[4:5], v[196:197]
	scratch_load_dwordx4 v[196:199], off, s15
	v_add_f64 v[28:29], v[28:29], v[2:3]
	ds_read_b128 v[2:5], v13 offset:1760
	v_add_f64 v[26:27], v[26:27], v[36:37]
	s_add_i32 s15, s14, 0x310
	s_addk_i32 s14, 0x320
	s_waitcnt vmcnt(0) lgkmcnt(0)
	v_mul_f64 v[36:37], v[4:5], v[198:199]
	v_fma_f64 v[36:37], v[2:3], v[196:197], -v[36:37]
	v_mul_f64 v[2:3], v[2:3], v[198:199]
	v_fmac_f64_e32 v[2:3], v[4:5], v[196:197]
	scratch_load_dwordx4 v[196:199], off, s15
	v_add_f64 v[28:29], v[28:29], v[2:3]
	ds_read_b128 v[2:5], v13 offset:1776
	v_add_f64 v[26:27], v[26:27], v[36:37]
	s_waitcnt vmcnt(0) lgkmcnt(0)
	v_mul_f64 v[36:37], v[4:5], v[198:199]
	v_fma_f64 v[36:37], v[2:3], v[196:197], -v[36:37]
	v_mul_f64 v[2:3], v[2:3], v[198:199]
	v_fmac_f64_e32 v[2:3], v[4:5], v[196:197]
	scratch_load_dwordx4 v[196:199], off, s14
	v_add_f64 v[28:29], v[28:29], v[2:3]
	ds_read_b128 v[2:5], v13 offset:1792
	v_add_f64 v[26:27], v[26:27], v[36:37]
	s_add_i32 s14, s13, 8
	v_cmp_eq_u32_e32 vcc, s14, v7
	s_add_i32 s13, s13, 51
	s_or_b64 s[10:11], vcc, s[10:11]
	s_waitcnt vmcnt(0) lgkmcnt(0)
	v_mul_f64 v[36:37], v[4:5], v[198:199]
	v_mul_f64 v[138:139], v[2:3], v[198:199]
	v_fma_f64 v[36:37], v[2:3], v[196:197], -v[36:37]
	v_fmac_f64_e32 v[138:139], v[4:5], v[196:197]
	v_add_f64 v[2:3], v[26:27], v[36:37]
	v_add_f64 v[4:5], v[28:29], v[138:139]
	v_mov_b32_e32 v196, s13
	s_mov_b32 s13, s14
	s_andn2_b64 exec, exec, s[10:11]
	s_cbranch_execnz .LBB125_249
; %bb.250:
	s_or_b64 exec, exec, s[10:11]
.LBB125_251:
	s_or_b64 exec, exec, s[2:3]
	v_and_b32_e32 v6, 7, v6
	v_cmp_ne_u32_e32 vcc, 0, v6
	s_and_saveexec_b64 s[2:3], vcc
	s_cbranch_execz .LBB125_255
; %bb.252:
	v_lshlrev_b32_e32 v13, 4, v196
	v_add_u32_e32 v7, 0x3e0, v13
	v_add_u32_e32 v195, 0, v13
	s_mov_b64 s[10:11], 0
.LBB125_253:                            ; =>This Inner Loop Header: Depth=1
	scratch_load_dwordx4 v[196:199], v195, off
	ds_read_b128 v[200:203], v7
	v_add_u32_e32 v6, -1, v6
	v_cmp_eq_u32_e32 vcc, 0, v6
	v_add_u32_e32 v7, 16, v7
	v_add_u32_e32 v195, 16, v195
	s_or_b64 s[10:11], vcc, s[10:11]
	s_waitcnt vmcnt(0) lgkmcnt(0)
	v_mul_f64 v[26:27], v[202:203], v[198:199]
	v_mul_f64 v[28:29], v[200:201], v[198:199]
	v_fma_f64 v[26:27], v[200:201], v[196:197], -v[26:27]
	v_fmac_f64_e32 v[28:29], v[202:203], v[196:197]
	v_add_f64 v[2:3], v[2:3], v[26:27]
	v_add_f64 v[4:5], v[4:5], v[28:29]
	s_andn2_b64 exec, exec, s[10:11]
	s_cbranch_execnz .LBB125_253
; %bb.254:
	s_or_b64 exec, exec, s[10:11]
.LBB125_255:
	s_or_b64 exec, exec, s[2:3]
.LBB125_256:
	s_or_b64 exec, exec, s[8:9]
	v_mov_b32_e32 v6, 0
	ds_read_b128 v[196:199], v6 offset:672
	s_waitcnt lgkmcnt(0)
	v_mul_f64 v[6:7], v[4:5], v[198:199]
	v_mul_f64 v[200:201], v[2:3], v[198:199]
	v_fma_f64 v[198:199], v[2:3], v[196:197], -v[6:7]
	v_fmac_f64_e32 v[200:201], v[4:5], v[196:197]
	scratch_store_dwordx4 off, v[198:201], off offset:672
.LBB125_257:
	s_or_b64 exec, exec, s[4:5]
	scratch_load_dwordx4 v[2:5], v154, off
	v_cmp_lt_u32_e64 s[2:3], 41, v0
	s_waitcnt vmcnt(0)
	ds_write_b128 v9, v[2:5]
	s_waitcnt lgkmcnt(0)
	; wave barrier
	s_waitcnt lgkmcnt(0)
	s_and_saveexec_b64 s[4:5], s[2:3]
	s_cbranch_execz .LBB125_271
; %bb.258:
	ds_read_b128 v[2:5], v9
	s_andn2_b64 vcc, exec, s[6:7]
	s_cbranch_vccnz .LBB125_260
; %bb.259:
	scratch_load_dwordx4 v[196:199], v8, off
	s_waitcnt vmcnt(0) lgkmcnt(0)
	v_mul_f64 v[26:27], v[2:3], v[198:199]
	v_mul_f64 v[6:7], v[4:5], v[198:199]
	v_fmac_f64_e32 v[26:27], v[4:5], v[196:197]
	v_fma_f64 v[2:3], v[2:3], v[196:197], -v[6:7]
	v_mov_b64_e32 v[4:5], v[26:27]
.LBB125_260:
	s_and_saveexec_b64 s[8:9], s[0:1]
	s_cbranch_execz .LBB125_270
; %bb.261:
	v_subrev_u32_e32 v7, 43, v0
	v_subrev_u32_e32 v6, 42, v0
	v_cmp_lt_u32_e32 vcc, 6, v7
	v_mov_b32_e32 v196, 42
	s_and_saveexec_b64 s[0:1], vcc
	s_cbranch_execz .LBB125_265
; %bb.262:
	v_and_b32_e32 v7, -8, v6
	s_mov_b32 s12, 0
	s_mov_b64 s[10:11], 0
	v_mov_b32_e32 v195, 0
	s_mov_b32 s13, 0
.LBB125_263:                            ; =>This Inner Loop Header: Depth=1
	v_readfirstlane_b32 s14, v195
	s_add_i32 s14, s14, s12
	s_add_i32 s15, s14, 0x2a0
	v_mov_b32_e32 v13, s12
	ds_read_b128 v[196:199], v13 offset:1664
	ds_read_b128 v[200:203], v13 offset:1680
	;; [unrolled: 1-line block ×4, first 2 shown]
	scratch_load_dwordx4 v[212:215], off, s15
	s_add_i32 s15, s14, 0x2b0
	s_addk_i32 s12, 0x80
	s_waitcnt vmcnt(0) lgkmcnt(3)
	v_mul_f64 v[26:27], v[198:199], v[214:215]
	v_mul_f64 v[28:29], v[196:197], v[214:215]
	v_fma_f64 v[26:27], v[196:197], v[212:213], -v[26:27]
	v_fmac_f64_e32 v[28:29], v[198:199], v[212:213]
	v_add_f64 v[26:27], v[2:3], v[26:27]
	v_add_f64 v[28:29], v[4:5], v[28:29]
	scratch_load_dwordx4 v[2:5], off, s15
	s_add_i32 s15, s14, 0x2c0
	s_waitcnt vmcnt(0) lgkmcnt(2)
	v_mul_f64 v[36:37], v[202:203], v[4:5]
	v_mul_f64 v[4:5], v[200:201], v[4:5]
	v_fmac_f64_e32 v[4:5], v[202:203], v[2:3]
	v_fma_f64 v[36:37], v[200:201], v[2:3], -v[36:37]
	v_add_f64 v[28:29], v[28:29], v[4:5]
	scratch_load_dwordx4 v[2:5], off, s15
	v_add_f64 v[26:27], v[26:27], v[36:37]
	s_add_i32 s15, s14, 0x2d0
	s_waitcnt vmcnt(0) lgkmcnt(1)
	v_mul_f64 v[36:37], v[206:207], v[4:5]
	v_mul_f64 v[4:5], v[204:205], v[4:5]
	v_fmac_f64_e32 v[4:5], v[206:207], v[2:3]
	v_fma_f64 v[36:37], v[204:205], v[2:3], -v[36:37]
	v_add_f64 v[28:29], v[28:29], v[4:5]
	scratch_load_dwordx4 v[2:5], off, s15
	s_add_i32 s15, s14, 0x2e0
	scratch_load_dwordx4 v[196:199], off, s15
	v_add_f64 v[26:27], v[26:27], v[36:37]
	s_add_i32 s15, s14, 0x2f0
	s_waitcnt vmcnt(1) lgkmcnt(0)
	v_mul_f64 v[36:37], v[210:211], v[4:5]
	v_mul_f64 v[4:5], v[208:209], v[4:5]
	v_fmac_f64_e32 v[4:5], v[210:211], v[2:3]
	v_fma_f64 v[36:37], v[208:209], v[2:3], -v[36:37]
	v_add_f64 v[28:29], v[28:29], v[4:5]
	ds_read_b128 v[2:5], v13 offset:1728
	v_add_f64 v[26:27], v[26:27], v[36:37]
	s_waitcnt vmcnt(0) lgkmcnt(0)
	v_mul_f64 v[36:37], v[4:5], v[198:199]
	v_fma_f64 v[36:37], v[2:3], v[196:197], -v[36:37]
	v_mul_f64 v[2:3], v[2:3], v[198:199]
	v_fmac_f64_e32 v[2:3], v[4:5], v[196:197]
	scratch_load_dwordx4 v[196:199], off, s15
	v_add_f64 v[28:29], v[28:29], v[2:3]
	ds_read_b128 v[2:5], v13 offset:1744
	v_add_f64 v[26:27], v[26:27], v[36:37]
	s_add_i32 s15, s14, 0x300
	s_addk_i32 s14, 0x310
	s_waitcnt vmcnt(0) lgkmcnt(0)
	v_mul_f64 v[36:37], v[4:5], v[198:199]
	v_fma_f64 v[36:37], v[2:3], v[196:197], -v[36:37]
	v_mul_f64 v[2:3], v[2:3], v[198:199]
	v_fmac_f64_e32 v[2:3], v[4:5], v[196:197]
	scratch_load_dwordx4 v[196:199], off, s15
	v_add_f64 v[28:29], v[28:29], v[2:3]
	ds_read_b128 v[2:5], v13 offset:1760
	v_add_f64 v[26:27], v[26:27], v[36:37]
	s_waitcnt vmcnt(0) lgkmcnt(0)
	v_mul_f64 v[36:37], v[4:5], v[198:199]
	v_fma_f64 v[36:37], v[2:3], v[196:197], -v[36:37]
	v_mul_f64 v[2:3], v[2:3], v[198:199]
	v_fmac_f64_e32 v[2:3], v[4:5], v[196:197]
	scratch_load_dwordx4 v[196:199], off, s14
	v_add_f64 v[28:29], v[28:29], v[2:3]
	ds_read_b128 v[2:5], v13 offset:1776
	v_add_f64 v[26:27], v[26:27], v[36:37]
	s_add_i32 s14, s13, 8
	v_cmp_eq_u32_e32 vcc, s14, v7
	s_add_i32 s13, s13, 50
	s_or_b64 s[10:11], vcc, s[10:11]
	s_waitcnt vmcnt(0) lgkmcnt(0)
	v_mul_f64 v[36:37], v[4:5], v[198:199]
	v_mul_f64 v[138:139], v[2:3], v[198:199]
	v_fma_f64 v[36:37], v[2:3], v[196:197], -v[36:37]
	v_fmac_f64_e32 v[138:139], v[4:5], v[196:197]
	v_add_f64 v[2:3], v[26:27], v[36:37]
	v_add_f64 v[4:5], v[28:29], v[138:139]
	v_mov_b32_e32 v196, s13
	s_mov_b32 s13, s14
	s_andn2_b64 exec, exec, s[10:11]
	s_cbranch_execnz .LBB125_263
; %bb.264:
	s_or_b64 exec, exec, s[10:11]
.LBB125_265:
	s_or_b64 exec, exec, s[0:1]
	v_and_b32_e32 v6, 7, v6
	v_cmp_ne_u32_e32 vcc, 0, v6
	s_and_saveexec_b64 s[0:1], vcc
	s_cbranch_execz .LBB125_269
; %bb.266:
	v_lshlrev_b32_e32 v13, 4, v196
	v_add_u32_e32 v7, 0x3e0, v13
	v_add_u32_e32 v195, 0, v13
	s_mov_b64 s[10:11], 0
.LBB125_267:                            ; =>This Inner Loop Header: Depth=1
	scratch_load_dwordx4 v[196:199], v195, off
	ds_read_b128 v[200:203], v7
	v_add_u32_e32 v6, -1, v6
	v_cmp_eq_u32_e32 vcc, 0, v6
	v_add_u32_e32 v7, 16, v7
	v_add_u32_e32 v195, 16, v195
	s_or_b64 s[10:11], vcc, s[10:11]
	s_waitcnt vmcnt(0) lgkmcnt(0)
	v_mul_f64 v[26:27], v[202:203], v[198:199]
	v_mul_f64 v[28:29], v[200:201], v[198:199]
	v_fma_f64 v[26:27], v[200:201], v[196:197], -v[26:27]
	v_fmac_f64_e32 v[28:29], v[202:203], v[196:197]
	v_add_f64 v[2:3], v[2:3], v[26:27]
	v_add_f64 v[4:5], v[4:5], v[28:29]
	s_andn2_b64 exec, exec, s[10:11]
	s_cbranch_execnz .LBB125_267
; %bb.268:
	s_or_b64 exec, exec, s[10:11]
.LBB125_269:
	s_or_b64 exec, exec, s[0:1]
.LBB125_270:
	s_or_b64 exec, exec, s[8:9]
	v_mov_b32_e32 v6, 0
	ds_read_b128 v[196:199], v6 offset:656
	s_waitcnt lgkmcnt(0)
	v_mul_f64 v[6:7], v[4:5], v[198:199]
	v_mul_f64 v[200:201], v[2:3], v[198:199]
	v_fma_f64 v[198:199], v[2:3], v[196:197], -v[6:7]
	v_fmac_f64_e32 v[200:201], v[4:5], v[196:197]
	scratch_store_dwordx4 off, v[198:201], off offset:656
.LBB125_271:
	s_or_b64 exec, exec, s[4:5]
	scratch_load_dwordx4 v[2:5], v155, off
	v_cmp_lt_u32_e64 s[0:1], 40, v0
	s_waitcnt vmcnt(0)
	ds_write_b128 v9, v[2:5]
	s_waitcnt lgkmcnt(0)
	; wave barrier
	s_waitcnt lgkmcnt(0)
	s_and_saveexec_b64 s[4:5], s[0:1]
	s_cbranch_execz .LBB125_285
; %bb.272:
	ds_read_b128 v[2:5], v9
	s_andn2_b64 vcc, exec, s[6:7]
	s_cbranch_vccnz .LBB125_274
; %bb.273:
	scratch_load_dwordx4 v[196:199], v8, off
	s_waitcnt vmcnt(0) lgkmcnt(0)
	v_mul_f64 v[26:27], v[2:3], v[198:199]
	v_mul_f64 v[6:7], v[4:5], v[198:199]
	v_fmac_f64_e32 v[26:27], v[4:5], v[196:197]
	v_fma_f64 v[2:3], v[2:3], v[196:197], -v[6:7]
	v_mov_b64_e32 v[4:5], v[26:27]
.LBB125_274:
	s_and_saveexec_b64 s[8:9], s[2:3]
	s_cbranch_execz .LBB125_284
; %bb.275:
	v_subrev_u32_e32 v7, 42, v0
	v_subrev_u32_e32 v6, 41, v0
	v_cmp_lt_u32_e32 vcc, 6, v7
	v_mov_b32_e32 v196, 41
	s_and_saveexec_b64 s[2:3], vcc
	s_cbranch_execz .LBB125_279
; %bb.276:
	v_and_b32_e32 v7, -8, v6
	s_mov_b32 s12, 0
	s_mov_b64 s[10:11], 0
	v_mov_b32_e32 v195, 0
	s_mov_b32 s13, 0
.LBB125_277:                            ; =>This Inner Loop Header: Depth=1
	v_readfirstlane_b32 s14, v195
	s_add_i32 s14, s14, s12
	s_add_i32 s15, s14, 0x290
	v_mov_b32_e32 v13, s12
	ds_read_b128 v[196:199], v13 offset:1648
	ds_read_b128 v[200:203], v13 offset:1664
	;; [unrolled: 1-line block ×4, first 2 shown]
	scratch_load_dwordx4 v[212:215], off, s15
	s_add_i32 s15, s14, 0x2a0
	s_addk_i32 s12, 0x80
	s_waitcnt vmcnt(0) lgkmcnt(3)
	v_mul_f64 v[26:27], v[198:199], v[214:215]
	v_mul_f64 v[28:29], v[196:197], v[214:215]
	v_fma_f64 v[26:27], v[196:197], v[212:213], -v[26:27]
	v_fmac_f64_e32 v[28:29], v[198:199], v[212:213]
	v_add_f64 v[26:27], v[2:3], v[26:27]
	v_add_f64 v[28:29], v[4:5], v[28:29]
	scratch_load_dwordx4 v[2:5], off, s15
	s_add_i32 s15, s14, 0x2b0
	s_waitcnt vmcnt(0) lgkmcnt(2)
	v_mul_f64 v[36:37], v[202:203], v[4:5]
	v_mul_f64 v[4:5], v[200:201], v[4:5]
	v_fmac_f64_e32 v[4:5], v[202:203], v[2:3]
	v_fma_f64 v[36:37], v[200:201], v[2:3], -v[36:37]
	v_add_f64 v[28:29], v[28:29], v[4:5]
	scratch_load_dwordx4 v[2:5], off, s15
	v_add_f64 v[26:27], v[26:27], v[36:37]
	s_add_i32 s15, s14, 0x2c0
	s_waitcnt vmcnt(0) lgkmcnt(1)
	v_mul_f64 v[36:37], v[206:207], v[4:5]
	v_mul_f64 v[4:5], v[204:205], v[4:5]
	v_fmac_f64_e32 v[4:5], v[206:207], v[2:3]
	v_fma_f64 v[36:37], v[204:205], v[2:3], -v[36:37]
	v_add_f64 v[28:29], v[28:29], v[4:5]
	scratch_load_dwordx4 v[2:5], off, s15
	s_add_i32 s15, s14, 0x2d0
	scratch_load_dwordx4 v[196:199], off, s15
	v_add_f64 v[26:27], v[26:27], v[36:37]
	s_add_i32 s15, s14, 0x2e0
	s_waitcnt vmcnt(1) lgkmcnt(0)
	v_mul_f64 v[36:37], v[210:211], v[4:5]
	v_mul_f64 v[4:5], v[208:209], v[4:5]
	v_fmac_f64_e32 v[4:5], v[210:211], v[2:3]
	v_fma_f64 v[36:37], v[208:209], v[2:3], -v[36:37]
	v_add_f64 v[28:29], v[28:29], v[4:5]
	ds_read_b128 v[2:5], v13 offset:1712
	v_add_f64 v[26:27], v[26:27], v[36:37]
	s_waitcnt vmcnt(0) lgkmcnt(0)
	v_mul_f64 v[36:37], v[4:5], v[198:199]
	v_fma_f64 v[36:37], v[2:3], v[196:197], -v[36:37]
	v_mul_f64 v[2:3], v[2:3], v[198:199]
	v_fmac_f64_e32 v[2:3], v[4:5], v[196:197]
	scratch_load_dwordx4 v[196:199], off, s15
	v_add_f64 v[28:29], v[28:29], v[2:3]
	ds_read_b128 v[2:5], v13 offset:1728
	v_add_f64 v[26:27], v[26:27], v[36:37]
	s_add_i32 s15, s14, 0x2f0
	s_addk_i32 s14, 0x300
	s_waitcnt vmcnt(0) lgkmcnt(0)
	v_mul_f64 v[36:37], v[4:5], v[198:199]
	v_fma_f64 v[36:37], v[2:3], v[196:197], -v[36:37]
	v_mul_f64 v[2:3], v[2:3], v[198:199]
	v_fmac_f64_e32 v[2:3], v[4:5], v[196:197]
	scratch_load_dwordx4 v[196:199], off, s15
	v_add_f64 v[28:29], v[28:29], v[2:3]
	ds_read_b128 v[2:5], v13 offset:1744
	v_add_f64 v[26:27], v[26:27], v[36:37]
	s_waitcnt vmcnt(0) lgkmcnt(0)
	v_mul_f64 v[36:37], v[4:5], v[198:199]
	v_fma_f64 v[36:37], v[2:3], v[196:197], -v[36:37]
	v_mul_f64 v[2:3], v[2:3], v[198:199]
	v_fmac_f64_e32 v[2:3], v[4:5], v[196:197]
	scratch_load_dwordx4 v[196:199], off, s14
	v_add_f64 v[28:29], v[28:29], v[2:3]
	ds_read_b128 v[2:5], v13 offset:1760
	v_add_f64 v[26:27], v[26:27], v[36:37]
	s_add_i32 s14, s13, 8
	v_cmp_eq_u32_e32 vcc, s14, v7
	s_add_i32 s13, s13, 49
	s_or_b64 s[10:11], vcc, s[10:11]
	s_waitcnt vmcnt(0) lgkmcnt(0)
	v_mul_f64 v[36:37], v[4:5], v[198:199]
	v_mul_f64 v[138:139], v[2:3], v[198:199]
	v_fma_f64 v[36:37], v[2:3], v[196:197], -v[36:37]
	v_fmac_f64_e32 v[138:139], v[4:5], v[196:197]
	v_add_f64 v[2:3], v[26:27], v[36:37]
	v_add_f64 v[4:5], v[28:29], v[138:139]
	v_mov_b32_e32 v196, s13
	s_mov_b32 s13, s14
	s_andn2_b64 exec, exec, s[10:11]
	s_cbranch_execnz .LBB125_277
; %bb.278:
	s_or_b64 exec, exec, s[10:11]
.LBB125_279:
	s_or_b64 exec, exec, s[2:3]
	v_and_b32_e32 v6, 7, v6
	v_cmp_ne_u32_e32 vcc, 0, v6
	s_and_saveexec_b64 s[2:3], vcc
	s_cbranch_execz .LBB125_283
; %bb.280:
	v_lshlrev_b32_e32 v13, 4, v196
	v_add_u32_e32 v7, 0x3e0, v13
	v_add_u32_e32 v195, 0, v13
	s_mov_b64 s[10:11], 0
.LBB125_281:                            ; =>This Inner Loop Header: Depth=1
	scratch_load_dwordx4 v[196:199], v195, off
	ds_read_b128 v[200:203], v7
	v_add_u32_e32 v6, -1, v6
	v_cmp_eq_u32_e32 vcc, 0, v6
	v_add_u32_e32 v7, 16, v7
	v_add_u32_e32 v195, 16, v195
	s_or_b64 s[10:11], vcc, s[10:11]
	s_waitcnt vmcnt(0) lgkmcnt(0)
	v_mul_f64 v[26:27], v[202:203], v[198:199]
	v_mul_f64 v[28:29], v[200:201], v[198:199]
	v_fma_f64 v[26:27], v[200:201], v[196:197], -v[26:27]
	v_fmac_f64_e32 v[28:29], v[202:203], v[196:197]
	v_add_f64 v[2:3], v[2:3], v[26:27]
	v_add_f64 v[4:5], v[4:5], v[28:29]
	s_andn2_b64 exec, exec, s[10:11]
	s_cbranch_execnz .LBB125_281
; %bb.282:
	s_or_b64 exec, exec, s[10:11]
.LBB125_283:
	s_or_b64 exec, exec, s[2:3]
.LBB125_284:
	s_or_b64 exec, exec, s[8:9]
	v_mov_b32_e32 v6, 0
	ds_read_b128 v[196:199], v6 offset:640
	s_waitcnt lgkmcnt(0)
	v_mul_f64 v[6:7], v[4:5], v[198:199]
	v_mul_f64 v[200:201], v[2:3], v[198:199]
	v_fma_f64 v[198:199], v[2:3], v[196:197], -v[6:7]
	v_fmac_f64_e32 v[200:201], v[4:5], v[196:197]
	scratch_store_dwordx4 off, v[198:201], off offset:640
.LBB125_285:
	s_or_b64 exec, exec, s[4:5]
	scratch_load_dwordx4 v[2:5], v156, off
	v_cmp_lt_u32_e64 s[2:3], 39, v0
	s_waitcnt vmcnt(0)
	ds_write_b128 v9, v[2:5]
	s_waitcnt lgkmcnt(0)
	; wave barrier
	s_waitcnt lgkmcnt(0)
	s_and_saveexec_b64 s[4:5], s[2:3]
	s_cbranch_execz .LBB125_299
; %bb.286:
	ds_read_b128 v[2:5], v9
	s_andn2_b64 vcc, exec, s[6:7]
	s_cbranch_vccnz .LBB125_288
; %bb.287:
	scratch_load_dwordx4 v[196:199], v8, off
	s_waitcnt vmcnt(0) lgkmcnt(0)
	v_mul_f64 v[26:27], v[2:3], v[198:199]
	v_mul_f64 v[6:7], v[4:5], v[198:199]
	v_fmac_f64_e32 v[26:27], v[4:5], v[196:197]
	v_fma_f64 v[2:3], v[2:3], v[196:197], -v[6:7]
	v_mov_b64_e32 v[4:5], v[26:27]
.LBB125_288:
	s_and_saveexec_b64 s[8:9], s[0:1]
	s_cbranch_execz .LBB125_298
; %bb.289:
	v_subrev_u32_e32 v6, 41, v0
	v_cmp_lt_u32_e32 vcc, 6, v6
	v_mov_b32_e32 v6, 40
	s_and_saveexec_b64 s[0:1], vcc
	s_cbranch_execz .LBB125_293
; %bb.290:
	v_and_b32_e32 v6, 56, v0
	s_mov_b32 s12, 40
	s_mov_b32 s13, 0
	s_mov_b64 s[10:11], 0
	v_mov_b32_e32 v7, 0
.LBB125_291:                            ; =>This Inner Loop Header: Depth=1
	s_nop 0
	v_readfirstlane_b32 s14, v7
	s_add_i32 s14, s14, s13
	s_add_i32 s15, s14, 0x280
	v_mov_b32_e32 v13, s13
	ds_read_b128 v[196:199], v13 offset:1632
	ds_read_b128 v[200:203], v13 offset:1648
	;; [unrolled: 1-line block ×4, first 2 shown]
	scratch_load_dwordx4 v[212:215], off, s15
	s_add_i32 s15, s14, 0x290
	s_add_i32 s12, s12, 8
	s_addk_i32 s13, 0x80
	v_cmp_eq_u32_e32 vcc, s12, v6
	s_waitcnt vmcnt(0) lgkmcnt(3)
	v_mul_f64 v[26:27], v[198:199], v[214:215]
	v_mul_f64 v[28:29], v[196:197], v[214:215]
	v_fma_f64 v[26:27], v[196:197], v[212:213], -v[26:27]
	v_fmac_f64_e32 v[28:29], v[198:199], v[212:213]
	v_add_f64 v[26:27], v[2:3], v[26:27]
	v_add_f64 v[28:29], v[4:5], v[28:29]
	scratch_load_dwordx4 v[2:5], off, s15
	s_add_i32 s15, s14, 0x2a0
	s_waitcnt vmcnt(0) lgkmcnt(2)
	v_mul_f64 v[36:37], v[202:203], v[4:5]
	v_mul_f64 v[4:5], v[200:201], v[4:5]
	v_fmac_f64_e32 v[4:5], v[202:203], v[2:3]
	v_fma_f64 v[36:37], v[200:201], v[2:3], -v[36:37]
	v_add_f64 v[28:29], v[28:29], v[4:5]
	scratch_load_dwordx4 v[2:5], off, s15
	v_add_f64 v[26:27], v[26:27], v[36:37]
	s_add_i32 s15, s14, 0x2b0
	s_waitcnt vmcnt(0) lgkmcnt(1)
	v_mul_f64 v[36:37], v[206:207], v[4:5]
	v_mul_f64 v[4:5], v[204:205], v[4:5]
	v_fmac_f64_e32 v[4:5], v[206:207], v[2:3]
	v_fma_f64 v[36:37], v[204:205], v[2:3], -v[36:37]
	v_add_f64 v[28:29], v[28:29], v[4:5]
	scratch_load_dwordx4 v[2:5], off, s15
	s_add_i32 s15, s14, 0x2c0
	scratch_load_dwordx4 v[196:199], off, s15
	v_add_f64 v[26:27], v[26:27], v[36:37]
	s_add_i32 s15, s14, 0x2d0
	s_waitcnt vmcnt(1) lgkmcnt(0)
	v_mul_f64 v[36:37], v[210:211], v[4:5]
	v_mul_f64 v[4:5], v[208:209], v[4:5]
	v_fmac_f64_e32 v[4:5], v[210:211], v[2:3]
	v_fma_f64 v[36:37], v[208:209], v[2:3], -v[36:37]
	v_add_f64 v[28:29], v[28:29], v[4:5]
	ds_read_b128 v[2:5], v13 offset:1696
	v_add_f64 v[26:27], v[26:27], v[36:37]
	s_waitcnt vmcnt(0) lgkmcnt(0)
	v_mul_f64 v[36:37], v[4:5], v[198:199]
	v_fma_f64 v[36:37], v[2:3], v[196:197], -v[36:37]
	v_mul_f64 v[2:3], v[2:3], v[198:199]
	v_fmac_f64_e32 v[2:3], v[4:5], v[196:197]
	scratch_load_dwordx4 v[196:199], off, s15
	v_add_f64 v[28:29], v[28:29], v[2:3]
	ds_read_b128 v[2:5], v13 offset:1712
	v_add_f64 v[26:27], v[26:27], v[36:37]
	s_add_i32 s15, s14, 0x2e0
	s_addk_i32 s14, 0x2f0
	s_or_b64 s[10:11], vcc, s[10:11]
	s_waitcnt vmcnt(0) lgkmcnt(0)
	v_mul_f64 v[36:37], v[4:5], v[198:199]
	v_fma_f64 v[36:37], v[2:3], v[196:197], -v[36:37]
	v_mul_f64 v[2:3], v[2:3], v[198:199]
	v_fmac_f64_e32 v[2:3], v[4:5], v[196:197]
	scratch_load_dwordx4 v[196:199], off, s15
	v_add_f64 v[28:29], v[28:29], v[2:3]
	ds_read_b128 v[2:5], v13 offset:1728
	v_add_f64 v[26:27], v[26:27], v[36:37]
	s_waitcnt vmcnt(0) lgkmcnt(0)
	v_mul_f64 v[36:37], v[4:5], v[198:199]
	v_fma_f64 v[36:37], v[2:3], v[196:197], -v[36:37]
	v_mul_f64 v[2:3], v[2:3], v[198:199]
	v_fmac_f64_e32 v[2:3], v[4:5], v[196:197]
	scratch_load_dwordx4 v[196:199], off, s14
	v_add_f64 v[28:29], v[28:29], v[2:3]
	ds_read_b128 v[2:5], v13 offset:1744
	v_add_f64 v[26:27], v[26:27], v[36:37]
	s_waitcnt vmcnt(0) lgkmcnt(0)
	v_mul_f64 v[36:37], v[4:5], v[198:199]
	v_mul_f64 v[138:139], v[2:3], v[198:199]
	v_fma_f64 v[36:37], v[2:3], v[196:197], -v[36:37]
	v_fmac_f64_e32 v[138:139], v[4:5], v[196:197]
	v_add_f64 v[2:3], v[26:27], v[36:37]
	v_add_f64 v[4:5], v[28:29], v[138:139]
	s_andn2_b64 exec, exec, s[10:11]
	s_cbranch_execnz .LBB125_291
; %bb.292:
	s_or_b64 exec, exec, s[10:11]
.LBB125_293:
	s_or_b64 exec, exec, s[0:1]
	v_and_b32_e32 v7, 7, v0
	v_cmp_ne_u32_e32 vcc, 0, v7
	s_and_saveexec_b64 s[0:1], vcc
	s_cbranch_execz .LBB125_297
; %bb.294:
	v_lshlrev_b32_e32 v13, 4, v6
	v_add_u32_e32 v6, 0x3e0, v13
	v_add_u32_e32 v195, 0, v13
	s_mov_b64 s[10:11], 0
.LBB125_295:                            ; =>This Inner Loop Header: Depth=1
	scratch_load_dwordx4 v[196:199], v195, off
	ds_read_b128 v[200:203], v6
	v_add_u32_e32 v7, -1, v7
	v_cmp_eq_u32_e32 vcc, 0, v7
	v_add_u32_e32 v6, 16, v6
	v_add_u32_e32 v195, 16, v195
	s_or_b64 s[10:11], vcc, s[10:11]
	s_waitcnt vmcnt(0) lgkmcnt(0)
	v_mul_f64 v[26:27], v[202:203], v[198:199]
	v_mul_f64 v[28:29], v[200:201], v[198:199]
	v_fma_f64 v[26:27], v[200:201], v[196:197], -v[26:27]
	v_fmac_f64_e32 v[28:29], v[202:203], v[196:197]
	v_add_f64 v[2:3], v[2:3], v[26:27]
	v_add_f64 v[4:5], v[4:5], v[28:29]
	s_andn2_b64 exec, exec, s[10:11]
	s_cbranch_execnz .LBB125_295
; %bb.296:
	s_or_b64 exec, exec, s[10:11]
.LBB125_297:
	s_or_b64 exec, exec, s[0:1]
.LBB125_298:
	s_or_b64 exec, exec, s[8:9]
	v_mov_b32_e32 v6, 0
	ds_read_b128 v[196:199], v6 offset:624
	s_waitcnt lgkmcnt(0)
	v_mul_f64 v[6:7], v[4:5], v[198:199]
	v_mul_f64 v[200:201], v[2:3], v[198:199]
	v_fma_f64 v[198:199], v[2:3], v[196:197], -v[6:7]
	v_fmac_f64_e32 v[200:201], v[4:5], v[196:197]
	scratch_store_dwordx4 off, v[198:201], off offset:624
.LBB125_299:
	s_or_b64 exec, exec, s[4:5]
	scratch_load_dwordx4 v[2:5], v157, off
	v_cmp_lt_u32_e64 s[0:1], 38, v0
	s_waitcnt vmcnt(0)
	ds_write_b128 v9, v[2:5]
	s_waitcnt lgkmcnt(0)
	; wave barrier
	s_waitcnt lgkmcnt(0)
	s_and_saveexec_b64 s[4:5], s[0:1]
	s_cbranch_execz .LBB125_313
; %bb.300:
	ds_read_b128 v[2:5], v9
	s_andn2_b64 vcc, exec, s[6:7]
	s_cbranch_vccnz .LBB125_302
; %bb.301:
	scratch_load_dwordx4 v[196:199], v8, off
	s_waitcnt vmcnt(0) lgkmcnt(0)
	v_mul_f64 v[26:27], v[2:3], v[198:199]
	v_mul_f64 v[6:7], v[4:5], v[198:199]
	v_fmac_f64_e32 v[26:27], v[4:5], v[196:197]
	v_fma_f64 v[2:3], v[2:3], v[196:197], -v[6:7]
	v_mov_b64_e32 v[4:5], v[26:27]
.LBB125_302:
	s_and_saveexec_b64 s[8:9], s[2:3]
	s_cbranch_execz .LBB125_312
; %bb.303:
	v_subrev_u32_e32 v7, 40, v0
	v_subrev_u32_e32 v6, 39, v0
	v_cmp_lt_u32_e32 vcc, 6, v7
	v_mov_b32_e32 v196, 39
	s_and_saveexec_b64 s[2:3], vcc
	s_cbranch_execz .LBB125_307
; %bb.304:
	v_and_b32_e32 v7, -8, v6
	s_mov_b32 s12, 0
	s_mov_b64 s[10:11], 0
	v_mov_b32_e32 v195, 0
	s_mov_b32 s13, 0
.LBB125_305:                            ; =>This Inner Loop Header: Depth=1
	v_readfirstlane_b32 s14, v195
	s_add_i32 s14, s14, s12
	s_add_i32 s15, s14, 0x270
	v_mov_b32_e32 v13, s12
	ds_read_b128 v[196:199], v13 offset:1616
	ds_read_b128 v[200:203], v13 offset:1632
	;; [unrolled: 1-line block ×4, first 2 shown]
	scratch_load_dwordx4 v[212:215], off, s15
	s_add_i32 s15, s14, 0x280
	s_addk_i32 s12, 0x80
	s_waitcnt vmcnt(0) lgkmcnt(3)
	v_mul_f64 v[26:27], v[198:199], v[214:215]
	v_mul_f64 v[28:29], v[196:197], v[214:215]
	v_fma_f64 v[26:27], v[196:197], v[212:213], -v[26:27]
	v_fmac_f64_e32 v[28:29], v[198:199], v[212:213]
	v_add_f64 v[26:27], v[2:3], v[26:27]
	v_add_f64 v[28:29], v[4:5], v[28:29]
	scratch_load_dwordx4 v[2:5], off, s15
	s_add_i32 s15, s14, 0x290
	s_waitcnt vmcnt(0) lgkmcnt(2)
	v_mul_f64 v[36:37], v[202:203], v[4:5]
	v_mul_f64 v[4:5], v[200:201], v[4:5]
	v_fmac_f64_e32 v[4:5], v[202:203], v[2:3]
	v_fma_f64 v[36:37], v[200:201], v[2:3], -v[36:37]
	v_add_f64 v[28:29], v[28:29], v[4:5]
	scratch_load_dwordx4 v[2:5], off, s15
	v_add_f64 v[26:27], v[26:27], v[36:37]
	s_add_i32 s15, s14, 0x2a0
	s_waitcnt vmcnt(0) lgkmcnt(1)
	v_mul_f64 v[36:37], v[206:207], v[4:5]
	v_mul_f64 v[4:5], v[204:205], v[4:5]
	v_fmac_f64_e32 v[4:5], v[206:207], v[2:3]
	v_fma_f64 v[36:37], v[204:205], v[2:3], -v[36:37]
	v_add_f64 v[28:29], v[28:29], v[4:5]
	scratch_load_dwordx4 v[2:5], off, s15
	s_add_i32 s15, s14, 0x2b0
	scratch_load_dwordx4 v[196:199], off, s15
	v_add_f64 v[26:27], v[26:27], v[36:37]
	s_add_i32 s15, s14, 0x2c0
	s_waitcnt vmcnt(1) lgkmcnt(0)
	v_mul_f64 v[36:37], v[210:211], v[4:5]
	v_mul_f64 v[4:5], v[208:209], v[4:5]
	v_fmac_f64_e32 v[4:5], v[210:211], v[2:3]
	v_fma_f64 v[36:37], v[208:209], v[2:3], -v[36:37]
	v_add_f64 v[28:29], v[28:29], v[4:5]
	ds_read_b128 v[2:5], v13 offset:1680
	v_add_f64 v[26:27], v[26:27], v[36:37]
	s_waitcnt vmcnt(0) lgkmcnt(0)
	v_mul_f64 v[36:37], v[4:5], v[198:199]
	v_fma_f64 v[36:37], v[2:3], v[196:197], -v[36:37]
	v_mul_f64 v[2:3], v[2:3], v[198:199]
	v_fmac_f64_e32 v[2:3], v[4:5], v[196:197]
	scratch_load_dwordx4 v[196:199], off, s15
	v_add_f64 v[28:29], v[28:29], v[2:3]
	ds_read_b128 v[2:5], v13 offset:1696
	v_add_f64 v[26:27], v[26:27], v[36:37]
	s_add_i32 s15, s14, 0x2d0
	s_addk_i32 s14, 0x2e0
	s_waitcnt vmcnt(0) lgkmcnt(0)
	v_mul_f64 v[36:37], v[4:5], v[198:199]
	v_fma_f64 v[36:37], v[2:3], v[196:197], -v[36:37]
	v_mul_f64 v[2:3], v[2:3], v[198:199]
	v_fmac_f64_e32 v[2:3], v[4:5], v[196:197]
	scratch_load_dwordx4 v[196:199], off, s15
	v_add_f64 v[28:29], v[28:29], v[2:3]
	ds_read_b128 v[2:5], v13 offset:1712
	v_add_f64 v[26:27], v[26:27], v[36:37]
	s_waitcnt vmcnt(0) lgkmcnt(0)
	v_mul_f64 v[36:37], v[4:5], v[198:199]
	v_fma_f64 v[36:37], v[2:3], v[196:197], -v[36:37]
	v_mul_f64 v[2:3], v[2:3], v[198:199]
	v_fmac_f64_e32 v[2:3], v[4:5], v[196:197]
	scratch_load_dwordx4 v[196:199], off, s14
	v_add_f64 v[28:29], v[28:29], v[2:3]
	ds_read_b128 v[2:5], v13 offset:1728
	v_add_f64 v[26:27], v[26:27], v[36:37]
	s_add_i32 s14, s13, 8
	v_cmp_eq_u32_e32 vcc, s14, v7
	s_add_i32 s13, s13, 47
	s_or_b64 s[10:11], vcc, s[10:11]
	s_waitcnt vmcnt(0) lgkmcnt(0)
	v_mul_f64 v[36:37], v[4:5], v[198:199]
	v_mul_f64 v[138:139], v[2:3], v[198:199]
	v_fma_f64 v[36:37], v[2:3], v[196:197], -v[36:37]
	v_fmac_f64_e32 v[138:139], v[4:5], v[196:197]
	v_add_f64 v[2:3], v[26:27], v[36:37]
	v_add_f64 v[4:5], v[28:29], v[138:139]
	v_mov_b32_e32 v196, s13
	s_mov_b32 s13, s14
	s_andn2_b64 exec, exec, s[10:11]
	s_cbranch_execnz .LBB125_305
; %bb.306:
	s_or_b64 exec, exec, s[10:11]
.LBB125_307:
	s_or_b64 exec, exec, s[2:3]
	v_and_b32_e32 v6, 7, v6
	v_cmp_ne_u32_e32 vcc, 0, v6
	s_and_saveexec_b64 s[2:3], vcc
	s_cbranch_execz .LBB125_311
; %bb.308:
	v_lshlrev_b32_e32 v13, 4, v196
	v_add_u32_e32 v7, 0x3e0, v13
	v_add_u32_e32 v195, 0, v13
	s_mov_b64 s[10:11], 0
.LBB125_309:                            ; =>This Inner Loop Header: Depth=1
	scratch_load_dwordx4 v[196:199], v195, off
	ds_read_b128 v[200:203], v7
	v_add_u32_e32 v6, -1, v6
	v_cmp_eq_u32_e32 vcc, 0, v6
	v_add_u32_e32 v7, 16, v7
	v_add_u32_e32 v195, 16, v195
	s_or_b64 s[10:11], vcc, s[10:11]
	s_waitcnt vmcnt(0) lgkmcnt(0)
	v_mul_f64 v[26:27], v[202:203], v[198:199]
	v_mul_f64 v[28:29], v[200:201], v[198:199]
	v_fma_f64 v[26:27], v[200:201], v[196:197], -v[26:27]
	v_fmac_f64_e32 v[28:29], v[202:203], v[196:197]
	v_add_f64 v[2:3], v[2:3], v[26:27]
	v_add_f64 v[4:5], v[4:5], v[28:29]
	s_andn2_b64 exec, exec, s[10:11]
	s_cbranch_execnz .LBB125_309
; %bb.310:
	s_or_b64 exec, exec, s[10:11]
.LBB125_311:
	s_or_b64 exec, exec, s[2:3]
.LBB125_312:
	s_or_b64 exec, exec, s[8:9]
	v_mov_b32_e32 v6, 0
	ds_read_b128 v[196:199], v6 offset:608
	s_waitcnt lgkmcnt(0)
	v_mul_f64 v[6:7], v[4:5], v[198:199]
	v_mul_f64 v[200:201], v[2:3], v[198:199]
	v_fma_f64 v[198:199], v[2:3], v[196:197], -v[6:7]
	v_fmac_f64_e32 v[200:201], v[4:5], v[196:197]
	scratch_store_dwordx4 off, v[198:201], off offset:608
.LBB125_313:
	s_or_b64 exec, exec, s[4:5]
	scratch_load_dwordx4 v[2:5], v158, off
	v_cmp_lt_u32_e64 s[2:3], 37, v0
	s_waitcnt vmcnt(0)
	ds_write_b128 v9, v[2:5]
	s_waitcnt lgkmcnt(0)
	; wave barrier
	s_waitcnt lgkmcnt(0)
	s_and_saveexec_b64 s[4:5], s[2:3]
	s_cbranch_execz .LBB125_327
; %bb.314:
	ds_read_b128 v[2:5], v9
	s_andn2_b64 vcc, exec, s[6:7]
	s_cbranch_vccnz .LBB125_316
; %bb.315:
	scratch_load_dwordx4 v[196:199], v8, off
	s_waitcnt vmcnt(0) lgkmcnt(0)
	v_mul_f64 v[26:27], v[2:3], v[198:199]
	v_mul_f64 v[6:7], v[4:5], v[198:199]
	v_fmac_f64_e32 v[26:27], v[4:5], v[196:197]
	v_fma_f64 v[2:3], v[2:3], v[196:197], -v[6:7]
	v_mov_b64_e32 v[4:5], v[26:27]
.LBB125_316:
	s_and_saveexec_b64 s[8:9], s[0:1]
	s_cbranch_execz .LBB125_326
; %bb.317:
	v_subrev_u32_e32 v7, 39, v0
	v_subrev_u32_e32 v6, 38, v0
	v_cmp_lt_u32_e32 vcc, 6, v7
	v_mov_b32_e32 v196, 38
	s_and_saveexec_b64 s[0:1], vcc
	s_cbranch_execz .LBB125_321
; %bb.318:
	v_and_b32_e32 v7, -8, v6
	s_mov_b32 s12, 0
	s_mov_b64 s[10:11], 0
	v_mov_b32_e32 v195, 0
	s_mov_b32 s13, 0
.LBB125_319:                            ; =>This Inner Loop Header: Depth=1
	v_readfirstlane_b32 s14, v195
	s_add_i32 s14, s14, s12
	s_add_i32 s15, s14, 0x260
	v_mov_b32_e32 v13, s12
	ds_read_b128 v[196:199], v13 offset:1600
	ds_read_b128 v[200:203], v13 offset:1616
	;; [unrolled: 1-line block ×4, first 2 shown]
	scratch_load_dwordx4 v[212:215], off, s15
	s_add_i32 s15, s14, 0x270
	s_addk_i32 s12, 0x80
	s_waitcnt vmcnt(0) lgkmcnt(3)
	v_mul_f64 v[26:27], v[198:199], v[214:215]
	v_mul_f64 v[28:29], v[196:197], v[214:215]
	v_fma_f64 v[26:27], v[196:197], v[212:213], -v[26:27]
	v_fmac_f64_e32 v[28:29], v[198:199], v[212:213]
	v_add_f64 v[26:27], v[2:3], v[26:27]
	v_add_f64 v[28:29], v[4:5], v[28:29]
	scratch_load_dwordx4 v[2:5], off, s15
	s_add_i32 s15, s14, 0x280
	s_waitcnt vmcnt(0) lgkmcnt(2)
	v_mul_f64 v[36:37], v[202:203], v[4:5]
	v_mul_f64 v[4:5], v[200:201], v[4:5]
	v_fmac_f64_e32 v[4:5], v[202:203], v[2:3]
	v_fma_f64 v[36:37], v[200:201], v[2:3], -v[36:37]
	v_add_f64 v[28:29], v[28:29], v[4:5]
	scratch_load_dwordx4 v[2:5], off, s15
	v_add_f64 v[26:27], v[26:27], v[36:37]
	s_add_i32 s15, s14, 0x290
	s_waitcnt vmcnt(0) lgkmcnt(1)
	v_mul_f64 v[36:37], v[206:207], v[4:5]
	v_mul_f64 v[4:5], v[204:205], v[4:5]
	v_fmac_f64_e32 v[4:5], v[206:207], v[2:3]
	v_fma_f64 v[36:37], v[204:205], v[2:3], -v[36:37]
	v_add_f64 v[28:29], v[28:29], v[4:5]
	scratch_load_dwordx4 v[2:5], off, s15
	s_add_i32 s15, s14, 0x2a0
	scratch_load_dwordx4 v[196:199], off, s15
	v_add_f64 v[26:27], v[26:27], v[36:37]
	s_add_i32 s15, s14, 0x2b0
	s_waitcnt vmcnt(1) lgkmcnt(0)
	v_mul_f64 v[36:37], v[210:211], v[4:5]
	v_mul_f64 v[4:5], v[208:209], v[4:5]
	v_fmac_f64_e32 v[4:5], v[210:211], v[2:3]
	v_fma_f64 v[36:37], v[208:209], v[2:3], -v[36:37]
	v_add_f64 v[28:29], v[28:29], v[4:5]
	ds_read_b128 v[2:5], v13 offset:1664
	v_add_f64 v[26:27], v[26:27], v[36:37]
	s_waitcnt vmcnt(0) lgkmcnt(0)
	v_mul_f64 v[36:37], v[4:5], v[198:199]
	v_fma_f64 v[36:37], v[2:3], v[196:197], -v[36:37]
	v_mul_f64 v[2:3], v[2:3], v[198:199]
	v_fmac_f64_e32 v[2:3], v[4:5], v[196:197]
	scratch_load_dwordx4 v[196:199], off, s15
	v_add_f64 v[28:29], v[28:29], v[2:3]
	ds_read_b128 v[2:5], v13 offset:1680
	v_add_f64 v[26:27], v[26:27], v[36:37]
	s_add_i32 s15, s14, 0x2c0
	s_addk_i32 s14, 0x2d0
	s_waitcnt vmcnt(0) lgkmcnt(0)
	v_mul_f64 v[36:37], v[4:5], v[198:199]
	v_fma_f64 v[36:37], v[2:3], v[196:197], -v[36:37]
	v_mul_f64 v[2:3], v[2:3], v[198:199]
	v_fmac_f64_e32 v[2:3], v[4:5], v[196:197]
	scratch_load_dwordx4 v[196:199], off, s15
	v_add_f64 v[28:29], v[28:29], v[2:3]
	ds_read_b128 v[2:5], v13 offset:1696
	v_add_f64 v[26:27], v[26:27], v[36:37]
	s_waitcnt vmcnt(0) lgkmcnt(0)
	v_mul_f64 v[36:37], v[4:5], v[198:199]
	v_fma_f64 v[36:37], v[2:3], v[196:197], -v[36:37]
	v_mul_f64 v[2:3], v[2:3], v[198:199]
	v_fmac_f64_e32 v[2:3], v[4:5], v[196:197]
	scratch_load_dwordx4 v[196:199], off, s14
	v_add_f64 v[28:29], v[28:29], v[2:3]
	ds_read_b128 v[2:5], v13 offset:1712
	v_add_f64 v[26:27], v[26:27], v[36:37]
	s_add_i32 s14, s13, 8
	v_cmp_eq_u32_e32 vcc, s14, v7
	s_add_i32 s13, s13, 46
	s_or_b64 s[10:11], vcc, s[10:11]
	s_waitcnt vmcnt(0) lgkmcnt(0)
	v_mul_f64 v[36:37], v[4:5], v[198:199]
	v_mul_f64 v[138:139], v[2:3], v[198:199]
	v_fma_f64 v[36:37], v[2:3], v[196:197], -v[36:37]
	v_fmac_f64_e32 v[138:139], v[4:5], v[196:197]
	v_add_f64 v[2:3], v[26:27], v[36:37]
	v_add_f64 v[4:5], v[28:29], v[138:139]
	v_mov_b32_e32 v196, s13
	s_mov_b32 s13, s14
	s_andn2_b64 exec, exec, s[10:11]
	s_cbranch_execnz .LBB125_319
; %bb.320:
	s_or_b64 exec, exec, s[10:11]
.LBB125_321:
	s_or_b64 exec, exec, s[0:1]
	v_and_b32_e32 v6, 7, v6
	v_cmp_ne_u32_e32 vcc, 0, v6
	s_and_saveexec_b64 s[0:1], vcc
	s_cbranch_execz .LBB125_325
; %bb.322:
	v_lshlrev_b32_e32 v13, 4, v196
	v_add_u32_e32 v7, 0x3e0, v13
	v_add_u32_e32 v195, 0, v13
	s_mov_b64 s[10:11], 0
.LBB125_323:                            ; =>This Inner Loop Header: Depth=1
	scratch_load_dwordx4 v[196:199], v195, off
	ds_read_b128 v[200:203], v7
	v_add_u32_e32 v6, -1, v6
	v_cmp_eq_u32_e32 vcc, 0, v6
	v_add_u32_e32 v7, 16, v7
	v_add_u32_e32 v195, 16, v195
	s_or_b64 s[10:11], vcc, s[10:11]
	s_waitcnt vmcnt(0) lgkmcnt(0)
	v_mul_f64 v[26:27], v[202:203], v[198:199]
	v_mul_f64 v[28:29], v[200:201], v[198:199]
	v_fma_f64 v[26:27], v[200:201], v[196:197], -v[26:27]
	v_fmac_f64_e32 v[28:29], v[202:203], v[196:197]
	v_add_f64 v[2:3], v[2:3], v[26:27]
	v_add_f64 v[4:5], v[4:5], v[28:29]
	s_andn2_b64 exec, exec, s[10:11]
	s_cbranch_execnz .LBB125_323
; %bb.324:
	s_or_b64 exec, exec, s[10:11]
.LBB125_325:
	s_or_b64 exec, exec, s[0:1]
.LBB125_326:
	s_or_b64 exec, exec, s[8:9]
	v_mov_b32_e32 v6, 0
	ds_read_b128 v[196:199], v6 offset:592
	s_waitcnt lgkmcnt(0)
	v_mul_f64 v[6:7], v[4:5], v[198:199]
	v_mul_f64 v[200:201], v[2:3], v[198:199]
	v_fma_f64 v[198:199], v[2:3], v[196:197], -v[6:7]
	v_fmac_f64_e32 v[200:201], v[4:5], v[196:197]
	scratch_store_dwordx4 off, v[198:201], off offset:592
.LBB125_327:
	s_or_b64 exec, exec, s[4:5]
	scratch_load_dwordx4 v[2:5], v159, off
	v_cmp_lt_u32_e64 s[0:1], 36, v0
	s_waitcnt vmcnt(0)
	ds_write_b128 v9, v[2:5]
	s_waitcnt lgkmcnt(0)
	; wave barrier
	s_waitcnt lgkmcnt(0)
	s_and_saveexec_b64 s[4:5], s[0:1]
	s_cbranch_execz .LBB125_341
; %bb.328:
	ds_read_b128 v[2:5], v9
	s_andn2_b64 vcc, exec, s[6:7]
	s_cbranch_vccnz .LBB125_330
; %bb.329:
	scratch_load_dwordx4 v[196:199], v8, off
	s_waitcnt vmcnt(0) lgkmcnt(0)
	v_mul_f64 v[26:27], v[2:3], v[198:199]
	v_mul_f64 v[6:7], v[4:5], v[198:199]
	v_fmac_f64_e32 v[26:27], v[4:5], v[196:197]
	v_fma_f64 v[2:3], v[2:3], v[196:197], -v[6:7]
	v_mov_b64_e32 v[4:5], v[26:27]
.LBB125_330:
	s_and_saveexec_b64 s[8:9], s[2:3]
	s_cbranch_execz .LBB125_340
; %bb.331:
	v_subrev_u32_e32 v7, 38, v0
	v_subrev_u32_e32 v6, 37, v0
	v_cmp_lt_u32_e32 vcc, 6, v7
	v_mov_b32_e32 v196, 37
	s_and_saveexec_b64 s[2:3], vcc
	s_cbranch_execz .LBB125_335
; %bb.332:
	v_and_b32_e32 v7, -8, v6
	s_mov_b32 s12, 0
	s_mov_b64 s[10:11], 0
	v_mov_b32_e32 v195, 0
	s_mov_b32 s13, 0
.LBB125_333:                            ; =>This Inner Loop Header: Depth=1
	v_readfirstlane_b32 s14, v195
	s_add_i32 s14, s14, s12
	s_add_i32 s15, s14, 0x250
	v_mov_b32_e32 v13, s12
	ds_read_b128 v[196:199], v13 offset:1584
	ds_read_b128 v[200:203], v13 offset:1600
	;; [unrolled: 1-line block ×4, first 2 shown]
	scratch_load_dwordx4 v[212:215], off, s15
	s_add_i32 s15, s14, 0x260
	s_addk_i32 s12, 0x80
	s_waitcnt vmcnt(0) lgkmcnt(3)
	v_mul_f64 v[26:27], v[198:199], v[214:215]
	v_mul_f64 v[28:29], v[196:197], v[214:215]
	v_fma_f64 v[26:27], v[196:197], v[212:213], -v[26:27]
	v_fmac_f64_e32 v[28:29], v[198:199], v[212:213]
	v_add_f64 v[26:27], v[2:3], v[26:27]
	v_add_f64 v[28:29], v[4:5], v[28:29]
	scratch_load_dwordx4 v[2:5], off, s15
	s_add_i32 s15, s14, 0x270
	s_waitcnt vmcnt(0) lgkmcnt(2)
	v_mul_f64 v[36:37], v[202:203], v[4:5]
	v_mul_f64 v[4:5], v[200:201], v[4:5]
	v_fmac_f64_e32 v[4:5], v[202:203], v[2:3]
	v_fma_f64 v[36:37], v[200:201], v[2:3], -v[36:37]
	v_add_f64 v[28:29], v[28:29], v[4:5]
	scratch_load_dwordx4 v[2:5], off, s15
	v_add_f64 v[26:27], v[26:27], v[36:37]
	s_add_i32 s15, s14, 0x280
	s_waitcnt vmcnt(0) lgkmcnt(1)
	v_mul_f64 v[36:37], v[206:207], v[4:5]
	v_mul_f64 v[4:5], v[204:205], v[4:5]
	v_fmac_f64_e32 v[4:5], v[206:207], v[2:3]
	v_fma_f64 v[36:37], v[204:205], v[2:3], -v[36:37]
	v_add_f64 v[28:29], v[28:29], v[4:5]
	scratch_load_dwordx4 v[2:5], off, s15
	s_add_i32 s15, s14, 0x290
	scratch_load_dwordx4 v[196:199], off, s15
	v_add_f64 v[26:27], v[26:27], v[36:37]
	s_add_i32 s15, s14, 0x2a0
	s_waitcnt vmcnt(1) lgkmcnt(0)
	v_mul_f64 v[36:37], v[210:211], v[4:5]
	v_mul_f64 v[4:5], v[208:209], v[4:5]
	v_fmac_f64_e32 v[4:5], v[210:211], v[2:3]
	v_fma_f64 v[36:37], v[208:209], v[2:3], -v[36:37]
	v_add_f64 v[28:29], v[28:29], v[4:5]
	ds_read_b128 v[2:5], v13 offset:1648
	v_add_f64 v[26:27], v[26:27], v[36:37]
	s_waitcnt vmcnt(0) lgkmcnt(0)
	v_mul_f64 v[36:37], v[4:5], v[198:199]
	v_fma_f64 v[36:37], v[2:3], v[196:197], -v[36:37]
	v_mul_f64 v[2:3], v[2:3], v[198:199]
	v_fmac_f64_e32 v[2:3], v[4:5], v[196:197]
	scratch_load_dwordx4 v[196:199], off, s15
	v_add_f64 v[28:29], v[28:29], v[2:3]
	ds_read_b128 v[2:5], v13 offset:1664
	v_add_f64 v[26:27], v[26:27], v[36:37]
	s_add_i32 s15, s14, 0x2b0
	s_addk_i32 s14, 0x2c0
	s_waitcnt vmcnt(0) lgkmcnt(0)
	v_mul_f64 v[36:37], v[4:5], v[198:199]
	v_fma_f64 v[36:37], v[2:3], v[196:197], -v[36:37]
	v_mul_f64 v[2:3], v[2:3], v[198:199]
	v_fmac_f64_e32 v[2:3], v[4:5], v[196:197]
	scratch_load_dwordx4 v[196:199], off, s15
	v_add_f64 v[28:29], v[28:29], v[2:3]
	ds_read_b128 v[2:5], v13 offset:1680
	v_add_f64 v[26:27], v[26:27], v[36:37]
	s_waitcnt vmcnt(0) lgkmcnt(0)
	v_mul_f64 v[36:37], v[4:5], v[198:199]
	v_fma_f64 v[36:37], v[2:3], v[196:197], -v[36:37]
	v_mul_f64 v[2:3], v[2:3], v[198:199]
	v_fmac_f64_e32 v[2:3], v[4:5], v[196:197]
	scratch_load_dwordx4 v[196:199], off, s14
	v_add_f64 v[28:29], v[28:29], v[2:3]
	ds_read_b128 v[2:5], v13 offset:1696
	v_add_f64 v[26:27], v[26:27], v[36:37]
	s_add_i32 s14, s13, 8
	v_cmp_eq_u32_e32 vcc, s14, v7
	s_add_i32 s13, s13, 45
	s_or_b64 s[10:11], vcc, s[10:11]
	s_waitcnt vmcnt(0) lgkmcnt(0)
	v_mul_f64 v[36:37], v[4:5], v[198:199]
	v_mul_f64 v[138:139], v[2:3], v[198:199]
	v_fma_f64 v[36:37], v[2:3], v[196:197], -v[36:37]
	v_fmac_f64_e32 v[138:139], v[4:5], v[196:197]
	v_add_f64 v[2:3], v[26:27], v[36:37]
	v_add_f64 v[4:5], v[28:29], v[138:139]
	v_mov_b32_e32 v196, s13
	s_mov_b32 s13, s14
	s_andn2_b64 exec, exec, s[10:11]
	s_cbranch_execnz .LBB125_333
; %bb.334:
	s_or_b64 exec, exec, s[10:11]
.LBB125_335:
	s_or_b64 exec, exec, s[2:3]
	v_and_b32_e32 v6, 7, v6
	v_cmp_ne_u32_e32 vcc, 0, v6
	s_and_saveexec_b64 s[2:3], vcc
	s_cbranch_execz .LBB125_339
; %bb.336:
	v_lshlrev_b32_e32 v13, 4, v196
	v_add_u32_e32 v7, 0x3e0, v13
	v_add_u32_e32 v195, 0, v13
	s_mov_b64 s[10:11], 0
.LBB125_337:                            ; =>This Inner Loop Header: Depth=1
	scratch_load_dwordx4 v[196:199], v195, off
	ds_read_b128 v[200:203], v7
	v_add_u32_e32 v6, -1, v6
	v_cmp_eq_u32_e32 vcc, 0, v6
	v_add_u32_e32 v7, 16, v7
	v_add_u32_e32 v195, 16, v195
	s_or_b64 s[10:11], vcc, s[10:11]
	s_waitcnt vmcnt(0) lgkmcnt(0)
	v_mul_f64 v[26:27], v[202:203], v[198:199]
	v_mul_f64 v[28:29], v[200:201], v[198:199]
	v_fma_f64 v[26:27], v[200:201], v[196:197], -v[26:27]
	v_fmac_f64_e32 v[28:29], v[202:203], v[196:197]
	v_add_f64 v[2:3], v[2:3], v[26:27]
	v_add_f64 v[4:5], v[4:5], v[28:29]
	s_andn2_b64 exec, exec, s[10:11]
	s_cbranch_execnz .LBB125_337
; %bb.338:
	s_or_b64 exec, exec, s[10:11]
.LBB125_339:
	s_or_b64 exec, exec, s[2:3]
.LBB125_340:
	s_or_b64 exec, exec, s[8:9]
	v_mov_b32_e32 v6, 0
	ds_read_b128 v[196:199], v6 offset:576
	s_waitcnt lgkmcnt(0)
	v_mul_f64 v[6:7], v[4:5], v[198:199]
	v_mul_f64 v[200:201], v[2:3], v[198:199]
	v_fma_f64 v[198:199], v[2:3], v[196:197], -v[6:7]
	v_fmac_f64_e32 v[200:201], v[4:5], v[196:197]
	scratch_store_dwordx4 off, v[198:201], off offset:576
.LBB125_341:
	s_or_b64 exec, exec, s[4:5]
	scratch_load_dwordx4 v[2:5], v160, off
	v_cmp_lt_u32_e64 s[2:3], 35, v0
	s_waitcnt vmcnt(0)
	ds_write_b128 v9, v[2:5]
	s_waitcnt lgkmcnt(0)
	; wave barrier
	s_waitcnt lgkmcnt(0)
	s_and_saveexec_b64 s[4:5], s[2:3]
	s_cbranch_execz .LBB125_355
; %bb.342:
	ds_read_b128 v[2:5], v9
	s_andn2_b64 vcc, exec, s[6:7]
	s_cbranch_vccnz .LBB125_344
; %bb.343:
	scratch_load_dwordx4 v[196:199], v8, off
	s_waitcnt vmcnt(0) lgkmcnt(0)
	v_mul_f64 v[26:27], v[2:3], v[198:199]
	v_mul_f64 v[6:7], v[4:5], v[198:199]
	v_fmac_f64_e32 v[26:27], v[4:5], v[196:197]
	v_fma_f64 v[2:3], v[2:3], v[196:197], -v[6:7]
	v_mov_b64_e32 v[4:5], v[26:27]
.LBB125_344:
	s_and_saveexec_b64 s[8:9], s[0:1]
	s_cbranch_execz .LBB125_354
; %bb.345:
	v_subrev_u32_e32 v7, 37, v0
	v_subrev_u32_e32 v6, 36, v0
	v_cmp_lt_u32_e32 vcc, 6, v7
	v_mov_b32_e32 v196, 36
	s_and_saveexec_b64 s[0:1], vcc
	s_cbranch_execz .LBB125_349
; %bb.346:
	v_and_b32_e32 v7, -8, v6
	s_mov_b32 s12, 0
	s_mov_b64 s[10:11], 0
	v_mov_b32_e32 v195, 0
	s_mov_b32 s13, 0
.LBB125_347:                            ; =>This Inner Loop Header: Depth=1
	v_readfirstlane_b32 s14, v195
	s_add_i32 s14, s14, s12
	s_add_i32 s15, s14, 0x240
	v_mov_b32_e32 v13, s12
	ds_read_b128 v[196:199], v13 offset:1568
	ds_read_b128 v[200:203], v13 offset:1584
	;; [unrolled: 1-line block ×4, first 2 shown]
	scratch_load_dwordx4 v[212:215], off, s15
	s_add_i32 s15, s14, 0x250
	s_addk_i32 s12, 0x80
	s_waitcnt vmcnt(0) lgkmcnt(3)
	v_mul_f64 v[26:27], v[198:199], v[214:215]
	v_mul_f64 v[28:29], v[196:197], v[214:215]
	v_fma_f64 v[26:27], v[196:197], v[212:213], -v[26:27]
	v_fmac_f64_e32 v[28:29], v[198:199], v[212:213]
	v_add_f64 v[26:27], v[2:3], v[26:27]
	v_add_f64 v[28:29], v[4:5], v[28:29]
	scratch_load_dwordx4 v[2:5], off, s15
	s_add_i32 s15, s14, 0x260
	s_waitcnt vmcnt(0) lgkmcnt(2)
	v_mul_f64 v[36:37], v[202:203], v[4:5]
	v_mul_f64 v[4:5], v[200:201], v[4:5]
	v_fmac_f64_e32 v[4:5], v[202:203], v[2:3]
	v_fma_f64 v[36:37], v[200:201], v[2:3], -v[36:37]
	v_add_f64 v[28:29], v[28:29], v[4:5]
	scratch_load_dwordx4 v[2:5], off, s15
	v_add_f64 v[26:27], v[26:27], v[36:37]
	s_add_i32 s15, s14, 0x270
	s_waitcnt vmcnt(0) lgkmcnt(1)
	v_mul_f64 v[36:37], v[206:207], v[4:5]
	v_mul_f64 v[4:5], v[204:205], v[4:5]
	v_fmac_f64_e32 v[4:5], v[206:207], v[2:3]
	v_fma_f64 v[36:37], v[204:205], v[2:3], -v[36:37]
	v_add_f64 v[28:29], v[28:29], v[4:5]
	scratch_load_dwordx4 v[2:5], off, s15
	s_add_i32 s15, s14, 0x280
	scratch_load_dwordx4 v[196:199], off, s15
	v_add_f64 v[26:27], v[26:27], v[36:37]
	s_add_i32 s15, s14, 0x290
	s_waitcnt vmcnt(1) lgkmcnt(0)
	v_mul_f64 v[36:37], v[210:211], v[4:5]
	v_mul_f64 v[4:5], v[208:209], v[4:5]
	v_fmac_f64_e32 v[4:5], v[210:211], v[2:3]
	v_fma_f64 v[36:37], v[208:209], v[2:3], -v[36:37]
	v_add_f64 v[28:29], v[28:29], v[4:5]
	ds_read_b128 v[2:5], v13 offset:1632
	v_add_f64 v[26:27], v[26:27], v[36:37]
	s_waitcnt vmcnt(0) lgkmcnt(0)
	v_mul_f64 v[36:37], v[4:5], v[198:199]
	v_fma_f64 v[36:37], v[2:3], v[196:197], -v[36:37]
	v_mul_f64 v[2:3], v[2:3], v[198:199]
	v_fmac_f64_e32 v[2:3], v[4:5], v[196:197]
	scratch_load_dwordx4 v[196:199], off, s15
	v_add_f64 v[28:29], v[28:29], v[2:3]
	ds_read_b128 v[2:5], v13 offset:1648
	v_add_f64 v[26:27], v[26:27], v[36:37]
	s_add_i32 s15, s14, 0x2a0
	s_addk_i32 s14, 0x2b0
	s_waitcnt vmcnt(0) lgkmcnt(0)
	v_mul_f64 v[36:37], v[4:5], v[198:199]
	v_fma_f64 v[36:37], v[2:3], v[196:197], -v[36:37]
	v_mul_f64 v[2:3], v[2:3], v[198:199]
	v_fmac_f64_e32 v[2:3], v[4:5], v[196:197]
	scratch_load_dwordx4 v[196:199], off, s15
	v_add_f64 v[28:29], v[28:29], v[2:3]
	ds_read_b128 v[2:5], v13 offset:1664
	v_add_f64 v[26:27], v[26:27], v[36:37]
	s_waitcnt vmcnt(0) lgkmcnt(0)
	v_mul_f64 v[36:37], v[4:5], v[198:199]
	v_fma_f64 v[36:37], v[2:3], v[196:197], -v[36:37]
	v_mul_f64 v[2:3], v[2:3], v[198:199]
	v_fmac_f64_e32 v[2:3], v[4:5], v[196:197]
	scratch_load_dwordx4 v[196:199], off, s14
	v_add_f64 v[28:29], v[28:29], v[2:3]
	ds_read_b128 v[2:5], v13 offset:1680
	v_add_f64 v[26:27], v[26:27], v[36:37]
	s_add_i32 s14, s13, 8
	v_cmp_eq_u32_e32 vcc, s14, v7
	s_add_i32 s13, s13, 44
	s_or_b64 s[10:11], vcc, s[10:11]
	s_waitcnt vmcnt(0) lgkmcnt(0)
	v_mul_f64 v[36:37], v[4:5], v[198:199]
	v_mul_f64 v[138:139], v[2:3], v[198:199]
	v_fma_f64 v[36:37], v[2:3], v[196:197], -v[36:37]
	v_fmac_f64_e32 v[138:139], v[4:5], v[196:197]
	v_add_f64 v[2:3], v[26:27], v[36:37]
	v_add_f64 v[4:5], v[28:29], v[138:139]
	v_mov_b32_e32 v196, s13
	s_mov_b32 s13, s14
	s_andn2_b64 exec, exec, s[10:11]
	s_cbranch_execnz .LBB125_347
; %bb.348:
	s_or_b64 exec, exec, s[10:11]
.LBB125_349:
	s_or_b64 exec, exec, s[0:1]
	v_and_b32_e32 v6, 7, v6
	v_cmp_ne_u32_e32 vcc, 0, v6
	s_and_saveexec_b64 s[0:1], vcc
	s_cbranch_execz .LBB125_353
; %bb.350:
	v_lshlrev_b32_e32 v13, 4, v196
	v_add_u32_e32 v7, 0x3e0, v13
	v_add_u32_e32 v195, 0, v13
	s_mov_b64 s[10:11], 0
.LBB125_351:                            ; =>This Inner Loop Header: Depth=1
	scratch_load_dwordx4 v[196:199], v195, off
	ds_read_b128 v[200:203], v7
	v_add_u32_e32 v6, -1, v6
	v_cmp_eq_u32_e32 vcc, 0, v6
	v_add_u32_e32 v7, 16, v7
	v_add_u32_e32 v195, 16, v195
	s_or_b64 s[10:11], vcc, s[10:11]
	s_waitcnt vmcnt(0) lgkmcnt(0)
	v_mul_f64 v[26:27], v[202:203], v[198:199]
	v_mul_f64 v[28:29], v[200:201], v[198:199]
	v_fma_f64 v[26:27], v[200:201], v[196:197], -v[26:27]
	v_fmac_f64_e32 v[28:29], v[202:203], v[196:197]
	v_add_f64 v[2:3], v[2:3], v[26:27]
	v_add_f64 v[4:5], v[4:5], v[28:29]
	s_andn2_b64 exec, exec, s[10:11]
	s_cbranch_execnz .LBB125_351
; %bb.352:
	s_or_b64 exec, exec, s[10:11]
.LBB125_353:
	s_or_b64 exec, exec, s[0:1]
.LBB125_354:
	s_or_b64 exec, exec, s[8:9]
	v_mov_b32_e32 v6, 0
	ds_read_b128 v[196:199], v6 offset:560
	s_waitcnt lgkmcnt(0)
	v_mul_f64 v[6:7], v[4:5], v[198:199]
	v_mul_f64 v[200:201], v[2:3], v[198:199]
	v_fma_f64 v[198:199], v[2:3], v[196:197], -v[6:7]
	v_fmac_f64_e32 v[200:201], v[4:5], v[196:197]
	scratch_store_dwordx4 off, v[198:201], off offset:560
.LBB125_355:
	s_or_b64 exec, exec, s[4:5]
	scratch_load_dwordx4 v[2:5], v161, off
	v_cmp_lt_u32_e64 s[0:1], 34, v0
	s_waitcnt vmcnt(0)
	ds_write_b128 v9, v[2:5]
	s_waitcnt lgkmcnt(0)
	; wave barrier
	s_waitcnt lgkmcnt(0)
	s_and_saveexec_b64 s[4:5], s[0:1]
	s_cbranch_execz .LBB125_369
; %bb.356:
	ds_read_b128 v[2:5], v9
	s_andn2_b64 vcc, exec, s[6:7]
	s_cbranch_vccnz .LBB125_358
; %bb.357:
	scratch_load_dwordx4 v[196:199], v8, off
	s_waitcnt vmcnt(0) lgkmcnt(0)
	v_mul_f64 v[26:27], v[2:3], v[198:199]
	v_mul_f64 v[6:7], v[4:5], v[198:199]
	v_fmac_f64_e32 v[26:27], v[4:5], v[196:197]
	v_fma_f64 v[2:3], v[2:3], v[196:197], -v[6:7]
	v_mov_b64_e32 v[4:5], v[26:27]
.LBB125_358:
	s_and_saveexec_b64 s[8:9], s[2:3]
	s_cbranch_execz .LBB125_368
; %bb.359:
	v_subrev_u32_e32 v7, 36, v0
	v_subrev_u32_e32 v6, 35, v0
	v_cmp_lt_u32_e32 vcc, 6, v7
	v_mov_b32_e32 v196, 35
	s_and_saveexec_b64 s[2:3], vcc
	s_cbranch_execz .LBB125_363
; %bb.360:
	v_and_b32_e32 v7, -8, v6
	s_mov_b32 s12, 0
	s_mov_b64 s[10:11], 0
	v_mov_b32_e32 v195, 0
	s_mov_b32 s13, 0
.LBB125_361:                            ; =>This Inner Loop Header: Depth=1
	v_readfirstlane_b32 s14, v195
	s_add_i32 s14, s14, s12
	s_add_i32 s15, s14, 0x230
	v_mov_b32_e32 v13, s12
	ds_read_b128 v[196:199], v13 offset:1552
	ds_read_b128 v[200:203], v13 offset:1568
	;; [unrolled: 1-line block ×4, first 2 shown]
	scratch_load_dwordx4 v[212:215], off, s15
	s_add_i32 s15, s14, 0x240
	s_addk_i32 s12, 0x80
	s_waitcnt vmcnt(0) lgkmcnt(3)
	v_mul_f64 v[26:27], v[198:199], v[214:215]
	v_mul_f64 v[28:29], v[196:197], v[214:215]
	v_fma_f64 v[26:27], v[196:197], v[212:213], -v[26:27]
	v_fmac_f64_e32 v[28:29], v[198:199], v[212:213]
	v_add_f64 v[26:27], v[2:3], v[26:27]
	v_add_f64 v[28:29], v[4:5], v[28:29]
	scratch_load_dwordx4 v[2:5], off, s15
	s_add_i32 s15, s14, 0x250
	s_waitcnt vmcnt(0) lgkmcnt(2)
	v_mul_f64 v[36:37], v[202:203], v[4:5]
	v_mul_f64 v[4:5], v[200:201], v[4:5]
	v_fmac_f64_e32 v[4:5], v[202:203], v[2:3]
	v_fma_f64 v[36:37], v[200:201], v[2:3], -v[36:37]
	v_add_f64 v[28:29], v[28:29], v[4:5]
	scratch_load_dwordx4 v[2:5], off, s15
	v_add_f64 v[26:27], v[26:27], v[36:37]
	s_add_i32 s15, s14, 0x260
	s_waitcnt vmcnt(0) lgkmcnt(1)
	v_mul_f64 v[36:37], v[206:207], v[4:5]
	v_mul_f64 v[4:5], v[204:205], v[4:5]
	v_fmac_f64_e32 v[4:5], v[206:207], v[2:3]
	v_fma_f64 v[36:37], v[204:205], v[2:3], -v[36:37]
	v_add_f64 v[28:29], v[28:29], v[4:5]
	scratch_load_dwordx4 v[2:5], off, s15
	s_add_i32 s15, s14, 0x270
	scratch_load_dwordx4 v[196:199], off, s15
	v_add_f64 v[26:27], v[26:27], v[36:37]
	s_add_i32 s15, s14, 0x280
	s_waitcnt vmcnt(1) lgkmcnt(0)
	v_mul_f64 v[36:37], v[210:211], v[4:5]
	v_mul_f64 v[4:5], v[208:209], v[4:5]
	v_fmac_f64_e32 v[4:5], v[210:211], v[2:3]
	v_fma_f64 v[36:37], v[208:209], v[2:3], -v[36:37]
	v_add_f64 v[28:29], v[28:29], v[4:5]
	ds_read_b128 v[2:5], v13 offset:1616
	v_add_f64 v[26:27], v[26:27], v[36:37]
	s_waitcnt vmcnt(0) lgkmcnt(0)
	v_mul_f64 v[36:37], v[4:5], v[198:199]
	v_fma_f64 v[36:37], v[2:3], v[196:197], -v[36:37]
	v_mul_f64 v[2:3], v[2:3], v[198:199]
	v_fmac_f64_e32 v[2:3], v[4:5], v[196:197]
	scratch_load_dwordx4 v[196:199], off, s15
	v_add_f64 v[28:29], v[28:29], v[2:3]
	ds_read_b128 v[2:5], v13 offset:1632
	v_add_f64 v[26:27], v[26:27], v[36:37]
	s_add_i32 s15, s14, 0x290
	s_addk_i32 s14, 0x2a0
	s_waitcnt vmcnt(0) lgkmcnt(0)
	v_mul_f64 v[36:37], v[4:5], v[198:199]
	v_fma_f64 v[36:37], v[2:3], v[196:197], -v[36:37]
	v_mul_f64 v[2:3], v[2:3], v[198:199]
	v_fmac_f64_e32 v[2:3], v[4:5], v[196:197]
	scratch_load_dwordx4 v[196:199], off, s15
	v_add_f64 v[28:29], v[28:29], v[2:3]
	ds_read_b128 v[2:5], v13 offset:1648
	v_add_f64 v[26:27], v[26:27], v[36:37]
	s_waitcnt vmcnt(0) lgkmcnt(0)
	v_mul_f64 v[36:37], v[4:5], v[198:199]
	v_fma_f64 v[36:37], v[2:3], v[196:197], -v[36:37]
	v_mul_f64 v[2:3], v[2:3], v[198:199]
	v_fmac_f64_e32 v[2:3], v[4:5], v[196:197]
	scratch_load_dwordx4 v[196:199], off, s14
	v_add_f64 v[28:29], v[28:29], v[2:3]
	ds_read_b128 v[2:5], v13 offset:1664
	v_add_f64 v[26:27], v[26:27], v[36:37]
	s_add_i32 s14, s13, 8
	v_cmp_eq_u32_e32 vcc, s14, v7
	s_add_i32 s13, s13, 43
	s_or_b64 s[10:11], vcc, s[10:11]
	s_waitcnt vmcnt(0) lgkmcnt(0)
	v_mul_f64 v[36:37], v[4:5], v[198:199]
	v_mul_f64 v[138:139], v[2:3], v[198:199]
	v_fma_f64 v[36:37], v[2:3], v[196:197], -v[36:37]
	v_fmac_f64_e32 v[138:139], v[4:5], v[196:197]
	v_add_f64 v[2:3], v[26:27], v[36:37]
	v_add_f64 v[4:5], v[28:29], v[138:139]
	v_mov_b32_e32 v196, s13
	s_mov_b32 s13, s14
	s_andn2_b64 exec, exec, s[10:11]
	s_cbranch_execnz .LBB125_361
; %bb.362:
	s_or_b64 exec, exec, s[10:11]
.LBB125_363:
	s_or_b64 exec, exec, s[2:3]
	v_and_b32_e32 v6, 7, v6
	v_cmp_ne_u32_e32 vcc, 0, v6
	s_and_saveexec_b64 s[2:3], vcc
	s_cbranch_execz .LBB125_367
; %bb.364:
	v_lshlrev_b32_e32 v13, 4, v196
	v_add_u32_e32 v7, 0x3e0, v13
	v_add_u32_e32 v195, 0, v13
	s_mov_b64 s[10:11], 0
.LBB125_365:                            ; =>This Inner Loop Header: Depth=1
	scratch_load_dwordx4 v[196:199], v195, off
	ds_read_b128 v[200:203], v7
	v_add_u32_e32 v6, -1, v6
	v_cmp_eq_u32_e32 vcc, 0, v6
	v_add_u32_e32 v7, 16, v7
	v_add_u32_e32 v195, 16, v195
	s_or_b64 s[10:11], vcc, s[10:11]
	s_waitcnt vmcnt(0) lgkmcnt(0)
	v_mul_f64 v[26:27], v[202:203], v[198:199]
	v_mul_f64 v[28:29], v[200:201], v[198:199]
	v_fma_f64 v[26:27], v[200:201], v[196:197], -v[26:27]
	v_fmac_f64_e32 v[28:29], v[202:203], v[196:197]
	v_add_f64 v[2:3], v[2:3], v[26:27]
	v_add_f64 v[4:5], v[4:5], v[28:29]
	s_andn2_b64 exec, exec, s[10:11]
	s_cbranch_execnz .LBB125_365
; %bb.366:
	s_or_b64 exec, exec, s[10:11]
.LBB125_367:
	s_or_b64 exec, exec, s[2:3]
.LBB125_368:
	s_or_b64 exec, exec, s[8:9]
	v_mov_b32_e32 v6, 0
	ds_read_b128 v[196:199], v6 offset:544
	s_waitcnt lgkmcnt(0)
	v_mul_f64 v[6:7], v[4:5], v[198:199]
	v_mul_f64 v[200:201], v[2:3], v[198:199]
	v_fma_f64 v[198:199], v[2:3], v[196:197], -v[6:7]
	v_fmac_f64_e32 v[200:201], v[4:5], v[196:197]
	scratch_store_dwordx4 off, v[198:201], off offset:544
.LBB125_369:
	s_or_b64 exec, exec, s[4:5]
	scratch_load_dwordx4 v[2:5], v162, off
	v_cmp_lt_u32_e64 s[2:3], 33, v0
	s_waitcnt vmcnt(0)
	ds_write_b128 v9, v[2:5]
	s_waitcnt lgkmcnt(0)
	; wave barrier
	s_waitcnt lgkmcnt(0)
	s_and_saveexec_b64 s[4:5], s[2:3]
	s_cbranch_execz .LBB125_383
; %bb.370:
	ds_read_b128 v[2:5], v9
	s_andn2_b64 vcc, exec, s[6:7]
	s_cbranch_vccnz .LBB125_372
; %bb.371:
	scratch_load_dwordx4 v[196:199], v8, off
	s_waitcnt vmcnt(0) lgkmcnt(0)
	v_mul_f64 v[26:27], v[2:3], v[198:199]
	v_mul_f64 v[6:7], v[4:5], v[198:199]
	v_fmac_f64_e32 v[26:27], v[4:5], v[196:197]
	v_fma_f64 v[2:3], v[2:3], v[196:197], -v[6:7]
	v_mov_b64_e32 v[4:5], v[26:27]
.LBB125_372:
	s_and_saveexec_b64 s[8:9], s[0:1]
	s_cbranch_execz .LBB125_382
; %bb.373:
	v_subrev_u32_e32 v7, 35, v0
	v_subrev_u32_e32 v6, 34, v0
	v_cmp_lt_u32_e32 vcc, 6, v7
	v_mov_b32_e32 v196, 34
	s_and_saveexec_b64 s[0:1], vcc
	s_cbranch_execz .LBB125_377
; %bb.374:
	v_and_b32_e32 v7, -8, v6
	s_mov_b32 s12, 0
	s_mov_b64 s[10:11], 0
	v_mov_b32_e32 v195, 0
	s_mov_b32 s13, 0
.LBB125_375:                            ; =>This Inner Loop Header: Depth=1
	v_readfirstlane_b32 s14, v195
	s_add_i32 s14, s14, s12
	s_add_i32 s15, s14, 0x220
	v_mov_b32_e32 v13, s12
	ds_read_b128 v[196:199], v13 offset:1536
	ds_read_b128 v[200:203], v13 offset:1552
	;; [unrolled: 1-line block ×4, first 2 shown]
	scratch_load_dwordx4 v[212:215], off, s15
	s_add_i32 s15, s14, 0x230
	s_addk_i32 s12, 0x80
	s_waitcnt vmcnt(0) lgkmcnt(3)
	v_mul_f64 v[26:27], v[198:199], v[214:215]
	v_mul_f64 v[28:29], v[196:197], v[214:215]
	v_fma_f64 v[26:27], v[196:197], v[212:213], -v[26:27]
	v_fmac_f64_e32 v[28:29], v[198:199], v[212:213]
	v_add_f64 v[26:27], v[2:3], v[26:27]
	v_add_f64 v[28:29], v[4:5], v[28:29]
	scratch_load_dwordx4 v[2:5], off, s15
	s_add_i32 s15, s14, 0x240
	s_waitcnt vmcnt(0) lgkmcnt(2)
	v_mul_f64 v[36:37], v[202:203], v[4:5]
	v_mul_f64 v[4:5], v[200:201], v[4:5]
	v_fmac_f64_e32 v[4:5], v[202:203], v[2:3]
	v_fma_f64 v[36:37], v[200:201], v[2:3], -v[36:37]
	v_add_f64 v[28:29], v[28:29], v[4:5]
	scratch_load_dwordx4 v[2:5], off, s15
	v_add_f64 v[26:27], v[26:27], v[36:37]
	s_add_i32 s15, s14, 0x250
	s_waitcnt vmcnt(0) lgkmcnt(1)
	v_mul_f64 v[36:37], v[206:207], v[4:5]
	v_mul_f64 v[4:5], v[204:205], v[4:5]
	v_fmac_f64_e32 v[4:5], v[206:207], v[2:3]
	v_fma_f64 v[36:37], v[204:205], v[2:3], -v[36:37]
	v_add_f64 v[28:29], v[28:29], v[4:5]
	scratch_load_dwordx4 v[2:5], off, s15
	s_add_i32 s15, s14, 0x260
	scratch_load_dwordx4 v[196:199], off, s15
	v_add_f64 v[26:27], v[26:27], v[36:37]
	s_add_i32 s15, s14, 0x270
	s_waitcnt vmcnt(1) lgkmcnt(0)
	v_mul_f64 v[36:37], v[210:211], v[4:5]
	v_mul_f64 v[4:5], v[208:209], v[4:5]
	v_fmac_f64_e32 v[4:5], v[210:211], v[2:3]
	v_fma_f64 v[36:37], v[208:209], v[2:3], -v[36:37]
	v_add_f64 v[28:29], v[28:29], v[4:5]
	ds_read_b128 v[2:5], v13 offset:1600
	v_add_f64 v[26:27], v[26:27], v[36:37]
	s_waitcnt vmcnt(0) lgkmcnt(0)
	v_mul_f64 v[36:37], v[4:5], v[198:199]
	v_fma_f64 v[36:37], v[2:3], v[196:197], -v[36:37]
	v_mul_f64 v[2:3], v[2:3], v[198:199]
	v_fmac_f64_e32 v[2:3], v[4:5], v[196:197]
	scratch_load_dwordx4 v[196:199], off, s15
	v_add_f64 v[28:29], v[28:29], v[2:3]
	ds_read_b128 v[2:5], v13 offset:1616
	v_add_f64 v[26:27], v[26:27], v[36:37]
	s_add_i32 s15, s14, 0x280
	s_addk_i32 s14, 0x290
	s_waitcnt vmcnt(0) lgkmcnt(0)
	v_mul_f64 v[36:37], v[4:5], v[198:199]
	v_fma_f64 v[36:37], v[2:3], v[196:197], -v[36:37]
	v_mul_f64 v[2:3], v[2:3], v[198:199]
	v_fmac_f64_e32 v[2:3], v[4:5], v[196:197]
	scratch_load_dwordx4 v[196:199], off, s15
	v_add_f64 v[28:29], v[28:29], v[2:3]
	ds_read_b128 v[2:5], v13 offset:1632
	v_add_f64 v[26:27], v[26:27], v[36:37]
	s_waitcnt vmcnt(0) lgkmcnt(0)
	v_mul_f64 v[36:37], v[4:5], v[198:199]
	v_fma_f64 v[36:37], v[2:3], v[196:197], -v[36:37]
	v_mul_f64 v[2:3], v[2:3], v[198:199]
	v_fmac_f64_e32 v[2:3], v[4:5], v[196:197]
	scratch_load_dwordx4 v[196:199], off, s14
	v_add_f64 v[28:29], v[28:29], v[2:3]
	ds_read_b128 v[2:5], v13 offset:1648
	v_add_f64 v[26:27], v[26:27], v[36:37]
	s_add_i32 s14, s13, 8
	v_cmp_eq_u32_e32 vcc, s14, v7
	s_add_i32 s13, s13, 42
	s_or_b64 s[10:11], vcc, s[10:11]
	s_waitcnt vmcnt(0) lgkmcnt(0)
	v_mul_f64 v[36:37], v[4:5], v[198:199]
	v_mul_f64 v[138:139], v[2:3], v[198:199]
	v_fma_f64 v[36:37], v[2:3], v[196:197], -v[36:37]
	v_fmac_f64_e32 v[138:139], v[4:5], v[196:197]
	v_add_f64 v[2:3], v[26:27], v[36:37]
	v_add_f64 v[4:5], v[28:29], v[138:139]
	v_mov_b32_e32 v196, s13
	s_mov_b32 s13, s14
	s_andn2_b64 exec, exec, s[10:11]
	s_cbranch_execnz .LBB125_375
; %bb.376:
	s_or_b64 exec, exec, s[10:11]
.LBB125_377:
	s_or_b64 exec, exec, s[0:1]
	v_and_b32_e32 v6, 7, v6
	v_cmp_ne_u32_e32 vcc, 0, v6
	s_and_saveexec_b64 s[0:1], vcc
	s_cbranch_execz .LBB125_381
; %bb.378:
	v_lshlrev_b32_e32 v13, 4, v196
	v_add_u32_e32 v7, 0x3e0, v13
	v_add_u32_e32 v195, 0, v13
	s_mov_b64 s[10:11], 0
.LBB125_379:                            ; =>This Inner Loop Header: Depth=1
	scratch_load_dwordx4 v[196:199], v195, off
	ds_read_b128 v[200:203], v7
	v_add_u32_e32 v6, -1, v6
	v_cmp_eq_u32_e32 vcc, 0, v6
	v_add_u32_e32 v7, 16, v7
	v_add_u32_e32 v195, 16, v195
	s_or_b64 s[10:11], vcc, s[10:11]
	s_waitcnt vmcnt(0) lgkmcnt(0)
	v_mul_f64 v[26:27], v[202:203], v[198:199]
	v_mul_f64 v[28:29], v[200:201], v[198:199]
	v_fma_f64 v[26:27], v[200:201], v[196:197], -v[26:27]
	v_fmac_f64_e32 v[28:29], v[202:203], v[196:197]
	v_add_f64 v[2:3], v[2:3], v[26:27]
	v_add_f64 v[4:5], v[4:5], v[28:29]
	s_andn2_b64 exec, exec, s[10:11]
	s_cbranch_execnz .LBB125_379
; %bb.380:
	s_or_b64 exec, exec, s[10:11]
.LBB125_381:
	s_or_b64 exec, exec, s[0:1]
.LBB125_382:
	s_or_b64 exec, exec, s[8:9]
	v_mov_b32_e32 v6, 0
	ds_read_b128 v[196:199], v6 offset:528
	s_waitcnt lgkmcnt(0)
	v_mul_f64 v[6:7], v[4:5], v[198:199]
	v_mul_f64 v[200:201], v[2:3], v[198:199]
	v_fma_f64 v[198:199], v[2:3], v[196:197], -v[6:7]
	v_fmac_f64_e32 v[200:201], v[4:5], v[196:197]
	scratch_store_dwordx4 off, v[198:201], off offset:528
.LBB125_383:
	s_or_b64 exec, exec, s[4:5]
	scratch_load_dwordx4 v[2:5], v163, off
	v_cmp_lt_u32_e64 s[0:1], 32, v0
	s_waitcnt vmcnt(0)
	ds_write_b128 v9, v[2:5]
	s_waitcnt lgkmcnt(0)
	; wave barrier
	s_waitcnt lgkmcnt(0)
	s_and_saveexec_b64 s[4:5], s[0:1]
	s_cbranch_execz .LBB125_397
; %bb.384:
	ds_read_b128 v[2:5], v9
	s_andn2_b64 vcc, exec, s[6:7]
	s_cbranch_vccnz .LBB125_386
; %bb.385:
	scratch_load_dwordx4 v[196:199], v8, off
	s_waitcnt vmcnt(0) lgkmcnt(0)
	v_mul_f64 v[26:27], v[2:3], v[198:199]
	v_mul_f64 v[6:7], v[4:5], v[198:199]
	v_fmac_f64_e32 v[26:27], v[4:5], v[196:197]
	v_fma_f64 v[2:3], v[2:3], v[196:197], -v[6:7]
	v_mov_b64_e32 v[4:5], v[26:27]
.LBB125_386:
	s_and_saveexec_b64 s[8:9], s[2:3]
	s_cbranch_execz .LBB125_396
; %bb.387:
	v_subrev_u32_e32 v7, 34, v0
	v_subrev_u32_e32 v6, 33, v0
	v_cmp_lt_u32_e32 vcc, 6, v7
	v_mov_b32_e32 v196, 33
	s_and_saveexec_b64 s[2:3], vcc
	s_cbranch_execz .LBB125_391
; %bb.388:
	v_and_b32_e32 v7, -8, v6
	s_mov_b32 s12, 0
	s_mov_b64 s[10:11], 0
	v_mov_b32_e32 v195, 0
	s_mov_b32 s13, 0
.LBB125_389:                            ; =>This Inner Loop Header: Depth=1
	v_readfirstlane_b32 s14, v195
	s_add_i32 s14, s14, s12
	s_add_i32 s15, s14, 0x210
	v_mov_b32_e32 v13, s12
	ds_read_b128 v[196:199], v13 offset:1520
	ds_read_b128 v[200:203], v13 offset:1536
	ds_read_b128 v[204:207], v13 offset:1552
	ds_read_b128 v[208:211], v13 offset:1568
	scratch_load_dwordx4 v[212:215], off, s15
	s_add_i32 s15, s14, 0x220
	s_addk_i32 s12, 0x80
	s_waitcnt vmcnt(0) lgkmcnt(3)
	v_mul_f64 v[26:27], v[198:199], v[214:215]
	v_mul_f64 v[28:29], v[196:197], v[214:215]
	v_fma_f64 v[26:27], v[196:197], v[212:213], -v[26:27]
	v_fmac_f64_e32 v[28:29], v[198:199], v[212:213]
	v_add_f64 v[26:27], v[2:3], v[26:27]
	v_add_f64 v[28:29], v[4:5], v[28:29]
	scratch_load_dwordx4 v[2:5], off, s15
	s_add_i32 s15, s14, 0x230
	s_waitcnt vmcnt(0) lgkmcnt(2)
	v_mul_f64 v[36:37], v[202:203], v[4:5]
	v_mul_f64 v[4:5], v[200:201], v[4:5]
	v_fmac_f64_e32 v[4:5], v[202:203], v[2:3]
	v_fma_f64 v[36:37], v[200:201], v[2:3], -v[36:37]
	v_add_f64 v[28:29], v[28:29], v[4:5]
	scratch_load_dwordx4 v[2:5], off, s15
	v_add_f64 v[26:27], v[26:27], v[36:37]
	s_add_i32 s15, s14, 0x240
	s_waitcnt vmcnt(0) lgkmcnt(1)
	v_mul_f64 v[36:37], v[206:207], v[4:5]
	v_mul_f64 v[4:5], v[204:205], v[4:5]
	v_fmac_f64_e32 v[4:5], v[206:207], v[2:3]
	v_fma_f64 v[36:37], v[204:205], v[2:3], -v[36:37]
	v_add_f64 v[28:29], v[28:29], v[4:5]
	scratch_load_dwordx4 v[2:5], off, s15
	s_add_i32 s15, s14, 0x250
	scratch_load_dwordx4 v[196:199], off, s15
	v_add_f64 v[26:27], v[26:27], v[36:37]
	s_add_i32 s15, s14, 0x260
	s_waitcnt vmcnt(1) lgkmcnt(0)
	v_mul_f64 v[36:37], v[210:211], v[4:5]
	v_mul_f64 v[4:5], v[208:209], v[4:5]
	v_fmac_f64_e32 v[4:5], v[210:211], v[2:3]
	v_fma_f64 v[36:37], v[208:209], v[2:3], -v[36:37]
	v_add_f64 v[28:29], v[28:29], v[4:5]
	ds_read_b128 v[2:5], v13 offset:1584
	v_add_f64 v[26:27], v[26:27], v[36:37]
	s_waitcnt vmcnt(0) lgkmcnt(0)
	v_mul_f64 v[36:37], v[4:5], v[198:199]
	v_fma_f64 v[36:37], v[2:3], v[196:197], -v[36:37]
	v_mul_f64 v[2:3], v[2:3], v[198:199]
	v_fmac_f64_e32 v[2:3], v[4:5], v[196:197]
	scratch_load_dwordx4 v[196:199], off, s15
	v_add_f64 v[28:29], v[28:29], v[2:3]
	ds_read_b128 v[2:5], v13 offset:1600
	v_add_f64 v[26:27], v[26:27], v[36:37]
	s_add_i32 s15, s14, 0x270
	s_addk_i32 s14, 0x280
	s_waitcnt vmcnt(0) lgkmcnt(0)
	v_mul_f64 v[36:37], v[4:5], v[198:199]
	v_fma_f64 v[36:37], v[2:3], v[196:197], -v[36:37]
	v_mul_f64 v[2:3], v[2:3], v[198:199]
	v_fmac_f64_e32 v[2:3], v[4:5], v[196:197]
	scratch_load_dwordx4 v[196:199], off, s15
	v_add_f64 v[28:29], v[28:29], v[2:3]
	ds_read_b128 v[2:5], v13 offset:1616
	v_add_f64 v[26:27], v[26:27], v[36:37]
	s_waitcnt vmcnt(0) lgkmcnt(0)
	v_mul_f64 v[36:37], v[4:5], v[198:199]
	v_fma_f64 v[36:37], v[2:3], v[196:197], -v[36:37]
	v_mul_f64 v[2:3], v[2:3], v[198:199]
	v_fmac_f64_e32 v[2:3], v[4:5], v[196:197]
	scratch_load_dwordx4 v[196:199], off, s14
	v_add_f64 v[28:29], v[28:29], v[2:3]
	ds_read_b128 v[2:5], v13 offset:1632
	v_add_f64 v[26:27], v[26:27], v[36:37]
	s_add_i32 s14, s13, 8
	v_cmp_eq_u32_e32 vcc, s14, v7
	s_add_i32 s13, s13, 41
	s_or_b64 s[10:11], vcc, s[10:11]
	s_waitcnt vmcnt(0) lgkmcnt(0)
	v_mul_f64 v[36:37], v[4:5], v[198:199]
	v_mul_f64 v[138:139], v[2:3], v[198:199]
	v_fma_f64 v[36:37], v[2:3], v[196:197], -v[36:37]
	v_fmac_f64_e32 v[138:139], v[4:5], v[196:197]
	v_add_f64 v[2:3], v[26:27], v[36:37]
	v_add_f64 v[4:5], v[28:29], v[138:139]
	v_mov_b32_e32 v196, s13
	s_mov_b32 s13, s14
	s_andn2_b64 exec, exec, s[10:11]
	s_cbranch_execnz .LBB125_389
; %bb.390:
	s_or_b64 exec, exec, s[10:11]
.LBB125_391:
	s_or_b64 exec, exec, s[2:3]
	v_and_b32_e32 v6, 7, v6
	v_cmp_ne_u32_e32 vcc, 0, v6
	s_and_saveexec_b64 s[2:3], vcc
	s_cbranch_execz .LBB125_395
; %bb.392:
	v_lshlrev_b32_e32 v13, 4, v196
	v_add_u32_e32 v7, 0x3e0, v13
	v_add_u32_e32 v195, 0, v13
	s_mov_b64 s[10:11], 0
.LBB125_393:                            ; =>This Inner Loop Header: Depth=1
	scratch_load_dwordx4 v[196:199], v195, off
	ds_read_b128 v[200:203], v7
	v_add_u32_e32 v6, -1, v6
	v_cmp_eq_u32_e32 vcc, 0, v6
	v_add_u32_e32 v7, 16, v7
	v_add_u32_e32 v195, 16, v195
	s_or_b64 s[10:11], vcc, s[10:11]
	s_waitcnt vmcnt(0) lgkmcnt(0)
	v_mul_f64 v[26:27], v[202:203], v[198:199]
	v_mul_f64 v[28:29], v[200:201], v[198:199]
	v_fma_f64 v[26:27], v[200:201], v[196:197], -v[26:27]
	v_fmac_f64_e32 v[28:29], v[202:203], v[196:197]
	v_add_f64 v[2:3], v[2:3], v[26:27]
	v_add_f64 v[4:5], v[4:5], v[28:29]
	s_andn2_b64 exec, exec, s[10:11]
	s_cbranch_execnz .LBB125_393
; %bb.394:
	s_or_b64 exec, exec, s[10:11]
.LBB125_395:
	s_or_b64 exec, exec, s[2:3]
.LBB125_396:
	s_or_b64 exec, exec, s[8:9]
	v_mov_b32_e32 v6, 0
	ds_read_b128 v[196:199], v6 offset:512
	s_waitcnt lgkmcnt(0)
	v_mul_f64 v[6:7], v[4:5], v[198:199]
	v_mul_f64 v[200:201], v[2:3], v[198:199]
	v_fma_f64 v[198:199], v[2:3], v[196:197], -v[6:7]
	v_fmac_f64_e32 v[200:201], v[4:5], v[196:197]
	scratch_store_dwordx4 off, v[198:201], off offset:512
.LBB125_397:
	s_or_b64 exec, exec, s[4:5]
	scratch_load_dwordx4 v[2:5], v164, off
	v_cmp_lt_u32_e64 s[2:3], 31, v0
	s_waitcnt vmcnt(0)
	ds_write_b128 v9, v[2:5]
	s_waitcnt lgkmcnt(0)
	; wave barrier
	s_waitcnt lgkmcnt(0)
	s_and_saveexec_b64 s[4:5], s[2:3]
	s_cbranch_execz .LBB125_411
; %bb.398:
	ds_read_b128 v[2:5], v9
	s_andn2_b64 vcc, exec, s[6:7]
	s_cbranch_vccnz .LBB125_400
; %bb.399:
	scratch_load_dwordx4 v[196:199], v8, off
	s_waitcnt vmcnt(0) lgkmcnt(0)
	v_mul_f64 v[26:27], v[2:3], v[198:199]
	v_mul_f64 v[6:7], v[4:5], v[198:199]
	v_fmac_f64_e32 v[26:27], v[4:5], v[196:197]
	v_fma_f64 v[2:3], v[2:3], v[196:197], -v[6:7]
	v_mov_b64_e32 v[4:5], v[26:27]
.LBB125_400:
	s_and_saveexec_b64 s[8:9], s[0:1]
	s_cbranch_execz .LBB125_410
; %bb.401:
	v_subrev_u32_e32 v6, 33, v0
	v_cmp_lt_u32_e32 vcc, 6, v6
	v_mov_b32_e32 v6, 32
	s_and_saveexec_b64 s[0:1], vcc
	s_cbranch_execz .LBB125_405
; %bb.402:
	v_and_b32_e32 v6, 56, v0
	s_mov_b32 s12, 32
	s_mov_b32 s13, 0
	s_mov_b64 s[10:11], 0
	v_mov_b32_e32 v7, 0
.LBB125_403:                            ; =>This Inner Loop Header: Depth=1
	s_nop 0
	v_readfirstlane_b32 s14, v7
	s_add_i32 s14, s14, s13
	s_add_i32 s15, s14, 0x200
	v_mov_b32_e32 v13, s13
	ds_read_b128 v[196:199], v13 offset:1504
	ds_read_b128 v[200:203], v13 offset:1520
	;; [unrolled: 1-line block ×4, first 2 shown]
	scratch_load_dwordx4 v[212:215], off, s15
	s_add_i32 s15, s14, 0x210
	s_add_i32 s12, s12, 8
	s_addk_i32 s13, 0x80
	v_cmp_eq_u32_e32 vcc, s12, v6
	s_waitcnt vmcnt(0) lgkmcnt(3)
	v_mul_f64 v[26:27], v[198:199], v[214:215]
	v_mul_f64 v[28:29], v[196:197], v[214:215]
	v_fma_f64 v[26:27], v[196:197], v[212:213], -v[26:27]
	v_fmac_f64_e32 v[28:29], v[198:199], v[212:213]
	v_add_f64 v[26:27], v[2:3], v[26:27]
	v_add_f64 v[28:29], v[4:5], v[28:29]
	scratch_load_dwordx4 v[2:5], off, s15
	s_add_i32 s15, s14, 0x220
	s_waitcnt vmcnt(0) lgkmcnt(2)
	v_mul_f64 v[36:37], v[202:203], v[4:5]
	v_mul_f64 v[4:5], v[200:201], v[4:5]
	v_fmac_f64_e32 v[4:5], v[202:203], v[2:3]
	v_fma_f64 v[36:37], v[200:201], v[2:3], -v[36:37]
	v_add_f64 v[28:29], v[28:29], v[4:5]
	scratch_load_dwordx4 v[2:5], off, s15
	v_add_f64 v[26:27], v[26:27], v[36:37]
	s_add_i32 s15, s14, 0x230
	s_waitcnt vmcnt(0) lgkmcnt(1)
	v_mul_f64 v[36:37], v[206:207], v[4:5]
	v_mul_f64 v[4:5], v[204:205], v[4:5]
	v_fmac_f64_e32 v[4:5], v[206:207], v[2:3]
	v_fma_f64 v[36:37], v[204:205], v[2:3], -v[36:37]
	v_add_f64 v[28:29], v[28:29], v[4:5]
	scratch_load_dwordx4 v[2:5], off, s15
	s_add_i32 s15, s14, 0x240
	scratch_load_dwordx4 v[196:199], off, s15
	v_add_f64 v[26:27], v[26:27], v[36:37]
	s_add_i32 s15, s14, 0x250
	s_waitcnt vmcnt(1) lgkmcnt(0)
	v_mul_f64 v[36:37], v[210:211], v[4:5]
	v_mul_f64 v[4:5], v[208:209], v[4:5]
	v_fmac_f64_e32 v[4:5], v[210:211], v[2:3]
	v_fma_f64 v[36:37], v[208:209], v[2:3], -v[36:37]
	v_add_f64 v[28:29], v[28:29], v[4:5]
	ds_read_b128 v[2:5], v13 offset:1568
	v_add_f64 v[26:27], v[26:27], v[36:37]
	s_waitcnt vmcnt(0) lgkmcnt(0)
	v_mul_f64 v[36:37], v[4:5], v[198:199]
	v_fma_f64 v[36:37], v[2:3], v[196:197], -v[36:37]
	v_mul_f64 v[2:3], v[2:3], v[198:199]
	v_fmac_f64_e32 v[2:3], v[4:5], v[196:197]
	scratch_load_dwordx4 v[196:199], off, s15
	v_add_f64 v[28:29], v[28:29], v[2:3]
	ds_read_b128 v[2:5], v13 offset:1584
	v_add_f64 v[26:27], v[26:27], v[36:37]
	s_add_i32 s15, s14, 0x260
	s_addk_i32 s14, 0x270
	s_or_b64 s[10:11], vcc, s[10:11]
	s_waitcnt vmcnt(0) lgkmcnt(0)
	v_mul_f64 v[36:37], v[4:5], v[198:199]
	v_fma_f64 v[36:37], v[2:3], v[196:197], -v[36:37]
	v_mul_f64 v[2:3], v[2:3], v[198:199]
	v_fmac_f64_e32 v[2:3], v[4:5], v[196:197]
	scratch_load_dwordx4 v[196:199], off, s15
	v_add_f64 v[28:29], v[28:29], v[2:3]
	ds_read_b128 v[2:5], v13 offset:1600
	v_add_f64 v[26:27], v[26:27], v[36:37]
	s_waitcnt vmcnt(0) lgkmcnt(0)
	v_mul_f64 v[36:37], v[4:5], v[198:199]
	v_fma_f64 v[36:37], v[2:3], v[196:197], -v[36:37]
	v_mul_f64 v[2:3], v[2:3], v[198:199]
	v_fmac_f64_e32 v[2:3], v[4:5], v[196:197]
	scratch_load_dwordx4 v[196:199], off, s14
	v_add_f64 v[28:29], v[28:29], v[2:3]
	ds_read_b128 v[2:5], v13 offset:1616
	v_add_f64 v[26:27], v[26:27], v[36:37]
	s_waitcnt vmcnt(0) lgkmcnt(0)
	v_mul_f64 v[36:37], v[4:5], v[198:199]
	v_mul_f64 v[138:139], v[2:3], v[198:199]
	v_fma_f64 v[36:37], v[2:3], v[196:197], -v[36:37]
	v_fmac_f64_e32 v[138:139], v[4:5], v[196:197]
	v_add_f64 v[2:3], v[26:27], v[36:37]
	v_add_f64 v[4:5], v[28:29], v[138:139]
	s_andn2_b64 exec, exec, s[10:11]
	s_cbranch_execnz .LBB125_403
; %bb.404:
	s_or_b64 exec, exec, s[10:11]
.LBB125_405:
	s_or_b64 exec, exec, s[0:1]
	v_and_b32_e32 v7, 7, v0
	v_cmp_ne_u32_e32 vcc, 0, v7
	s_and_saveexec_b64 s[0:1], vcc
	s_cbranch_execz .LBB125_409
; %bb.406:
	v_lshlrev_b32_e32 v13, 4, v6
	v_add_u32_e32 v6, 0x3e0, v13
	v_add_u32_e32 v195, 0, v13
	s_mov_b64 s[10:11], 0
.LBB125_407:                            ; =>This Inner Loop Header: Depth=1
	scratch_load_dwordx4 v[196:199], v195, off
	ds_read_b128 v[200:203], v6
	v_add_u32_e32 v7, -1, v7
	v_cmp_eq_u32_e32 vcc, 0, v7
	v_add_u32_e32 v6, 16, v6
	v_add_u32_e32 v195, 16, v195
	s_or_b64 s[10:11], vcc, s[10:11]
	s_waitcnt vmcnt(0) lgkmcnt(0)
	v_mul_f64 v[26:27], v[202:203], v[198:199]
	v_mul_f64 v[28:29], v[200:201], v[198:199]
	v_fma_f64 v[26:27], v[200:201], v[196:197], -v[26:27]
	v_fmac_f64_e32 v[28:29], v[202:203], v[196:197]
	v_add_f64 v[2:3], v[2:3], v[26:27]
	v_add_f64 v[4:5], v[4:5], v[28:29]
	s_andn2_b64 exec, exec, s[10:11]
	s_cbranch_execnz .LBB125_407
; %bb.408:
	s_or_b64 exec, exec, s[10:11]
.LBB125_409:
	s_or_b64 exec, exec, s[0:1]
.LBB125_410:
	s_or_b64 exec, exec, s[8:9]
	v_mov_b32_e32 v6, 0
	ds_read_b128 v[196:199], v6 offset:496
	s_waitcnt lgkmcnt(0)
	v_mul_f64 v[6:7], v[4:5], v[198:199]
	v_mul_f64 v[200:201], v[2:3], v[198:199]
	v_fma_f64 v[198:199], v[2:3], v[196:197], -v[6:7]
	v_fmac_f64_e32 v[200:201], v[4:5], v[196:197]
	scratch_store_dwordx4 off, v[198:201], off offset:496
.LBB125_411:
	s_or_b64 exec, exec, s[4:5]
	scratch_load_dwordx4 v[2:5], v165, off
	v_cmp_lt_u32_e64 s[0:1], 30, v0
	s_waitcnt vmcnt(0)
	ds_write_b128 v9, v[2:5]
	s_waitcnt lgkmcnt(0)
	; wave barrier
	s_waitcnt lgkmcnt(0)
	s_and_saveexec_b64 s[4:5], s[0:1]
	s_cbranch_execz .LBB125_425
; %bb.412:
	ds_read_b128 v[2:5], v9
	s_andn2_b64 vcc, exec, s[6:7]
	s_cbranch_vccnz .LBB125_414
; %bb.413:
	scratch_load_dwordx4 v[196:199], v8, off
	s_waitcnt vmcnt(0) lgkmcnt(0)
	v_mul_f64 v[26:27], v[2:3], v[198:199]
	v_mul_f64 v[6:7], v[4:5], v[198:199]
	v_fmac_f64_e32 v[26:27], v[4:5], v[196:197]
	v_fma_f64 v[2:3], v[2:3], v[196:197], -v[6:7]
	v_mov_b64_e32 v[4:5], v[26:27]
.LBB125_414:
	s_and_saveexec_b64 s[8:9], s[2:3]
	s_cbranch_execz .LBB125_424
; %bb.415:
	v_subrev_u32_e32 v7, 32, v0
	v_subrev_u32_e32 v6, 31, v0
	v_cmp_lt_u32_e32 vcc, 6, v7
	v_mov_b32_e32 v196, 31
	s_and_saveexec_b64 s[2:3], vcc
	s_cbranch_execz .LBB125_419
; %bb.416:
	v_and_b32_e32 v7, -8, v6
	s_mov_b32 s12, 0
	s_mov_b64 s[10:11], 0
	v_mov_b32_e32 v195, 0
	s_mov_b32 s13, 0
.LBB125_417:                            ; =>This Inner Loop Header: Depth=1
	v_readfirstlane_b32 s14, v195
	s_add_i32 s14, s14, s12
	s_add_i32 s15, s14, 0x1f0
	v_mov_b32_e32 v13, s12
	ds_read_b128 v[196:199], v13 offset:1488
	ds_read_b128 v[200:203], v13 offset:1504
	;; [unrolled: 1-line block ×4, first 2 shown]
	scratch_load_dwordx4 v[212:215], off, s15
	s_add_i32 s15, s14, 0x200
	s_addk_i32 s12, 0x80
	s_waitcnt vmcnt(0) lgkmcnt(3)
	v_mul_f64 v[26:27], v[198:199], v[214:215]
	v_mul_f64 v[28:29], v[196:197], v[214:215]
	v_fma_f64 v[26:27], v[196:197], v[212:213], -v[26:27]
	v_fmac_f64_e32 v[28:29], v[198:199], v[212:213]
	v_add_f64 v[26:27], v[2:3], v[26:27]
	v_add_f64 v[28:29], v[4:5], v[28:29]
	scratch_load_dwordx4 v[2:5], off, s15
	s_add_i32 s15, s14, 0x210
	s_waitcnt vmcnt(0) lgkmcnt(2)
	v_mul_f64 v[36:37], v[202:203], v[4:5]
	v_mul_f64 v[4:5], v[200:201], v[4:5]
	v_fmac_f64_e32 v[4:5], v[202:203], v[2:3]
	v_fma_f64 v[36:37], v[200:201], v[2:3], -v[36:37]
	v_add_f64 v[28:29], v[28:29], v[4:5]
	scratch_load_dwordx4 v[2:5], off, s15
	v_add_f64 v[26:27], v[26:27], v[36:37]
	s_add_i32 s15, s14, 0x220
	s_waitcnt vmcnt(0) lgkmcnt(1)
	v_mul_f64 v[36:37], v[206:207], v[4:5]
	v_mul_f64 v[4:5], v[204:205], v[4:5]
	v_fmac_f64_e32 v[4:5], v[206:207], v[2:3]
	v_fma_f64 v[36:37], v[204:205], v[2:3], -v[36:37]
	v_add_f64 v[28:29], v[28:29], v[4:5]
	scratch_load_dwordx4 v[2:5], off, s15
	s_add_i32 s15, s14, 0x230
	scratch_load_dwordx4 v[196:199], off, s15
	v_add_f64 v[26:27], v[26:27], v[36:37]
	s_add_i32 s15, s14, 0x240
	s_waitcnt vmcnt(1) lgkmcnt(0)
	v_mul_f64 v[36:37], v[210:211], v[4:5]
	v_mul_f64 v[4:5], v[208:209], v[4:5]
	v_fmac_f64_e32 v[4:5], v[210:211], v[2:3]
	v_fma_f64 v[36:37], v[208:209], v[2:3], -v[36:37]
	v_add_f64 v[28:29], v[28:29], v[4:5]
	ds_read_b128 v[2:5], v13 offset:1552
	v_add_f64 v[26:27], v[26:27], v[36:37]
	s_waitcnt vmcnt(0) lgkmcnt(0)
	v_mul_f64 v[36:37], v[4:5], v[198:199]
	v_fma_f64 v[36:37], v[2:3], v[196:197], -v[36:37]
	v_mul_f64 v[2:3], v[2:3], v[198:199]
	v_fmac_f64_e32 v[2:3], v[4:5], v[196:197]
	scratch_load_dwordx4 v[196:199], off, s15
	v_add_f64 v[28:29], v[28:29], v[2:3]
	ds_read_b128 v[2:5], v13 offset:1568
	v_add_f64 v[26:27], v[26:27], v[36:37]
	s_add_i32 s15, s14, 0x250
	s_addk_i32 s14, 0x260
	s_waitcnt vmcnt(0) lgkmcnt(0)
	v_mul_f64 v[36:37], v[4:5], v[198:199]
	v_fma_f64 v[36:37], v[2:3], v[196:197], -v[36:37]
	v_mul_f64 v[2:3], v[2:3], v[198:199]
	v_fmac_f64_e32 v[2:3], v[4:5], v[196:197]
	scratch_load_dwordx4 v[196:199], off, s15
	v_add_f64 v[28:29], v[28:29], v[2:3]
	ds_read_b128 v[2:5], v13 offset:1584
	v_add_f64 v[26:27], v[26:27], v[36:37]
	s_waitcnt vmcnt(0) lgkmcnt(0)
	v_mul_f64 v[36:37], v[4:5], v[198:199]
	v_fma_f64 v[36:37], v[2:3], v[196:197], -v[36:37]
	v_mul_f64 v[2:3], v[2:3], v[198:199]
	v_fmac_f64_e32 v[2:3], v[4:5], v[196:197]
	scratch_load_dwordx4 v[196:199], off, s14
	v_add_f64 v[28:29], v[28:29], v[2:3]
	ds_read_b128 v[2:5], v13 offset:1600
	v_add_f64 v[26:27], v[26:27], v[36:37]
	s_add_i32 s14, s13, 8
	v_cmp_eq_u32_e32 vcc, s14, v7
	s_add_i32 s13, s13, 39
	s_or_b64 s[10:11], vcc, s[10:11]
	s_waitcnt vmcnt(0) lgkmcnt(0)
	v_mul_f64 v[36:37], v[4:5], v[198:199]
	v_mul_f64 v[138:139], v[2:3], v[198:199]
	v_fma_f64 v[36:37], v[2:3], v[196:197], -v[36:37]
	v_fmac_f64_e32 v[138:139], v[4:5], v[196:197]
	v_add_f64 v[2:3], v[26:27], v[36:37]
	v_add_f64 v[4:5], v[28:29], v[138:139]
	v_mov_b32_e32 v196, s13
	s_mov_b32 s13, s14
	s_andn2_b64 exec, exec, s[10:11]
	s_cbranch_execnz .LBB125_417
; %bb.418:
	s_or_b64 exec, exec, s[10:11]
.LBB125_419:
	s_or_b64 exec, exec, s[2:3]
	v_and_b32_e32 v6, 7, v6
	v_cmp_ne_u32_e32 vcc, 0, v6
	s_and_saveexec_b64 s[2:3], vcc
	s_cbranch_execz .LBB125_423
; %bb.420:
	v_lshlrev_b32_e32 v13, 4, v196
	v_add_u32_e32 v7, 0x3e0, v13
	v_add_u32_e32 v195, 0, v13
	s_mov_b64 s[10:11], 0
.LBB125_421:                            ; =>This Inner Loop Header: Depth=1
	scratch_load_dwordx4 v[196:199], v195, off
	ds_read_b128 v[200:203], v7
	v_add_u32_e32 v6, -1, v6
	v_cmp_eq_u32_e32 vcc, 0, v6
	v_add_u32_e32 v7, 16, v7
	v_add_u32_e32 v195, 16, v195
	s_or_b64 s[10:11], vcc, s[10:11]
	s_waitcnt vmcnt(0) lgkmcnt(0)
	v_mul_f64 v[26:27], v[202:203], v[198:199]
	v_mul_f64 v[28:29], v[200:201], v[198:199]
	v_fma_f64 v[26:27], v[200:201], v[196:197], -v[26:27]
	v_fmac_f64_e32 v[28:29], v[202:203], v[196:197]
	v_add_f64 v[2:3], v[2:3], v[26:27]
	v_add_f64 v[4:5], v[4:5], v[28:29]
	s_andn2_b64 exec, exec, s[10:11]
	s_cbranch_execnz .LBB125_421
; %bb.422:
	s_or_b64 exec, exec, s[10:11]
.LBB125_423:
	s_or_b64 exec, exec, s[2:3]
.LBB125_424:
	s_or_b64 exec, exec, s[8:9]
	v_mov_b32_e32 v6, 0
	ds_read_b128 v[196:199], v6 offset:480
	s_waitcnt lgkmcnt(0)
	v_mul_f64 v[6:7], v[4:5], v[198:199]
	v_mul_f64 v[200:201], v[2:3], v[198:199]
	v_fma_f64 v[198:199], v[2:3], v[196:197], -v[6:7]
	v_fmac_f64_e32 v[200:201], v[4:5], v[196:197]
	scratch_store_dwordx4 off, v[198:201], off offset:480
.LBB125_425:
	s_or_b64 exec, exec, s[4:5]
	scratch_load_dwordx4 v[2:5], v166, off
	v_cmp_lt_u32_e64 s[2:3], 29, v0
	s_waitcnt vmcnt(0)
	ds_write_b128 v9, v[2:5]
	s_waitcnt lgkmcnt(0)
	; wave barrier
	s_waitcnt lgkmcnt(0)
	s_and_saveexec_b64 s[4:5], s[2:3]
	s_cbranch_execz .LBB125_439
; %bb.426:
	ds_read_b128 v[2:5], v9
	s_andn2_b64 vcc, exec, s[6:7]
	s_cbranch_vccnz .LBB125_428
; %bb.427:
	scratch_load_dwordx4 v[196:199], v8, off
	s_waitcnt vmcnt(0) lgkmcnt(0)
	v_mul_f64 v[26:27], v[2:3], v[198:199]
	v_mul_f64 v[6:7], v[4:5], v[198:199]
	v_fmac_f64_e32 v[26:27], v[4:5], v[196:197]
	v_fma_f64 v[2:3], v[2:3], v[196:197], -v[6:7]
	v_mov_b64_e32 v[4:5], v[26:27]
.LBB125_428:
	s_and_saveexec_b64 s[8:9], s[0:1]
	s_cbranch_execz .LBB125_438
; %bb.429:
	v_subrev_u32_e32 v7, 31, v0
	v_subrev_u32_e32 v6, 30, v0
	v_cmp_lt_u32_e32 vcc, 6, v7
	v_mov_b32_e32 v196, 30
	s_and_saveexec_b64 s[0:1], vcc
	s_cbranch_execz .LBB125_433
; %bb.430:
	v_and_b32_e32 v7, -8, v6
	s_mov_b32 s12, 0
	s_mov_b64 s[10:11], 0
	v_mov_b32_e32 v195, 0
	s_mov_b32 s13, 0
.LBB125_431:                            ; =>This Inner Loop Header: Depth=1
	v_readfirstlane_b32 s14, v195
	s_add_i32 s14, s14, s12
	s_add_i32 s15, s14, 0x1e0
	v_mov_b32_e32 v13, s12
	ds_read_b128 v[196:199], v13 offset:1472
	ds_read_b128 v[200:203], v13 offset:1488
	;; [unrolled: 1-line block ×4, first 2 shown]
	scratch_load_dwordx4 v[212:215], off, s15
	s_add_i32 s15, s14, 0x1f0
	s_addk_i32 s12, 0x80
	s_waitcnt vmcnt(0) lgkmcnt(3)
	v_mul_f64 v[26:27], v[198:199], v[214:215]
	v_mul_f64 v[28:29], v[196:197], v[214:215]
	v_fma_f64 v[26:27], v[196:197], v[212:213], -v[26:27]
	v_fmac_f64_e32 v[28:29], v[198:199], v[212:213]
	v_add_f64 v[26:27], v[2:3], v[26:27]
	v_add_f64 v[28:29], v[4:5], v[28:29]
	scratch_load_dwordx4 v[2:5], off, s15
	s_add_i32 s15, s14, 0x200
	s_waitcnt vmcnt(0) lgkmcnt(2)
	v_mul_f64 v[36:37], v[202:203], v[4:5]
	v_mul_f64 v[4:5], v[200:201], v[4:5]
	v_fmac_f64_e32 v[4:5], v[202:203], v[2:3]
	v_fma_f64 v[36:37], v[200:201], v[2:3], -v[36:37]
	v_add_f64 v[28:29], v[28:29], v[4:5]
	scratch_load_dwordx4 v[2:5], off, s15
	v_add_f64 v[26:27], v[26:27], v[36:37]
	s_add_i32 s15, s14, 0x210
	s_waitcnt vmcnt(0) lgkmcnt(1)
	v_mul_f64 v[36:37], v[206:207], v[4:5]
	v_mul_f64 v[4:5], v[204:205], v[4:5]
	v_fmac_f64_e32 v[4:5], v[206:207], v[2:3]
	v_fma_f64 v[36:37], v[204:205], v[2:3], -v[36:37]
	v_add_f64 v[28:29], v[28:29], v[4:5]
	scratch_load_dwordx4 v[2:5], off, s15
	s_add_i32 s15, s14, 0x220
	scratch_load_dwordx4 v[196:199], off, s15
	v_add_f64 v[26:27], v[26:27], v[36:37]
	s_add_i32 s15, s14, 0x230
	s_waitcnt vmcnt(1) lgkmcnt(0)
	v_mul_f64 v[36:37], v[210:211], v[4:5]
	v_mul_f64 v[4:5], v[208:209], v[4:5]
	v_fmac_f64_e32 v[4:5], v[210:211], v[2:3]
	v_fma_f64 v[36:37], v[208:209], v[2:3], -v[36:37]
	v_add_f64 v[28:29], v[28:29], v[4:5]
	ds_read_b128 v[2:5], v13 offset:1536
	v_add_f64 v[26:27], v[26:27], v[36:37]
	s_waitcnt vmcnt(0) lgkmcnt(0)
	v_mul_f64 v[36:37], v[4:5], v[198:199]
	v_fma_f64 v[36:37], v[2:3], v[196:197], -v[36:37]
	v_mul_f64 v[2:3], v[2:3], v[198:199]
	v_fmac_f64_e32 v[2:3], v[4:5], v[196:197]
	scratch_load_dwordx4 v[196:199], off, s15
	v_add_f64 v[28:29], v[28:29], v[2:3]
	ds_read_b128 v[2:5], v13 offset:1552
	v_add_f64 v[26:27], v[26:27], v[36:37]
	s_add_i32 s15, s14, 0x240
	s_addk_i32 s14, 0x250
	s_waitcnt vmcnt(0) lgkmcnt(0)
	v_mul_f64 v[36:37], v[4:5], v[198:199]
	v_fma_f64 v[36:37], v[2:3], v[196:197], -v[36:37]
	v_mul_f64 v[2:3], v[2:3], v[198:199]
	v_fmac_f64_e32 v[2:3], v[4:5], v[196:197]
	scratch_load_dwordx4 v[196:199], off, s15
	v_add_f64 v[28:29], v[28:29], v[2:3]
	ds_read_b128 v[2:5], v13 offset:1568
	v_add_f64 v[26:27], v[26:27], v[36:37]
	s_waitcnt vmcnt(0) lgkmcnt(0)
	v_mul_f64 v[36:37], v[4:5], v[198:199]
	v_fma_f64 v[36:37], v[2:3], v[196:197], -v[36:37]
	v_mul_f64 v[2:3], v[2:3], v[198:199]
	v_fmac_f64_e32 v[2:3], v[4:5], v[196:197]
	scratch_load_dwordx4 v[196:199], off, s14
	v_add_f64 v[28:29], v[28:29], v[2:3]
	ds_read_b128 v[2:5], v13 offset:1584
	v_add_f64 v[26:27], v[26:27], v[36:37]
	s_add_i32 s14, s13, 8
	v_cmp_eq_u32_e32 vcc, s14, v7
	s_add_i32 s13, s13, 38
	s_or_b64 s[10:11], vcc, s[10:11]
	s_waitcnt vmcnt(0) lgkmcnt(0)
	v_mul_f64 v[36:37], v[4:5], v[198:199]
	v_mul_f64 v[138:139], v[2:3], v[198:199]
	v_fma_f64 v[36:37], v[2:3], v[196:197], -v[36:37]
	v_fmac_f64_e32 v[138:139], v[4:5], v[196:197]
	v_add_f64 v[2:3], v[26:27], v[36:37]
	v_add_f64 v[4:5], v[28:29], v[138:139]
	v_mov_b32_e32 v196, s13
	s_mov_b32 s13, s14
	s_andn2_b64 exec, exec, s[10:11]
	s_cbranch_execnz .LBB125_431
; %bb.432:
	s_or_b64 exec, exec, s[10:11]
.LBB125_433:
	s_or_b64 exec, exec, s[0:1]
	v_and_b32_e32 v6, 7, v6
	v_cmp_ne_u32_e32 vcc, 0, v6
	s_and_saveexec_b64 s[0:1], vcc
	s_cbranch_execz .LBB125_437
; %bb.434:
	v_lshlrev_b32_e32 v13, 4, v196
	v_add_u32_e32 v7, 0x3e0, v13
	v_add_u32_e32 v195, 0, v13
	s_mov_b64 s[10:11], 0
.LBB125_435:                            ; =>This Inner Loop Header: Depth=1
	scratch_load_dwordx4 v[196:199], v195, off
	ds_read_b128 v[200:203], v7
	v_add_u32_e32 v6, -1, v6
	v_cmp_eq_u32_e32 vcc, 0, v6
	v_add_u32_e32 v7, 16, v7
	v_add_u32_e32 v195, 16, v195
	s_or_b64 s[10:11], vcc, s[10:11]
	s_waitcnt vmcnt(0) lgkmcnt(0)
	v_mul_f64 v[26:27], v[202:203], v[198:199]
	v_mul_f64 v[28:29], v[200:201], v[198:199]
	v_fma_f64 v[26:27], v[200:201], v[196:197], -v[26:27]
	v_fmac_f64_e32 v[28:29], v[202:203], v[196:197]
	v_add_f64 v[2:3], v[2:3], v[26:27]
	v_add_f64 v[4:5], v[4:5], v[28:29]
	s_andn2_b64 exec, exec, s[10:11]
	s_cbranch_execnz .LBB125_435
; %bb.436:
	s_or_b64 exec, exec, s[10:11]
.LBB125_437:
	s_or_b64 exec, exec, s[0:1]
.LBB125_438:
	s_or_b64 exec, exec, s[8:9]
	v_mov_b32_e32 v6, 0
	ds_read_b128 v[196:199], v6 offset:464
	s_waitcnt lgkmcnt(0)
	v_mul_f64 v[6:7], v[4:5], v[198:199]
	v_mul_f64 v[200:201], v[2:3], v[198:199]
	v_fma_f64 v[198:199], v[2:3], v[196:197], -v[6:7]
	v_fmac_f64_e32 v[200:201], v[4:5], v[196:197]
	scratch_store_dwordx4 off, v[198:201], off offset:464
.LBB125_439:
	s_or_b64 exec, exec, s[4:5]
	scratch_load_dwordx4 v[2:5], v167, off
	v_cmp_lt_u32_e64 s[0:1], 28, v0
	s_waitcnt vmcnt(0)
	ds_write_b128 v9, v[2:5]
	s_waitcnt lgkmcnt(0)
	; wave barrier
	s_waitcnt lgkmcnt(0)
	s_and_saveexec_b64 s[4:5], s[0:1]
	s_cbranch_execz .LBB125_453
; %bb.440:
	ds_read_b128 v[2:5], v9
	s_andn2_b64 vcc, exec, s[6:7]
	s_cbranch_vccnz .LBB125_442
; %bb.441:
	scratch_load_dwordx4 v[196:199], v8, off
	s_waitcnt vmcnt(0) lgkmcnt(0)
	v_mul_f64 v[26:27], v[2:3], v[198:199]
	v_mul_f64 v[6:7], v[4:5], v[198:199]
	v_fmac_f64_e32 v[26:27], v[4:5], v[196:197]
	v_fma_f64 v[2:3], v[2:3], v[196:197], -v[6:7]
	v_mov_b64_e32 v[4:5], v[26:27]
.LBB125_442:
	s_and_saveexec_b64 s[8:9], s[2:3]
	s_cbranch_execz .LBB125_452
; %bb.443:
	v_subrev_u32_e32 v7, 30, v0
	v_subrev_u32_e32 v6, 29, v0
	v_cmp_lt_u32_e32 vcc, 6, v7
	v_mov_b32_e32 v196, 29
	s_and_saveexec_b64 s[2:3], vcc
	s_cbranch_execz .LBB125_447
; %bb.444:
	v_and_b32_e32 v7, -8, v6
	s_mov_b32 s12, 0
	s_mov_b64 s[10:11], 0
	v_mov_b32_e32 v195, 0
	s_mov_b32 s13, 0
.LBB125_445:                            ; =>This Inner Loop Header: Depth=1
	v_readfirstlane_b32 s14, v195
	s_add_i32 s14, s14, s12
	s_add_i32 s15, s14, 0x1d0
	v_mov_b32_e32 v13, s12
	ds_read_b128 v[196:199], v13 offset:1456
	ds_read_b128 v[200:203], v13 offset:1472
	;; [unrolled: 1-line block ×4, first 2 shown]
	scratch_load_dwordx4 v[212:215], off, s15
	s_add_i32 s15, s14, 0x1e0
	s_addk_i32 s12, 0x80
	s_waitcnt vmcnt(0) lgkmcnt(3)
	v_mul_f64 v[26:27], v[198:199], v[214:215]
	v_mul_f64 v[28:29], v[196:197], v[214:215]
	v_fma_f64 v[26:27], v[196:197], v[212:213], -v[26:27]
	v_fmac_f64_e32 v[28:29], v[198:199], v[212:213]
	v_add_f64 v[26:27], v[2:3], v[26:27]
	v_add_f64 v[28:29], v[4:5], v[28:29]
	scratch_load_dwordx4 v[2:5], off, s15
	s_add_i32 s15, s14, 0x1f0
	s_waitcnt vmcnt(0) lgkmcnt(2)
	v_mul_f64 v[36:37], v[202:203], v[4:5]
	v_mul_f64 v[4:5], v[200:201], v[4:5]
	v_fmac_f64_e32 v[4:5], v[202:203], v[2:3]
	v_fma_f64 v[36:37], v[200:201], v[2:3], -v[36:37]
	v_add_f64 v[28:29], v[28:29], v[4:5]
	scratch_load_dwordx4 v[2:5], off, s15
	v_add_f64 v[26:27], v[26:27], v[36:37]
	s_add_i32 s15, s14, 0x200
	s_waitcnt vmcnt(0) lgkmcnt(1)
	v_mul_f64 v[36:37], v[206:207], v[4:5]
	v_mul_f64 v[4:5], v[204:205], v[4:5]
	v_fmac_f64_e32 v[4:5], v[206:207], v[2:3]
	v_fma_f64 v[36:37], v[204:205], v[2:3], -v[36:37]
	v_add_f64 v[28:29], v[28:29], v[4:5]
	scratch_load_dwordx4 v[2:5], off, s15
	s_add_i32 s15, s14, 0x210
	scratch_load_dwordx4 v[196:199], off, s15
	v_add_f64 v[26:27], v[26:27], v[36:37]
	s_add_i32 s15, s14, 0x220
	s_waitcnt vmcnt(1) lgkmcnt(0)
	v_mul_f64 v[36:37], v[210:211], v[4:5]
	v_mul_f64 v[4:5], v[208:209], v[4:5]
	v_fmac_f64_e32 v[4:5], v[210:211], v[2:3]
	v_fma_f64 v[36:37], v[208:209], v[2:3], -v[36:37]
	v_add_f64 v[28:29], v[28:29], v[4:5]
	ds_read_b128 v[2:5], v13 offset:1520
	v_add_f64 v[26:27], v[26:27], v[36:37]
	s_waitcnt vmcnt(0) lgkmcnt(0)
	v_mul_f64 v[36:37], v[4:5], v[198:199]
	v_fma_f64 v[36:37], v[2:3], v[196:197], -v[36:37]
	v_mul_f64 v[2:3], v[2:3], v[198:199]
	v_fmac_f64_e32 v[2:3], v[4:5], v[196:197]
	scratch_load_dwordx4 v[196:199], off, s15
	v_add_f64 v[28:29], v[28:29], v[2:3]
	ds_read_b128 v[2:5], v13 offset:1536
	v_add_f64 v[26:27], v[26:27], v[36:37]
	s_add_i32 s15, s14, 0x230
	s_addk_i32 s14, 0x240
	s_waitcnt vmcnt(0) lgkmcnt(0)
	v_mul_f64 v[36:37], v[4:5], v[198:199]
	v_fma_f64 v[36:37], v[2:3], v[196:197], -v[36:37]
	v_mul_f64 v[2:3], v[2:3], v[198:199]
	v_fmac_f64_e32 v[2:3], v[4:5], v[196:197]
	scratch_load_dwordx4 v[196:199], off, s15
	v_add_f64 v[28:29], v[28:29], v[2:3]
	ds_read_b128 v[2:5], v13 offset:1552
	v_add_f64 v[26:27], v[26:27], v[36:37]
	s_waitcnt vmcnt(0) lgkmcnt(0)
	v_mul_f64 v[36:37], v[4:5], v[198:199]
	v_fma_f64 v[36:37], v[2:3], v[196:197], -v[36:37]
	v_mul_f64 v[2:3], v[2:3], v[198:199]
	v_fmac_f64_e32 v[2:3], v[4:5], v[196:197]
	scratch_load_dwordx4 v[196:199], off, s14
	v_add_f64 v[28:29], v[28:29], v[2:3]
	ds_read_b128 v[2:5], v13 offset:1568
	v_add_f64 v[26:27], v[26:27], v[36:37]
	s_add_i32 s14, s13, 8
	v_cmp_eq_u32_e32 vcc, s14, v7
	s_add_i32 s13, s13, 37
	s_or_b64 s[10:11], vcc, s[10:11]
	s_waitcnt vmcnt(0) lgkmcnt(0)
	v_mul_f64 v[36:37], v[4:5], v[198:199]
	v_mul_f64 v[138:139], v[2:3], v[198:199]
	v_fma_f64 v[36:37], v[2:3], v[196:197], -v[36:37]
	v_fmac_f64_e32 v[138:139], v[4:5], v[196:197]
	v_add_f64 v[2:3], v[26:27], v[36:37]
	v_add_f64 v[4:5], v[28:29], v[138:139]
	v_mov_b32_e32 v196, s13
	s_mov_b32 s13, s14
	s_andn2_b64 exec, exec, s[10:11]
	s_cbranch_execnz .LBB125_445
; %bb.446:
	s_or_b64 exec, exec, s[10:11]
.LBB125_447:
	s_or_b64 exec, exec, s[2:3]
	v_and_b32_e32 v6, 7, v6
	v_cmp_ne_u32_e32 vcc, 0, v6
	s_and_saveexec_b64 s[2:3], vcc
	s_cbranch_execz .LBB125_451
; %bb.448:
	v_lshlrev_b32_e32 v13, 4, v196
	v_add_u32_e32 v7, 0x3e0, v13
	v_add_u32_e32 v195, 0, v13
	s_mov_b64 s[10:11], 0
.LBB125_449:                            ; =>This Inner Loop Header: Depth=1
	scratch_load_dwordx4 v[196:199], v195, off
	ds_read_b128 v[200:203], v7
	v_add_u32_e32 v6, -1, v6
	v_cmp_eq_u32_e32 vcc, 0, v6
	v_add_u32_e32 v7, 16, v7
	v_add_u32_e32 v195, 16, v195
	s_or_b64 s[10:11], vcc, s[10:11]
	s_waitcnt vmcnt(0) lgkmcnt(0)
	v_mul_f64 v[26:27], v[202:203], v[198:199]
	v_mul_f64 v[28:29], v[200:201], v[198:199]
	v_fma_f64 v[26:27], v[200:201], v[196:197], -v[26:27]
	v_fmac_f64_e32 v[28:29], v[202:203], v[196:197]
	v_add_f64 v[2:3], v[2:3], v[26:27]
	v_add_f64 v[4:5], v[4:5], v[28:29]
	s_andn2_b64 exec, exec, s[10:11]
	s_cbranch_execnz .LBB125_449
; %bb.450:
	s_or_b64 exec, exec, s[10:11]
.LBB125_451:
	s_or_b64 exec, exec, s[2:3]
.LBB125_452:
	s_or_b64 exec, exec, s[8:9]
	v_mov_b32_e32 v6, 0
	ds_read_b128 v[196:199], v6 offset:448
	s_waitcnt lgkmcnt(0)
	v_mul_f64 v[6:7], v[4:5], v[198:199]
	v_mul_f64 v[200:201], v[2:3], v[198:199]
	v_fma_f64 v[198:199], v[2:3], v[196:197], -v[6:7]
	v_fmac_f64_e32 v[200:201], v[4:5], v[196:197]
	scratch_store_dwordx4 off, v[198:201], off offset:448
.LBB125_453:
	s_or_b64 exec, exec, s[4:5]
	scratch_load_dwordx4 v[2:5], v168, off
	v_cmp_lt_u32_e64 s[2:3], 27, v0
	s_waitcnt vmcnt(0)
	ds_write_b128 v9, v[2:5]
	s_waitcnt lgkmcnt(0)
	; wave barrier
	s_waitcnt lgkmcnt(0)
	s_and_saveexec_b64 s[4:5], s[2:3]
	s_cbranch_execz .LBB125_467
; %bb.454:
	ds_read_b128 v[2:5], v9
	s_andn2_b64 vcc, exec, s[6:7]
	s_cbranch_vccnz .LBB125_456
; %bb.455:
	scratch_load_dwordx4 v[196:199], v8, off
	s_waitcnt vmcnt(0) lgkmcnt(0)
	v_mul_f64 v[26:27], v[2:3], v[198:199]
	v_mul_f64 v[6:7], v[4:5], v[198:199]
	v_fmac_f64_e32 v[26:27], v[4:5], v[196:197]
	v_fma_f64 v[2:3], v[2:3], v[196:197], -v[6:7]
	v_mov_b64_e32 v[4:5], v[26:27]
.LBB125_456:
	s_and_saveexec_b64 s[8:9], s[0:1]
	s_cbranch_execz .LBB125_466
; %bb.457:
	v_subrev_u32_e32 v7, 29, v0
	v_subrev_u32_e32 v6, 28, v0
	v_cmp_lt_u32_e32 vcc, 6, v7
	v_mov_b32_e32 v196, 28
	s_and_saveexec_b64 s[0:1], vcc
	s_cbranch_execz .LBB125_461
; %bb.458:
	v_and_b32_e32 v7, -8, v6
	s_mov_b32 s12, 0
	s_mov_b64 s[10:11], 0
	v_mov_b32_e32 v195, 0
	s_mov_b32 s13, 0
.LBB125_459:                            ; =>This Inner Loop Header: Depth=1
	v_readfirstlane_b32 s14, v195
	s_add_i32 s14, s14, s12
	s_add_i32 s15, s14, 0x1c0
	v_mov_b32_e32 v13, s12
	ds_read_b128 v[196:199], v13 offset:1440
	ds_read_b128 v[200:203], v13 offset:1456
	;; [unrolled: 1-line block ×4, first 2 shown]
	scratch_load_dwordx4 v[212:215], off, s15
	s_add_i32 s15, s14, 0x1d0
	s_addk_i32 s12, 0x80
	s_waitcnt vmcnt(0) lgkmcnt(3)
	v_mul_f64 v[26:27], v[198:199], v[214:215]
	v_mul_f64 v[28:29], v[196:197], v[214:215]
	v_fma_f64 v[26:27], v[196:197], v[212:213], -v[26:27]
	v_fmac_f64_e32 v[28:29], v[198:199], v[212:213]
	v_add_f64 v[26:27], v[2:3], v[26:27]
	v_add_f64 v[28:29], v[4:5], v[28:29]
	scratch_load_dwordx4 v[2:5], off, s15
	s_add_i32 s15, s14, 0x1e0
	s_waitcnt vmcnt(0) lgkmcnt(2)
	v_mul_f64 v[36:37], v[202:203], v[4:5]
	v_mul_f64 v[4:5], v[200:201], v[4:5]
	v_fmac_f64_e32 v[4:5], v[202:203], v[2:3]
	v_fma_f64 v[36:37], v[200:201], v[2:3], -v[36:37]
	v_add_f64 v[28:29], v[28:29], v[4:5]
	scratch_load_dwordx4 v[2:5], off, s15
	v_add_f64 v[26:27], v[26:27], v[36:37]
	s_add_i32 s15, s14, 0x1f0
	s_waitcnt vmcnt(0) lgkmcnt(1)
	v_mul_f64 v[36:37], v[206:207], v[4:5]
	v_mul_f64 v[4:5], v[204:205], v[4:5]
	v_fmac_f64_e32 v[4:5], v[206:207], v[2:3]
	v_fma_f64 v[36:37], v[204:205], v[2:3], -v[36:37]
	v_add_f64 v[28:29], v[28:29], v[4:5]
	scratch_load_dwordx4 v[2:5], off, s15
	s_add_i32 s15, s14, 0x200
	scratch_load_dwordx4 v[196:199], off, s15
	v_add_f64 v[26:27], v[26:27], v[36:37]
	s_add_i32 s15, s14, 0x210
	s_waitcnt vmcnt(1) lgkmcnt(0)
	v_mul_f64 v[36:37], v[210:211], v[4:5]
	v_mul_f64 v[4:5], v[208:209], v[4:5]
	v_fmac_f64_e32 v[4:5], v[210:211], v[2:3]
	v_fma_f64 v[36:37], v[208:209], v[2:3], -v[36:37]
	v_add_f64 v[28:29], v[28:29], v[4:5]
	ds_read_b128 v[2:5], v13 offset:1504
	v_add_f64 v[26:27], v[26:27], v[36:37]
	s_waitcnt vmcnt(0) lgkmcnt(0)
	v_mul_f64 v[36:37], v[4:5], v[198:199]
	v_fma_f64 v[36:37], v[2:3], v[196:197], -v[36:37]
	v_mul_f64 v[2:3], v[2:3], v[198:199]
	v_fmac_f64_e32 v[2:3], v[4:5], v[196:197]
	scratch_load_dwordx4 v[196:199], off, s15
	v_add_f64 v[28:29], v[28:29], v[2:3]
	ds_read_b128 v[2:5], v13 offset:1520
	v_add_f64 v[26:27], v[26:27], v[36:37]
	s_add_i32 s15, s14, 0x220
	s_addk_i32 s14, 0x230
	s_waitcnt vmcnt(0) lgkmcnt(0)
	v_mul_f64 v[36:37], v[4:5], v[198:199]
	v_fma_f64 v[36:37], v[2:3], v[196:197], -v[36:37]
	v_mul_f64 v[2:3], v[2:3], v[198:199]
	v_fmac_f64_e32 v[2:3], v[4:5], v[196:197]
	scratch_load_dwordx4 v[196:199], off, s15
	v_add_f64 v[28:29], v[28:29], v[2:3]
	ds_read_b128 v[2:5], v13 offset:1536
	v_add_f64 v[26:27], v[26:27], v[36:37]
	s_waitcnt vmcnt(0) lgkmcnt(0)
	v_mul_f64 v[36:37], v[4:5], v[198:199]
	v_fma_f64 v[36:37], v[2:3], v[196:197], -v[36:37]
	v_mul_f64 v[2:3], v[2:3], v[198:199]
	v_fmac_f64_e32 v[2:3], v[4:5], v[196:197]
	scratch_load_dwordx4 v[196:199], off, s14
	v_add_f64 v[28:29], v[28:29], v[2:3]
	ds_read_b128 v[2:5], v13 offset:1552
	v_add_f64 v[26:27], v[26:27], v[36:37]
	s_add_i32 s14, s13, 8
	v_cmp_eq_u32_e32 vcc, s14, v7
	s_add_i32 s13, s13, 36
	s_or_b64 s[10:11], vcc, s[10:11]
	s_waitcnt vmcnt(0) lgkmcnt(0)
	v_mul_f64 v[36:37], v[4:5], v[198:199]
	v_mul_f64 v[138:139], v[2:3], v[198:199]
	v_fma_f64 v[36:37], v[2:3], v[196:197], -v[36:37]
	v_fmac_f64_e32 v[138:139], v[4:5], v[196:197]
	v_add_f64 v[2:3], v[26:27], v[36:37]
	v_add_f64 v[4:5], v[28:29], v[138:139]
	v_mov_b32_e32 v196, s13
	s_mov_b32 s13, s14
	s_andn2_b64 exec, exec, s[10:11]
	s_cbranch_execnz .LBB125_459
; %bb.460:
	s_or_b64 exec, exec, s[10:11]
.LBB125_461:
	s_or_b64 exec, exec, s[0:1]
	v_and_b32_e32 v6, 7, v6
	v_cmp_ne_u32_e32 vcc, 0, v6
	s_and_saveexec_b64 s[0:1], vcc
	s_cbranch_execz .LBB125_465
; %bb.462:
	v_lshlrev_b32_e32 v13, 4, v196
	v_add_u32_e32 v7, 0x3e0, v13
	v_add_u32_e32 v195, 0, v13
	s_mov_b64 s[10:11], 0
.LBB125_463:                            ; =>This Inner Loop Header: Depth=1
	scratch_load_dwordx4 v[196:199], v195, off
	ds_read_b128 v[200:203], v7
	v_add_u32_e32 v6, -1, v6
	v_cmp_eq_u32_e32 vcc, 0, v6
	v_add_u32_e32 v7, 16, v7
	v_add_u32_e32 v195, 16, v195
	s_or_b64 s[10:11], vcc, s[10:11]
	s_waitcnt vmcnt(0) lgkmcnt(0)
	v_mul_f64 v[26:27], v[202:203], v[198:199]
	v_mul_f64 v[28:29], v[200:201], v[198:199]
	v_fma_f64 v[26:27], v[200:201], v[196:197], -v[26:27]
	v_fmac_f64_e32 v[28:29], v[202:203], v[196:197]
	v_add_f64 v[2:3], v[2:3], v[26:27]
	v_add_f64 v[4:5], v[4:5], v[28:29]
	s_andn2_b64 exec, exec, s[10:11]
	s_cbranch_execnz .LBB125_463
; %bb.464:
	s_or_b64 exec, exec, s[10:11]
.LBB125_465:
	s_or_b64 exec, exec, s[0:1]
.LBB125_466:
	s_or_b64 exec, exec, s[8:9]
	v_mov_b32_e32 v6, 0
	ds_read_b128 v[196:199], v6 offset:432
	s_waitcnt lgkmcnt(0)
	v_mul_f64 v[6:7], v[4:5], v[198:199]
	v_mul_f64 v[200:201], v[2:3], v[198:199]
	v_fma_f64 v[198:199], v[2:3], v[196:197], -v[6:7]
	v_fmac_f64_e32 v[200:201], v[4:5], v[196:197]
	scratch_store_dwordx4 off, v[198:201], off offset:432
.LBB125_467:
	s_or_b64 exec, exec, s[4:5]
	scratch_load_dwordx4 v[2:5], v169, off
	v_cmp_lt_u32_e64 s[0:1], 26, v0
	s_waitcnt vmcnt(0)
	ds_write_b128 v9, v[2:5]
	s_waitcnt lgkmcnt(0)
	; wave barrier
	s_waitcnt lgkmcnt(0)
	s_and_saveexec_b64 s[4:5], s[0:1]
	s_cbranch_execz .LBB125_481
; %bb.468:
	ds_read_b128 v[2:5], v9
	s_andn2_b64 vcc, exec, s[6:7]
	s_cbranch_vccnz .LBB125_470
; %bb.469:
	scratch_load_dwordx4 v[196:199], v8, off
	s_waitcnt vmcnt(0) lgkmcnt(0)
	v_mul_f64 v[26:27], v[2:3], v[198:199]
	v_mul_f64 v[6:7], v[4:5], v[198:199]
	v_fmac_f64_e32 v[26:27], v[4:5], v[196:197]
	v_fma_f64 v[2:3], v[2:3], v[196:197], -v[6:7]
	v_mov_b64_e32 v[4:5], v[26:27]
.LBB125_470:
	s_and_saveexec_b64 s[8:9], s[2:3]
	s_cbranch_execz .LBB125_480
; %bb.471:
	v_subrev_u32_e32 v7, 28, v0
	v_subrev_u32_e32 v6, 27, v0
	v_cmp_lt_u32_e32 vcc, 6, v7
	v_mov_b32_e32 v196, 27
	s_and_saveexec_b64 s[2:3], vcc
	s_cbranch_execz .LBB125_475
; %bb.472:
	v_and_b32_e32 v7, -8, v6
	s_mov_b32 s12, 0
	s_mov_b64 s[10:11], 0
	v_mov_b32_e32 v195, 0
	s_mov_b32 s13, 0
.LBB125_473:                            ; =>This Inner Loop Header: Depth=1
	v_readfirstlane_b32 s14, v195
	s_add_i32 s14, s14, s12
	s_add_i32 s15, s14, 0x1b0
	v_mov_b32_e32 v13, s12
	ds_read_b128 v[196:199], v13 offset:1424
	ds_read_b128 v[200:203], v13 offset:1440
	;; [unrolled: 1-line block ×4, first 2 shown]
	scratch_load_dwordx4 v[212:215], off, s15
	s_add_i32 s15, s14, 0x1c0
	s_addk_i32 s12, 0x80
	s_waitcnt vmcnt(0) lgkmcnt(3)
	v_mul_f64 v[26:27], v[198:199], v[214:215]
	v_mul_f64 v[28:29], v[196:197], v[214:215]
	v_fma_f64 v[26:27], v[196:197], v[212:213], -v[26:27]
	v_fmac_f64_e32 v[28:29], v[198:199], v[212:213]
	v_add_f64 v[26:27], v[2:3], v[26:27]
	v_add_f64 v[28:29], v[4:5], v[28:29]
	scratch_load_dwordx4 v[2:5], off, s15
	s_add_i32 s15, s14, 0x1d0
	s_waitcnt vmcnt(0) lgkmcnt(2)
	v_mul_f64 v[36:37], v[202:203], v[4:5]
	v_mul_f64 v[4:5], v[200:201], v[4:5]
	v_fmac_f64_e32 v[4:5], v[202:203], v[2:3]
	v_fma_f64 v[36:37], v[200:201], v[2:3], -v[36:37]
	v_add_f64 v[28:29], v[28:29], v[4:5]
	scratch_load_dwordx4 v[2:5], off, s15
	v_add_f64 v[26:27], v[26:27], v[36:37]
	s_add_i32 s15, s14, 0x1e0
	s_waitcnt vmcnt(0) lgkmcnt(1)
	v_mul_f64 v[36:37], v[206:207], v[4:5]
	v_mul_f64 v[4:5], v[204:205], v[4:5]
	v_fmac_f64_e32 v[4:5], v[206:207], v[2:3]
	v_fma_f64 v[36:37], v[204:205], v[2:3], -v[36:37]
	v_add_f64 v[28:29], v[28:29], v[4:5]
	scratch_load_dwordx4 v[2:5], off, s15
	s_add_i32 s15, s14, 0x1f0
	scratch_load_dwordx4 v[196:199], off, s15
	v_add_f64 v[26:27], v[26:27], v[36:37]
	s_add_i32 s15, s14, 0x200
	s_waitcnt vmcnt(1) lgkmcnt(0)
	v_mul_f64 v[36:37], v[210:211], v[4:5]
	v_mul_f64 v[4:5], v[208:209], v[4:5]
	v_fmac_f64_e32 v[4:5], v[210:211], v[2:3]
	v_fma_f64 v[36:37], v[208:209], v[2:3], -v[36:37]
	v_add_f64 v[28:29], v[28:29], v[4:5]
	ds_read_b128 v[2:5], v13 offset:1488
	v_add_f64 v[26:27], v[26:27], v[36:37]
	s_waitcnt vmcnt(0) lgkmcnt(0)
	v_mul_f64 v[36:37], v[4:5], v[198:199]
	v_fma_f64 v[36:37], v[2:3], v[196:197], -v[36:37]
	v_mul_f64 v[2:3], v[2:3], v[198:199]
	v_fmac_f64_e32 v[2:3], v[4:5], v[196:197]
	scratch_load_dwordx4 v[196:199], off, s15
	v_add_f64 v[28:29], v[28:29], v[2:3]
	ds_read_b128 v[2:5], v13 offset:1504
	v_add_f64 v[26:27], v[26:27], v[36:37]
	s_add_i32 s15, s14, 0x210
	s_addk_i32 s14, 0x220
	s_waitcnt vmcnt(0) lgkmcnt(0)
	v_mul_f64 v[36:37], v[4:5], v[198:199]
	v_fma_f64 v[36:37], v[2:3], v[196:197], -v[36:37]
	v_mul_f64 v[2:3], v[2:3], v[198:199]
	v_fmac_f64_e32 v[2:3], v[4:5], v[196:197]
	scratch_load_dwordx4 v[196:199], off, s15
	v_add_f64 v[28:29], v[28:29], v[2:3]
	ds_read_b128 v[2:5], v13 offset:1520
	v_add_f64 v[26:27], v[26:27], v[36:37]
	s_waitcnt vmcnt(0) lgkmcnt(0)
	v_mul_f64 v[36:37], v[4:5], v[198:199]
	v_fma_f64 v[36:37], v[2:3], v[196:197], -v[36:37]
	v_mul_f64 v[2:3], v[2:3], v[198:199]
	v_fmac_f64_e32 v[2:3], v[4:5], v[196:197]
	scratch_load_dwordx4 v[196:199], off, s14
	v_add_f64 v[28:29], v[28:29], v[2:3]
	ds_read_b128 v[2:5], v13 offset:1536
	v_add_f64 v[26:27], v[26:27], v[36:37]
	s_add_i32 s14, s13, 8
	v_cmp_eq_u32_e32 vcc, s14, v7
	s_add_i32 s13, s13, 35
	s_or_b64 s[10:11], vcc, s[10:11]
	s_waitcnt vmcnt(0) lgkmcnt(0)
	v_mul_f64 v[36:37], v[4:5], v[198:199]
	v_mul_f64 v[138:139], v[2:3], v[198:199]
	v_fma_f64 v[36:37], v[2:3], v[196:197], -v[36:37]
	v_fmac_f64_e32 v[138:139], v[4:5], v[196:197]
	v_add_f64 v[2:3], v[26:27], v[36:37]
	v_add_f64 v[4:5], v[28:29], v[138:139]
	v_mov_b32_e32 v196, s13
	s_mov_b32 s13, s14
	s_andn2_b64 exec, exec, s[10:11]
	s_cbranch_execnz .LBB125_473
; %bb.474:
	s_or_b64 exec, exec, s[10:11]
.LBB125_475:
	s_or_b64 exec, exec, s[2:3]
	v_and_b32_e32 v6, 7, v6
	v_cmp_ne_u32_e32 vcc, 0, v6
	s_and_saveexec_b64 s[2:3], vcc
	s_cbranch_execz .LBB125_479
; %bb.476:
	v_lshlrev_b32_e32 v13, 4, v196
	v_add_u32_e32 v7, 0x3e0, v13
	v_add_u32_e32 v195, 0, v13
	s_mov_b64 s[10:11], 0
.LBB125_477:                            ; =>This Inner Loop Header: Depth=1
	scratch_load_dwordx4 v[196:199], v195, off
	ds_read_b128 v[200:203], v7
	v_add_u32_e32 v6, -1, v6
	v_cmp_eq_u32_e32 vcc, 0, v6
	v_add_u32_e32 v7, 16, v7
	v_add_u32_e32 v195, 16, v195
	s_or_b64 s[10:11], vcc, s[10:11]
	s_waitcnt vmcnt(0) lgkmcnt(0)
	v_mul_f64 v[26:27], v[202:203], v[198:199]
	v_mul_f64 v[28:29], v[200:201], v[198:199]
	v_fma_f64 v[26:27], v[200:201], v[196:197], -v[26:27]
	v_fmac_f64_e32 v[28:29], v[202:203], v[196:197]
	v_add_f64 v[2:3], v[2:3], v[26:27]
	v_add_f64 v[4:5], v[4:5], v[28:29]
	s_andn2_b64 exec, exec, s[10:11]
	s_cbranch_execnz .LBB125_477
; %bb.478:
	s_or_b64 exec, exec, s[10:11]
.LBB125_479:
	s_or_b64 exec, exec, s[2:3]
.LBB125_480:
	s_or_b64 exec, exec, s[8:9]
	v_mov_b32_e32 v6, 0
	ds_read_b128 v[196:199], v6 offset:416
	s_waitcnt lgkmcnt(0)
	v_mul_f64 v[6:7], v[4:5], v[198:199]
	v_mul_f64 v[200:201], v[2:3], v[198:199]
	v_fma_f64 v[198:199], v[2:3], v[196:197], -v[6:7]
	v_fmac_f64_e32 v[200:201], v[4:5], v[196:197]
	scratch_store_dwordx4 off, v[198:201], off offset:416
.LBB125_481:
	s_or_b64 exec, exec, s[4:5]
	scratch_load_dwordx4 v[2:5], v170, off
	v_cmp_lt_u32_e64 s[2:3], 25, v0
	s_waitcnt vmcnt(0)
	ds_write_b128 v9, v[2:5]
	s_waitcnt lgkmcnt(0)
	; wave barrier
	s_waitcnt lgkmcnt(0)
	s_and_saveexec_b64 s[4:5], s[2:3]
	s_cbranch_execz .LBB125_495
; %bb.482:
	ds_read_b128 v[2:5], v9
	s_andn2_b64 vcc, exec, s[6:7]
	s_cbranch_vccnz .LBB125_484
; %bb.483:
	scratch_load_dwordx4 v[196:199], v8, off
	s_waitcnt vmcnt(0) lgkmcnt(0)
	v_mul_f64 v[26:27], v[2:3], v[198:199]
	v_mul_f64 v[6:7], v[4:5], v[198:199]
	v_fmac_f64_e32 v[26:27], v[4:5], v[196:197]
	v_fma_f64 v[2:3], v[2:3], v[196:197], -v[6:7]
	v_mov_b64_e32 v[4:5], v[26:27]
.LBB125_484:
	s_and_saveexec_b64 s[8:9], s[0:1]
	s_cbranch_execz .LBB125_494
; %bb.485:
	v_subrev_u32_e32 v7, 27, v0
	v_subrev_u32_e32 v6, 26, v0
	v_cmp_lt_u32_e32 vcc, 6, v7
	v_mov_b32_e32 v196, 26
	s_and_saveexec_b64 s[0:1], vcc
	s_cbranch_execz .LBB125_489
; %bb.486:
	v_and_b32_e32 v7, -8, v6
	s_mov_b32 s12, 0
	s_mov_b64 s[10:11], 0
	v_mov_b32_e32 v195, 0
	s_mov_b32 s13, 0
.LBB125_487:                            ; =>This Inner Loop Header: Depth=1
	v_readfirstlane_b32 s14, v195
	s_add_i32 s14, s14, s12
	s_add_i32 s15, s14, 0x1a0
	v_mov_b32_e32 v13, s12
	ds_read_b128 v[196:199], v13 offset:1408
	ds_read_b128 v[200:203], v13 offset:1424
	;; [unrolled: 1-line block ×4, first 2 shown]
	scratch_load_dwordx4 v[212:215], off, s15
	s_add_i32 s15, s14, 0x1b0
	s_addk_i32 s12, 0x80
	s_waitcnt vmcnt(0) lgkmcnt(3)
	v_mul_f64 v[26:27], v[198:199], v[214:215]
	v_mul_f64 v[28:29], v[196:197], v[214:215]
	v_fma_f64 v[26:27], v[196:197], v[212:213], -v[26:27]
	v_fmac_f64_e32 v[28:29], v[198:199], v[212:213]
	v_add_f64 v[26:27], v[2:3], v[26:27]
	v_add_f64 v[28:29], v[4:5], v[28:29]
	scratch_load_dwordx4 v[2:5], off, s15
	s_add_i32 s15, s14, 0x1c0
	s_waitcnt vmcnt(0) lgkmcnt(2)
	v_mul_f64 v[36:37], v[202:203], v[4:5]
	v_mul_f64 v[4:5], v[200:201], v[4:5]
	v_fmac_f64_e32 v[4:5], v[202:203], v[2:3]
	v_fma_f64 v[36:37], v[200:201], v[2:3], -v[36:37]
	v_add_f64 v[28:29], v[28:29], v[4:5]
	scratch_load_dwordx4 v[2:5], off, s15
	v_add_f64 v[26:27], v[26:27], v[36:37]
	s_add_i32 s15, s14, 0x1d0
	s_waitcnt vmcnt(0) lgkmcnt(1)
	v_mul_f64 v[36:37], v[206:207], v[4:5]
	v_mul_f64 v[4:5], v[204:205], v[4:5]
	v_fmac_f64_e32 v[4:5], v[206:207], v[2:3]
	v_fma_f64 v[36:37], v[204:205], v[2:3], -v[36:37]
	v_add_f64 v[28:29], v[28:29], v[4:5]
	scratch_load_dwordx4 v[2:5], off, s15
	s_add_i32 s15, s14, 0x1e0
	scratch_load_dwordx4 v[196:199], off, s15
	v_add_f64 v[26:27], v[26:27], v[36:37]
	s_add_i32 s15, s14, 0x1f0
	s_waitcnt vmcnt(1) lgkmcnt(0)
	v_mul_f64 v[36:37], v[210:211], v[4:5]
	v_mul_f64 v[4:5], v[208:209], v[4:5]
	v_fmac_f64_e32 v[4:5], v[210:211], v[2:3]
	v_fma_f64 v[36:37], v[208:209], v[2:3], -v[36:37]
	v_add_f64 v[28:29], v[28:29], v[4:5]
	ds_read_b128 v[2:5], v13 offset:1472
	v_add_f64 v[26:27], v[26:27], v[36:37]
	s_waitcnt vmcnt(0) lgkmcnt(0)
	v_mul_f64 v[36:37], v[4:5], v[198:199]
	v_fma_f64 v[36:37], v[2:3], v[196:197], -v[36:37]
	v_mul_f64 v[2:3], v[2:3], v[198:199]
	v_fmac_f64_e32 v[2:3], v[4:5], v[196:197]
	scratch_load_dwordx4 v[196:199], off, s15
	v_add_f64 v[28:29], v[28:29], v[2:3]
	ds_read_b128 v[2:5], v13 offset:1488
	v_add_f64 v[26:27], v[26:27], v[36:37]
	s_add_i32 s15, s14, 0x200
	s_addk_i32 s14, 0x210
	s_waitcnt vmcnt(0) lgkmcnt(0)
	v_mul_f64 v[36:37], v[4:5], v[198:199]
	v_fma_f64 v[36:37], v[2:3], v[196:197], -v[36:37]
	v_mul_f64 v[2:3], v[2:3], v[198:199]
	v_fmac_f64_e32 v[2:3], v[4:5], v[196:197]
	scratch_load_dwordx4 v[196:199], off, s15
	v_add_f64 v[28:29], v[28:29], v[2:3]
	ds_read_b128 v[2:5], v13 offset:1504
	v_add_f64 v[26:27], v[26:27], v[36:37]
	s_waitcnt vmcnt(0) lgkmcnt(0)
	v_mul_f64 v[36:37], v[4:5], v[198:199]
	v_fma_f64 v[36:37], v[2:3], v[196:197], -v[36:37]
	v_mul_f64 v[2:3], v[2:3], v[198:199]
	v_fmac_f64_e32 v[2:3], v[4:5], v[196:197]
	scratch_load_dwordx4 v[196:199], off, s14
	v_add_f64 v[28:29], v[28:29], v[2:3]
	ds_read_b128 v[2:5], v13 offset:1520
	v_add_f64 v[26:27], v[26:27], v[36:37]
	s_add_i32 s14, s13, 8
	v_cmp_eq_u32_e32 vcc, s14, v7
	s_add_i32 s13, s13, 34
	s_or_b64 s[10:11], vcc, s[10:11]
	s_waitcnt vmcnt(0) lgkmcnt(0)
	v_mul_f64 v[36:37], v[4:5], v[198:199]
	v_mul_f64 v[138:139], v[2:3], v[198:199]
	v_fma_f64 v[36:37], v[2:3], v[196:197], -v[36:37]
	v_fmac_f64_e32 v[138:139], v[4:5], v[196:197]
	v_add_f64 v[2:3], v[26:27], v[36:37]
	v_add_f64 v[4:5], v[28:29], v[138:139]
	v_mov_b32_e32 v196, s13
	s_mov_b32 s13, s14
	s_andn2_b64 exec, exec, s[10:11]
	s_cbranch_execnz .LBB125_487
; %bb.488:
	s_or_b64 exec, exec, s[10:11]
.LBB125_489:
	s_or_b64 exec, exec, s[0:1]
	v_and_b32_e32 v6, 7, v6
	v_cmp_ne_u32_e32 vcc, 0, v6
	s_and_saveexec_b64 s[0:1], vcc
	s_cbranch_execz .LBB125_493
; %bb.490:
	v_lshlrev_b32_e32 v13, 4, v196
	v_add_u32_e32 v7, 0x3e0, v13
	v_add_u32_e32 v195, 0, v13
	s_mov_b64 s[10:11], 0
.LBB125_491:                            ; =>This Inner Loop Header: Depth=1
	scratch_load_dwordx4 v[196:199], v195, off
	ds_read_b128 v[200:203], v7
	v_add_u32_e32 v6, -1, v6
	v_cmp_eq_u32_e32 vcc, 0, v6
	v_add_u32_e32 v7, 16, v7
	v_add_u32_e32 v195, 16, v195
	s_or_b64 s[10:11], vcc, s[10:11]
	s_waitcnt vmcnt(0) lgkmcnt(0)
	v_mul_f64 v[26:27], v[202:203], v[198:199]
	v_mul_f64 v[28:29], v[200:201], v[198:199]
	v_fma_f64 v[26:27], v[200:201], v[196:197], -v[26:27]
	v_fmac_f64_e32 v[28:29], v[202:203], v[196:197]
	v_add_f64 v[2:3], v[2:3], v[26:27]
	v_add_f64 v[4:5], v[4:5], v[28:29]
	s_andn2_b64 exec, exec, s[10:11]
	s_cbranch_execnz .LBB125_491
; %bb.492:
	s_or_b64 exec, exec, s[10:11]
.LBB125_493:
	s_or_b64 exec, exec, s[0:1]
.LBB125_494:
	s_or_b64 exec, exec, s[8:9]
	v_mov_b32_e32 v6, 0
	ds_read_b128 v[196:199], v6 offset:400
	s_waitcnt lgkmcnt(0)
	v_mul_f64 v[6:7], v[4:5], v[198:199]
	v_mul_f64 v[200:201], v[2:3], v[198:199]
	v_fma_f64 v[198:199], v[2:3], v[196:197], -v[6:7]
	v_fmac_f64_e32 v[200:201], v[4:5], v[196:197]
	scratch_store_dwordx4 off, v[198:201], off offset:400
.LBB125_495:
	s_or_b64 exec, exec, s[4:5]
	scratch_load_dwordx4 v[2:5], v171, off
	v_cmp_lt_u32_e64 s[0:1], 24, v0
	s_waitcnt vmcnt(0)
	ds_write_b128 v9, v[2:5]
	s_waitcnt lgkmcnt(0)
	; wave barrier
	s_waitcnt lgkmcnt(0)
	s_and_saveexec_b64 s[4:5], s[0:1]
	s_cbranch_execz .LBB125_509
; %bb.496:
	ds_read_b128 v[2:5], v9
	s_andn2_b64 vcc, exec, s[6:7]
	s_cbranch_vccnz .LBB125_498
; %bb.497:
	scratch_load_dwordx4 v[196:199], v8, off
	s_waitcnt vmcnt(0) lgkmcnt(0)
	v_mul_f64 v[26:27], v[2:3], v[198:199]
	v_mul_f64 v[6:7], v[4:5], v[198:199]
	v_fmac_f64_e32 v[26:27], v[4:5], v[196:197]
	v_fma_f64 v[2:3], v[2:3], v[196:197], -v[6:7]
	v_mov_b64_e32 v[4:5], v[26:27]
.LBB125_498:
	s_and_saveexec_b64 s[8:9], s[2:3]
	s_cbranch_execz .LBB125_508
; %bb.499:
	v_subrev_u32_e32 v7, 26, v0
	v_subrev_u32_e32 v6, 25, v0
	v_cmp_lt_u32_e32 vcc, 6, v7
	v_mov_b32_e32 v196, 25
	s_and_saveexec_b64 s[2:3], vcc
	s_cbranch_execz .LBB125_503
; %bb.500:
	v_and_b32_e32 v7, -8, v6
	s_mov_b32 s12, 0
	s_mov_b64 s[10:11], 0
	v_mov_b32_e32 v195, 0
	s_mov_b32 s13, 0
.LBB125_501:                            ; =>This Inner Loop Header: Depth=1
	v_readfirstlane_b32 s14, v195
	s_add_i32 s14, s14, s12
	s_add_i32 s15, s14, 0x190
	v_mov_b32_e32 v13, s12
	ds_read_b128 v[196:199], v13 offset:1392
	ds_read_b128 v[200:203], v13 offset:1408
	;; [unrolled: 1-line block ×4, first 2 shown]
	scratch_load_dwordx4 v[212:215], off, s15
	s_add_i32 s15, s14, 0x1a0
	s_addk_i32 s12, 0x80
	s_waitcnt vmcnt(0) lgkmcnt(3)
	v_mul_f64 v[26:27], v[198:199], v[214:215]
	v_mul_f64 v[28:29], v[196:197], v[214:215]
	v_fma_f64 v[26:27], v[196:197], v[212:213], -v[26:27]
	v_fmac_f64_e32 v[28:29], v[198:199], v[212:213]
	v_add_f64 v[26:27], v[2:3], v[26:27]
	v_add_f64 v[28:29], v[4:5], v[28:29]
	scratch_load_dwordx4 v[2:5], off, s15
	s_add_i32 s15, s14, 0x1b0
	s_waitcnt vmcnt(0) lgkmcnt(2)
	v_mul_f64 v[36:37], v[202:203], v[4:5]
	v_mul_f64 v[4:5], v[200:201], v[4:5]
	v_fmac_f64_e32 v[4:5], v[202:203], v[2:3]
	v_fma_f64 v[36:37], v[200:201], v[2:3], -v[36:37]
	v_add_f64 v[28:29], v[28:29], v[4:5]
	scratch_load_dwordx4 v[2:5], off, s15
	v_add_f64 v[26:27], v[26:27], v[36:37]
	s_add_i32 s15, s14, 0x1c0
	s_waitcnt vmcnt(0) lgkmcnt(1)
	v_mul_f64 v[36:37], v[206:207], v[4:5]
	v_mul_f64 v[4:5], v[204:205], v[4:5]
	v_fmac_f64_e32 v[4:5], v[206:207], v[2:3]
	v_fma_f64 v[36:37], v[204:205], v[2:3], -v[36:37]
	v_add_f64 v[28:29], v[28:29], v[4:5]
	scratch_load_dwordx4 v[2:5], off, s15
	s_add_i32 s15, s14, 0x1d0
	scratch_load_dwordx4 v[196:199], off, s15
	v_add_f64 v[26:27], v[26:27], v[36:37]
	s_add_i32 s15, s14, 0x1e0
	s_waitcnt vmcnt(1) lgkmcnt(0)
	v_mul_f64 v[36:37], v[210:211], v[4:5]
	v_mul_f64 v[4:5], v[208:209], v[4:5]
	v_fmac_f64_e32 v[4:5], v[210:211], v[2:3]
	v_fma_f64 v[36:37], v[208:209], v[2:3], -v[36:37]
	v_add_f64 v[28:29], v[28:29], v[4:5]
	ds_read_b128 v[2:5], v13 offset:1456
	v_add_f64 v[26:27], v[26:27], v[36:37]
	s_waitcnt vmcnt(0) lgkmcnt(0)
	v_mul_f64 v[36:37], v[4:5], v[198:199]
	v_fma_f64 v[36:37], v[2:3], v[196:197], -v[36:37]
	v_mul_f64 v[2:3], v[2:3], v[198:199]
	v_fmac_f64_e32 v[2:3], v[4:5], v[196:197]
	scratch_load_dwordx4 v[196:199], off, s15
	v_add_f64 v[28:29], v[28:29], v[2:3]
	ds_read_b128 v[2:5], v13 offset:1472
	v_add_f64 v[26:27], v[26:27], v[36:37]
	s_add_i32 s15, s14, 0x1f0
	s_addk_i32 s14, 0x200
	s_waitcnt vmcnt(0) lgkmcnt(0)
	v_mul_f64 v[36:37], v[4:5], v[198:199]
	v_fma_f64 v[36:37], v[2:3], v[196:197], -v[36:37]
	v_mul_f64 v[2:3], v[2:3], v[198:199]
	v_fmac_f64_e32 v[2:3], v[4:5], v[196:197]
	scratch_load_dwordx4 v[196:199], off, s15
	v_add_f64 v[28:29], v[28:29], v[2:3]
	ds_read_b128 v[2:5], v13 offset:1488
	v_add_f64 v[26:27], v[26:27], v[36:37]
	s_waitcnt vmcnt(0) lgkmcnt(0)
	v_mul_f64 v[36:37], v[4:5], v[198:199]
	v_fma_f64 v[36:37], v[2:3], v[196:197], -v[36:37]
	v_mul_f64 v[2:3], v[2:3], v[198:199]
	v_fmac_f64_e32 v[2:3], v[4:5], v[196:197]
	scratch_load_dwordx4 v[196:199], off, s14
	v_add_f64 v[28:29], v[28:29], v[2:3]
	ds_read_b128 v[2:5], v13 offset:1504
	v_add_f64 v[26:27], v[26:27], v[36:37]
	s_add_i32 s14, s13, 8
	v_cmp_eq_u32_e32 vcc, s14, v7
	s_add_i32 s13, s13, 33
	s_or_b64 s[10:11], vcc, s[10:11]
	s_waitcnt vmcnt(0) lgkmcnt(0)
	v_mul_f64 v[36:37], v[4:5], v[198:199]
	v_mul_f64 v[138:139], v[2:3], v[198:199]
	v_fma_f64 v[36:37], v[2:3], v[196:197], -v[36:37]
	v_fmac_f64_e32 v[138:139], v[4:5], v[196:197]
	v_add_f64 v[2:3], v[26:27], v[36:37]
	v_add_f64 v[4:5], v[28:29], v[138:139]
	v_mov_b32_e32 v196, s13
	s_mov_b32 s13, s14
	s_andn2_b64 exec, exec, s[10:11]
	s_cbranch_execnz .LBB125_501
; %bb.502:
	s_or_b64 exec, exec, s[10:11]
.LBB125_503:
	s_or_b64 exec, exec, s[2:3]
	v_and_b32_e32 v6, 7, v6
	v_cmp_ne_u32_e32 vcc, 0, v6
	s_and_saveexec_b64 s[2:3], vcc
	s_cbranch_execz .LBB125_507
; %bb.504:
	v_lshlrev_b32_e32 v13, 4, v196
	v_add_u32_e32 v7, 0x3e0, v13
	v_add_u32_e32 v195, 0, v13
	s_mov_b64 s[10:11], 0
.LBB125_505:                            ; =>This Inner Loop Header: Depth=1
	scratch_load_dwordx4 v[196:199], v195, off
	ds_read_b128 v[200:203], v7
	v_add_u32_e32 v6, -1, v6
	v_cmp_eq_u32_e32 vcc, 0, v6
	v_add_u32_e32 v7, 16, v7
	v_add_u32_e32 v195, 16, v195
	s_or_b64 s[10:11], vcc, s[10:11]
	s_waitcnt vmcnt(0) lgkmcnt(0)
	v_mul_f64 v[26:27], v[202:203], v[198:199]
	v_mul_f64 v[28:29], v[200:201], v[198:199]
	v_fma_f64 v[26:27], v[200:201], v[196:197], -v[26:27]
	v_fmac_f64_e32 v[28:29], v[202:203], v[196:197]
	v_add_f64 v[2:3], v[2:3], v[26:27]
	v_add_f64 v[4:5], v[4:5], v[28:29]
	s_andn2_b64 exec, exec, s[10:11]
	s_cbranch_execnz .LBB125_505
; %bb.506:
	s_or_b64 exec, exec, s[10:11]
.LBB125_507:
	s_or_b64 exec, exec, s[2:3]
.LBB125_508:
	s_or_b64 exec, exec, s[8:9]
	v_mov_b32_e32 v6, 0
	ds_read_b128 v[196:199], v6 offset:384
	s_waitcnt lgkmcnt(0)
	v_mul_f64 v[6:7], v[4:5], v[198:199]
	v_mul_f64 v[200:201], v[2:3], v[198:199]
	v_fma_f64 v[198:199], v[2:3], v[196:197], -v[6:7]
	v_fmac_f64_e32 v[200:201], v[4:5], v[196:197]
	scratch_store_dwordx4 off, v[198:201], off offset:384
.LBB125_509:
	s_or_b64 exec, exec, s[4:5]
	scratch_load_dwordx4 v[2:5], v172, off
	v_cmp_lt_u32_e64 s[2:3], 23, v0
	s_waitcnt vmcnt(0)
	ds_write_b128 v9, v[2:5]
	s_waitcnt lgkmcnt(0)
	; wave barrier
	s_waitcnt lgkmcnt(0)
	s_and_saveexec_b64 s[4:5], s[2:3]
	s_cbranch_execz .LBB125_523
; %bb.510:
	ds_read_b128 v[2:5], v9
	s_andn2_b64 vcc, exec, s[6:7]
	s_cbranch_vccnz .LBB125_512
; %bb.511:
	scratch_load_dwordx4 v[196:199], v8, off
	s_waitcnt vmcnt(0) lgkmcnt(0)
	v_mul_f64 v[26:27], v[2:3], v[198:199]
	v_mul_f64 v[6:7], v[4:5], v[198:199]
	v_fmac_f64_e32 v[26:27], v[4:5], v[196:197]
	v_fma_f64 v[2:3], v[2:3], v[196:197], -v[6:7]
	v_mov_b64_e32 v[4:5], v[26:27]
.LBB125_512:
	s_and_saveexec_b64 s[8:9], s[0:1]
	s_cbranch_execz .LBB125_522
; %bb.513:
	v_subrev_u32_e32 v6, 25, v0
	v_cmp_lt_u32_e32 vcc, 6, v6
	v_mov_b32_e32 v6, 24
	s_and_saveexec_b64 s[0:1], vcc
	s_cbranch_execz .LBB125_517
; %bb.514:
	v_and_b32_e32 v6, 56, v0
	s_mov_b32 s12, 24
	s_mov_b32 s13, 0
	s_mov_b64 s[10:11], 0
	v_mov_b32_e32 v7, 0
.LBB125_515:                            ; =>This Inner Loop Header: Depth=1
	s_nop 0
	v_readfirstlane_b32 s14, v7
	s_add_i32 s14, s14, s13
	s_add_i32 s15, s14, 0x180
	v_mov_b32_e32 v13, s13
	ds_read_b128 v[196:199], v13 offset:1376
	ds_read_b128 v[200:203], v13 offset:1392
	;; [unrolled: 1-line block ×4, first 2 shown]
	scratch_load_dwordx4 v[212:215], off, s15
	s_add_i32 s15, s14, 0x190
	s_add_i32 s12, s12, 8
	s_addk_i32 s13, 0x80
	v_cmp_eq_u32_e32 vcc, s12, v6
	s_waitcnt vmcnt(0) lgkmcnt(3)
	v_mul_f64 v[26:27], v[198:199], v[214:215]
	v_mul_f64 v[28:29], v[196:197], v[214:215]
	v_fma_f64 v[26:27], v[196:197], v[212:213], -v[26:27]
	v_fmac_f64_e32 v[28:29], v[198:199], v[212:213]
	v_add_f64 v[26:27], v[2:3], v[26:27]
	v_add_f64 v[28:29], v[4:5], v[28:29]
	scratch_load_dwordx4 v[2:5], off, s15
	s_add_i32 s15, s14, 0x1a0
	s_waitcnt vmcnt(0) lgkmcnt(2)
	v_mul_f64 v[36:37], v[202:203], v[4:5]
	v_mul_f64 v[4:5], v[200:201], v[4:5]
	v_fmac_f64_e32 v[4:5], v[202:203], v[2:3]
	v_fma_f64 v[36:37], v[200:201], v[2:3], -v[36:37]
	v_add_f64 v[28:29], v[28:29], v[4:5]
	scratch_load_dwordx4 v[2:5], off, s15
	v_add_f64 v[26:27], v[26:27], v[36:37]
	s_add_i32 s15, s14, 0x1b0
	s_waitcnt vmcnt(0) lgkmcnt(1)
	v_mul_f64 v[36:37], v[206:207], v[4:5]
	v_mul_f64 v[4:5], v[204:205], v[4:5]
	v_fmac_f64_e32 v[4:5], v[206:207], v[2:3]
	v_fma_f64 v[36:37], v[204:205], v[2:3], -v[36:37]
	v_add_f64 v[28:29], v[28:29], v[4:5]
	scratch_load_dwordx4 v[2:5], off, s15
	s_add_i32 s15, s14, 0x1c0
	scratch_load_dwordx4 v[196:199], off, s15
	v_add_f64 v[26:27], v[26:27], v[36:37]
	s_add_i32 s15, s14, 0x1d0
	s_waitcnt vmcnt(1) lgkmcnt(0)
	v_mul_f64 v[36:37], v[210:211], v[4:5]
	v_mul_f64 v[4:5], v[208:209], v[4:5]
	v_fmac_f64_e32 v[4:5], v[210:211], v[2:3]
	v_fma_f64 v[36:37], v[208:209], v[2:3], -v[36:37]
	v_add_f64 v[28:29], v[28:29], v[4:5]
	ds_read_b128 v[2:5], v13 offset:1440
	v_add_f64 v[26:27], v[26:27], v[36:37]
	s_waitcnt vmcnt(0) lgkmcnt(0)
	v_mul_f64 v[36:37], v[4:5], v[198:199]
	v_fma_f64 v[36:37], v[2:3], v[196:197], -v[36:37]
	v_mul_f64 v[2:3], v[2:3], v[198:199]
	v_fmac_f64_e32 v[2:3], v[4:5], v[196:197]
	scratch_load_dwordx4 v[196:199], off, s15
	v_add_f64 v[28:29], v[28:29], v[2:3]
	ds_read_b128 v[2:5], v13 offset:1456
	v_add_f64 v[26:27], v[26:27], v[36:37]
	s_add_i32 s15, s14, 0x1e0
	s_addk_i32 s14, 0x1f0
	s_or_b64 s[10:11], vcc, s[10:11]
	s_waitcnt vmcnt(0) lgkmcnt(0)
	v_mul_f64 v[36:37], v[4:5], v[198:199]
	v_fma_f64 v[36:37], v[2:3], v[196:197], -v[36:37]
	v_mul_f64 v[2:3], v[2:3], v[198:199]
	v_fmac_f64_e32 v[2:3], v[4:5], v[196:197]
	scratch_load_dwordx4 v[196:199], off, s15
	v_add_f64 v[28:29], v[28:29], v[2:3]
	ds_read_b128 v[2:5], v13 offset:1472
	v_add_f64 v[26:27], v[26:27], v[36:37]
	s_waitcnt vmcnt(0) lgkmcnt(0)
	v_mul_f64 v[36:37], v[4:5], v[198:199]
	v_fma_f64 v[36:37], v[2:3], v[196:197], -v[36:37]
	v_mul_f64 v[2:3], v[2:3], v[198:199]
	v_fmac_f64_e32 v[2:3], v[4:5], v[196:197]
	scratch_load_dwordx4 v[196:199], off, s14
	v_add_f64 v[28:29], v[28:29], v[2:3]
	ds_read_b128 v[2:5], v13 offset:1488
	v_add_f64 v[26:27], v[26:27], v[36:37]
	s_waitcnt vmcnt(0) lgkmcnt(0)
	v_mul_f64 v[36:37], v[4:5], v[198:199]
	v_mul_f64 v[138:139], v[2:3], v[198:199]
	v_fma_f64 v[36:37], v[2:3], v[196:197], -v[36:37]
	v_fmac_f64_e32 v[138:139], v[4:5], v[196:197]
	v_add_f64 v[2:3], v[26:27], v[36:37]
	v_add_f64 v[4:5], v[28:29], v[138:139]
	s_andn2_b64 exec, exec, s[10:11]
	s_cbranch_execnz .LBB125_515
; %bb.516:
	s_or_b64 exec, exec, s[10:11]
.LBB125_517:
	s_or_b64 exec, exec, s[0:1]
	v_and_b32_e32 v7, 7, v0
	v_cmp_ne_u32_e32 vcc, 0, v7
	s_and_saveexec_b64 s[0:1], vcc
	s_cbranch_execz .LBB125_521
; %bb.518:
	v_lshlrev_b32_e32 v13, 4, v6
	v_add_u32_e32 v6, 0x3e0, v13
	v_add_u32_e32 v195, 0, v13
	s_mov_b64 s[10:11], 0
.LBB125_519:                            ; =>This Inner Loop Header: Depth=1
	scratch_load_dwordx4 v[196:199], v195, off
	ds_read_b128 v[200:203], v6
	v_add_u32_e32 v7, -1, v7
	v_cmp_eq_u32_e32 vcc, 0, v7
	v_add_u32_e32 v6, 16, v6
	v_add_u32_e32 v195, 16, v195
	s_or_b64 s[10:11], vcc, s[10:11]
	s_waitcnt vmcnt(0) lgkmcnt(0)
	v_mul_f64 v[26:27], v[202:203], v[198:199]
	v_mul_f64 v[28:29], v[200:201], v[198:199]
	v_fma_f64 v[26:27], v[200:201], v[196:197], -v[26:27]
	v_fmac_f64_e32 v[28:29], v[202:203], v[196:197]
	v_add_f64 v[2:3], v[2:3], v[26:27]
	v_add_f64 v[4:5], v[4:5], v[28:29]
	s_andn2_b64 exec, exec, s[10:11]
	s_cbranch_execnz .LBB125_519
; %bb.520:
	s_or_b64 exec, exec, s[10:11]
.LBB125_521:
	s_or_b64 exec, exec, s[0:1]
.LBB125_522:
	s_or_b64 exec, exec, s[8:9]
	v_mov_b32_e32 v6, 0
	ds_read_b128 v[196:199], v6 offset:368
	s_waitcnt lgkmcnt(0)
	v_mul_f64 v[6:7], v[4:5], v[198:199]
	v_mul_f64 v[200:201], v[2:3], v[198:199]
	v_fma_f64 v[198:199], v[2:3], v[196:197], -v[6:7]
	v_fmac_f64_e32 v[200:201], v[4:5], v[196:197]
	scratch_store_dwordx4 off, v[198:201], off offset:368
.LBB125_523:
	s_or_b64 exec, exec, s[4:5]
	scratch_load_dwordx4 v[2:5], v173, off
	v_cmp_lt_u32_e64 s[0:1], 22, v0
	s_waitcnt vmcnt(0)
	ds_write_b128 v9, v[2:5]
	s_waitcnt lgkmcnt(0)
	; wave barrier
	s_waitcnt lgkmcnt(0)
	s_and_saveexec_b64 s[4:5], s[0:1]
	s_cbranch_execz .LBB125_537
; %bb.524:
	ds_read_b128 v[2:5], v9
	s_andn2_b64 vcc, exec, s[6:7]
	s_cbranch_vccnz .LBB125_526
; %bb.525:
	scratch_load_dwordx4 v[196:199], v8, off
	s_waitcnt vmcnt(0) lgkmcnt(0)
	v_mul_f64 v[26:27], v[2:3], v[198:199]
	v_mul_f64 v[6:7], v[4:5], v[198:199]
	v_fmac_f64_e32 v[26:27], v[4:5], v[196:197]
	v_fma_f64 v[2:3], v[2:3], v[196:197], -v[6:7]
	v_mov_b64_e32 v[4:5], v[26:27]
.LBB125_526:
	s_and_saveexec_b64 s[8:9], s[2:3]
	s_cbranch_execz .LBB125_536
; %bb.527:
	v_subrev_u32_e32 v7, 24, v0
	v_subrev_u32_e32 v6, 23, v0
	v_cmp_lt_u32_e32 vcc, 6, v7
	v_mov_b32_e32 v196, 23
	s_and_saveexec_b64 s[2:3], vcc
	s_cbranch_execz .LBB125_531
; %bb.528:
	v_and_b32_e32 v7, -8, v6
	s_mov_b32 s12, 0
	s_mov_b64 s[10:11], 0
	v_mov_b32_e32 v195, 0
	s_mov_b32 s13, 0
.LBB125_529:                            ; =>This Inner Loop Header: Depth=1
	v_readfirstlane_b32 s14, v195
	s_add_i32 s14, s14, s12
	s_add_i32 s15, s14, 0x170
	v_mov_b32_e32 v13, s12
	ds_read_b128 v[196:199], v13 offset:1360
	ds_read_b128 v[200:203], v13 offset:1376
	;; [unrolled: 1-line block ×4, first 2 shown]
	scratch_load_dwordx4 v[212:215], off, s15
	s_add_i32 s15, s14, 0x180
	s_addk_i32 s12, 0x80
	s_waitcnt vmcnt(0) lgkmcnt(3)
	v_mul_f64 v[26:27], v[198:199], v[214:215]
	v_mul_f64 v[28:29], v[196:197], v[214:215]
	v_fma_f64 v[26:27], v[196:197], v[212:213], -v[26:27]
	v_fmac_f64_e32 v[28:29], v[198:199], v[212:213]
	v_add_f64 v[26:27], v[2:3], v[26:27]
	v_add_f64 v[28:29], v[4:5], v[28:29]
	scratch_load_dwordx4 v[2:5], off, s15
	s_add_i32 s15, s14, 0x190
	s_waitcnt vmcnt(0) lgkmcnt(2)
	v_mul_f64 v[36:37], v[202:203], v[4:5]
	v_mul_f64 v[4:5], v[200:201], v[4:5]
	v_fmac_f64_e32 v[4:5], v[202:203], v[2:3]
	v_fma_f64 v[36:37], v[200:201], v[2:3], -v[36:37]
	v_add_f64 v[28:29], v[28:29], v[4:5]
	scratch_load_dwordx4 v[2:5], off, s15
	v_add_f64 v[26:27], v[26:27], v[36:37]
	s_add_i32 s15, s14, 0x1a0
	s_waitcnt vmcnt(0) lgkmcnt(1)
	v_mul_f64 v[36:37], v[206:207], v[4:5]
	v_mul_f64 v[4:5], v[204:205], v[4:5]
	v_fmac_f64_e32 v[4:5], v[206:207], v[2:3]
	v_fma_f64 v[36:37], v[204:205], v[2:3], -v[36:37]
	v_add_f64 v[28:29], v[28:29], v[4:5]
	scratch_load_dwordx4 v[2:5], off, s15
	s_add_i32 s15, s14, 0x1b0
	scratch_load_dwordx4 v[196:199], off, s15
	v_add_f64 v[26:27], v[26:27], v[36:37]
	s_add_i32 s15, s14, 0x1c0
	s_waitcnt vmcnt(1) lgkmcnt(0)
	v_mul_f64 v[36:37], v[210:211], v[4:5]
	v_mul_f64 v[4:5], v[208:209], v[4:5]
	v_fmac_f64_e32 v[4:5], v[210:211], v[2:3]
	v_fma_f64 v[36:37], v[208:209], v[2:3], -v[36:37]
	v_add_f64 v[28:29], v[28:29], v[4:5]
	ds_read_b128 v[2:5], v13 offset:1424
	v_add_f64 v[26:27], v[26:27], v[36:37]
	s_waitcnt vmcnt(0) lgkmcnt(0)
	v_mul_f64 v[36:37], v[4:5], v[198:199]
	v_fma_f64 v[36:37], v[2:3], v[196:197], -v[36:37]
	v_mul_f64 v[2:3], v[2:3], v[198:199]
	v_fmac_f64_e32 v[2:3], v[4:5], v[196:197]
	scratch_load_dwordx4 v[196:199], off, s15
	v_add_f64 v[28:29], v[28:29], v[2:3]
	ds_read_b128 v[2:5], v13 offset:1440
	v_add_f64 v[26:27], v[26:27], v[36:37]
	s_add_i32 s15, s14, 0x1d0
	s_addk_i32 s14, 0x1e0
	s_waitcnt vmcnt(0) lgkmcnt(0)
	v_mul_f64 v[36:37], v[4:5], v[198:199]
	v_fma_f64 v[36:37], v[2:3], v[196:197], -v[36:37]
	v_mul_f64 v[2:3], v[2:3], v[198:199]
	v_fmac_f64_e32 v[2:3], v[4:5], v[196:197]
	scratch_load_dwordx4 v[196:199], off, s15
	v_add_f64 v[28:29], v[28:29], v[2:3]
	ds_read_b128 v[2:5], v13 offset:1456
	v_add_f64 v[26:27], v[26:27], v[36:37]
	s_waitcnt vmcnt(0) lgkmcnt(0)
	v_mul_f64 v[36:37], v[4:5], v[198:199]
	v_fma_f64 v[36:37], v[2:3], v[196:197], -v[36:37]
	v_mul_f64 v[2:3], v[2:3], v[198:199]
	v_fmac_f64_e32 v[2:3], v[4:5], v[196:197]
	scratch_load_dwordx4 v[196:199], off, s14
	v_add_f64 v[28:29], v[28:29], v[2:3]
	ds_read_b128 v[2:5], v13 offset:1472
	v_add_f64 v[26:27], v[26:27], v[36:37]
	s_add_i32 s14, s13, 8
	v_cmp_eq_u32_e32 vcc, s14, v7
	s_add_i32 s13, s13, 31
	s_or_b64 s[10:11], vcc, s[10:11]
	s_waitcnt vmcnt(0) lgkmcnt(0)
	v_mul_f64 v[36:37], v[4:5], v[198:199]
	v_mul_f64 v[138:139], v[2:3], v[198:199]
	v_fma_f64 v[36:37], v[2:3], v[196:197], -v[36:37]
	v_fmac_f64_e32 v[138:139], v[4:5], v[196:197]
	v_add_f64 v[2:3], v[26:27], v[36:37]
	v_add_f64 v[4:5], v[28:29], v[138:139]
	v_mov_b32_e32 v196, s13
	s_mov_b32 s13, s14
	s_andn2_b64 exec, exec, s[10:11]
	s_cbranch_execnz .LBB125_529
; %bb.530:
	s_or_b64 exec, exec, s[10:11]
.LBB125_531:
	s_or_b64 exec, exec, s[2:3]
	v_and_b32_e32 v6, 7, v6
	v_cmp_ne_u32_e32 vcc, 0, v6
	s_and_saveexec_b64 s[2:3], vcc
	s_cbranch_execz .LBB125_535
; %bb.532:
	v_lshlrev_b32_e32 v13, 4, v196
	v_add_u32_e32 v7, 0x3e0, v13
	v_add_u32_e32 v195, 0, v13
	s_mov_b64 s[10:11], 0
.LBB125_533:                            ; =>This Inner Loop Header: Depth=1
	scratch_load_dwordx4 v[196:199], v195, off
	ds_read_b128 v[200:203], v7
	v_add_u32_e32 v6, -1, v6
	v_cmp_eq_u32_e32 vcc, 0, v6
	v_add_u32_e32 v7, 16, v7
	v_add_u32_e32 v195, 16, v195
	s_or_b64 s[10:11], vcc, s[10:11]
	s_waitcnt vmcnt(0) lgkmcnt(0)
	v_mul_f64 v[26:27], v[202:203], v[198:199]
	v_mul_f64 v[28:29], v[200:201], v[198:199]
	v_fma_f64 v[26:27], v[200:201], v[196:197], -v[26:27]
	v_fmac_f64_e32 v[28:29], v[202:203], v[196:197]
	v_add_f64 v[2:3], v[2:3], v[26:27]
	v_add_f64 v[4:5], v[4:5], v[28:29]
	s_andn2_b64 exec, exec, s[10:11]
	s_cbranch_execnz .LBB125_533
; %bb.534:
	s_or_b64 exec, exec, s[10:11]
.LBB125_535:
	s_or_b64 exec, exec, s[2:3]
.LBB125_536:
	s_or_b64 exec, exec, s[8:9]
	v_mov_b32_e32 v6, 0
	ds_read_b128 v[196:199], v6 offset:352
	s_waitcnt lgkmcnt(0)
	v_mul_f64 v[6:7], v[4:5], v[198:199]
	v_mul_f64 v[200:201], v[2:3], v[198:199]
	v_fma_f64 v[198:199], v[2:3], v[196:197], -v[6:7]
	v_fmac_f64_e32 v[200:201], v[4:5], v[196:197]
	scratch_store_dwordx4 off, v[198:201], off offset:352
.LBB125_537:
	s_or_b64 exec, exec, s[4:5]
	scratch_load_dwordx4 v[2:5], v174, off
	v_cmp_lt_u32_e64 s[2:3], 21, v0
	s_waitcnt vmcnt(0)
	ds_write_b128 v9, v[2:5]
	s_waitcnt lgkmcnt(0)
	; wave barrier
	s_waitcnt lgkmcnt(0)
	s_and_saveexec_b64 s[4:5], s[2:3]
	s_cbranch_execz .LBB125_551
; %bb.538:
	ds_read_b128 v[2:5], v9
	s_andn2_b64 vcc, exec, s[6:7]
	s_cbranch_vccnz .LBB125_540
; %bb.539:
	scratch_load_dwordx4 v[196:199], v8, off
	s_waitcnt vmcnt(0) lgkmcnt(0)
	v_mul_f64 v[26:27], v[2:3], v[198:199]
	v_mul_f64 v[6:7], v[4:5], v[198:199]
	v_fmac_f64_e32 v[26:27], v[4:5], v[196:197]
	v_fma_f64 v[2:3], v[2:3], v[196:197], -v[6:7]
	v_mov_b64_e32 v[4:5], v[26:27]
.LBB125_540:
	s_and_saveexec_b64 s[8:9], s[0:1]
	s_cbranch_execz .LBB125_550
; %bb.541:
	v_subrev_u32_e32 v7, 23, v0
	v_subrev_u32_e32 v6, 22, v0
	v_cmp_lt_u32_e32 vcc, 6, v7
	v_mov_b32_e32 v196, 22
	s_and_saveexec_b64 s[0:1], vcc
	s_cbranch_execz .LBB125_545
; %bb.542:
	v_and_b32_e32 v7, -8, v6
	s_mov_b32 s12, 0
	s_mov_b64 s[10:11], 0
	v_mov_b32_e32 v195, 0
	s_mov_b32 s13, 0
.LBB125_543:                            ; =>This Inner Loop Header: Depth=1
	v_readfirstlane_b32 s14, v195
	s_add_i32 s14, s14, s12
	s_add_i32 s15, s14, 0x160
	v_mov_b32_e32 v13, s12
	ds_read_b128 v[196:199], v13 offset:1344
	ds_read_b128 v[200:203], v13 offset:1360
	;; [unrolled: 1-line block ×4, first 2 shown]
	scratch_load_dwordx4 v[212:215], off, s15
	s_add_i32 s15, s14, 0x170
	s_addk_i32 s12, 0x80
	s_waitcnt vmcnt(0) lgkmcnt(3)
	v_mul_f64 v[26:27], v[198:199], v[214:215]
	v_mul_f64 v[28:29], v[196:197], v[214:215]
	v_fma_f64 v[26:27], v[196:197], v[212:213], -v[26:27]
	v_fmac_f64_e32 v[28:29], v[198:199], v[212:213]
	v_add_f64 v[26:27], v[2:3], v[26:27]
	v_add_f64 v[28:29], v[4:5], v[28:29]
	scratch_load_dwordx4 v[2:5], off, s15
	s_add_i32 s15, s14, 0x180
	s_waitcnt vmcnt(0) lgkmcnt(2)
	v_mul_f64 v[36:37], v[202:203], v[4:5]
	v_mul_f64 v[4:5], v[200:201], v[4:5]
	v_fmac_f64_e32 v[4:5], v[202:203], v[2:3]
	v_fma_f64 v[36:37], v[200:201], v[2:3], -v[36:37]
	v_add_f64 v[28:29], v[28:29], v[4:5]
	scratch_load_dwordx4 v[2:5], off, s15
	v_add_f64 v[26:27], v[26:27], v[36:37]
	s_add_i32 s15, s14, 0x190
	s_waitcnt vmcnt(0) lgkmcnt(1)
	v_mul_f64 v[36:37], v[206:207], v[4:5]
	v_mul_f64 v[4:5], v[204:205], v[4:5]
	v_fmac_f64_e32 v[4:5], v[206:207], v[2:3]
	v_fma_f64 v[36:37], v[204:205], v[2:3], -v[36:37]
	v_add_f64 v[28:29], v[28:29], v[4:5]
	scratch_load_dwordx4 v[2:5], off, s15
	s_add_i32 s15, s14, 0x1a0
	scratch_load_dwordx4 v[196:199], off, s15
	v_add_f64 v[26:27], v[26:27], v[36:37]
	s_add_i32 s15, s14, 0x1b0
	s_waitcnt vmcnt(1) lgkmcnt(0)
	v_mul_f64 v[36:37], v[210:211], v[4:5]
	v_mul_f64 v[4:5], v[208:209], v[4:5]
	v_fmac_f64_e32 v[4:5], v[210:211], v[2:3]
	v_fma_f64 v[36:37], v[208:209], v[2:3], -v[36:37]
	v_add_f64 v[28:29], v[28:29], v[4:5]
	ds_read_b128 v[2:5], v13 offset:1408
	v_add_f64 v[26:27], v[26:27], v[36:37]
	s_waitcnt vmcnt(0) lgkmcnt(0)
	v_mul_f64 v[36:37], v[4:5], v[198:199]
	v_fma_f64 v[36:37], v[2:3], v[196:197], -v[36:37]
	v_mul_f64 v[2:3], v[2:3], v[198:199]
	v_fmac_f64_e32 v[2:3], v[4:5], v[196:197]
	scratch_load_dwordx4 v[196:199], off, s15
	v_add_f64 v[28:29], v[28:29], v[2:3]
	ds_read_b128 v[2:5], v13 offset:1424
	v_add_f64 v[26:27], v[26:27], v[36:37]
	s_add_i32 s15, s14, 0x1c0
	s_addk_i32 s14, 0x1d0
	s_waitcnt vmcnt(0) lgkmcnt(0)
	v_mul_f64 v[36:37], v[4:5], v[198:199]
	v_fma_f64 v[36:37], v[2:3], v[196:197], -v[36:37]
	v_mul_f64 v[2:3], v[2:3], v[198:199]
	v_fmac_f64_e32 v[2:3], v[4:5], v[196:197]
	scratch_load_dwordx4 v[196:199], off, s15
	v_add_f64 v[28:29], v[28:29], v[2:3]
	ds_read_b128 v[2:5], v13 offset:1440
	v_add_f64 v[26:27], v[26:27], v[36:37]
	s_waitcnt vmcnt(0) lgkmcnt(0)
	v_mul_f64 v[36:37], v[4:5], v[198:199]
	v_fma_f64 v[36:37], v[2:3], v[196:197], -v[36:37]
	v_mul_f64 v[2:3], v[2:3], v[198:199]
	v_fmac_f64_e32 v[2:3], v[4:5], v[196:197]
	scratch_load_dwordx4 v[196:199], off, s14
	v_add_f64 v[28:29], v[28:29], v[2:3]
	ds_read_b128 v[2:5], v13 offset:1456
	v_add_f64 v[26:27], v[26:27], v[36:37]
	s_add_i32 s14, s13, 8
	v_cmp_eq_u32_e32 vcc, s14, v7
	s_add_i32 s13, s13, 30
	s_or_b64 s[10:11], vcc, s[10:11]
	s_waitcnt vmcnt(0) lgkmcnt(0)
	v_mul_f64 v[36:37], v[4:5], v[198:199]
	v_mul_f64 v[138:139], v[2:3], v[198:199]
	v_fma_f64 v[36:37], v[2:3], v[196:197], -v[36:37]
	v_fmac_f64_e32 v[138:139], v[4:5], v[196:197]
	v_add_f64 v[2:3], v[26:27], v[36:37]
	v_add_f64 v[4:5], v[28:29], v[138:139]
	v_mov_b32_e32 v196, s13
	s_mov_b32 s13, s14
	s_andn2_b64 exec, exec, s[10:11]
	s_cbranch_execnz .LBB125_543
; %bb.544:
	s_or_b64 exec, exec, s[10:11]
.LBB125_545:
	s_or_b64 exec, exec, s[0:1]
	v_and_b32_e32 v6, 7, v6
	v_cmp_ne_u32_e32 vcc, 0, v6
	s_and_saveexec_b64 s[0:1], vcc
	s_cbranch_execz .LBB125_549
; %bb.546:
	v_lshlrev_b32_e32 v13, 4, v196
	v_add_u32_e32 v7, 0x3e0, v13
	v_add_u32_e32 v195, 0, v13
	s_mov_b64 s[10:11], 0
.LBB125_547:                            ; =>This Inner Loop Header: Depth=1
	scratch_load_dwordx4 v[196:199], v195, off
	ds_read_b128 v[200:203], v7
	v_add_u32_e32 v6, -1, v6
	v_cmp_eq_u32_e32 vcc, 0, v6
	v_add_u32_e32 v7, 16, v7
	v_add_u32_e32 v195, 16, v195
	s_or_b64 s[10:11], vcc, s[10:11]
	s_waitcnt vmcnt(0) lgkmcnt(0)
	v_mul_f64 v[26:27], v[202:203], v[198:199]
	v_mul_f64 v[28:29], v[200:201], v[198:199]
	v_fma_f64 v[26:27], v[200:201], v[196:197], -v[26:27]
	v_fmac_f64_e32 v[28:29], v[202:203], v[196:197]
	v_add_f64 v[2:3], v[2:3], v[26:27]
	v_add_f64 v[4:5], v[4:5], v[28:29]
	s_andn2_b64 exec, exec, s[10:11]
	s_cbranch_execnz .LBB125_547
; %bb.548:
	s_or_b64 exec, exec, s[10:11]
.LBB125_549:
	s_or_b64 exec, exec, s[0:1]
.LBB125_550:
	s_or_b64 exec, exec, s[8:9]
	v_mov_b32_e32 v6, 0
	ds_read_b128 v[196:199], v6 offset:336
	s_waitcnt lgkmcnt(0)
	v_mul_f64 v[6:7], v[4:5], v[198:199]
	v_mul_f64 v[200:201], v[2:3], v[198:199]
	v_fma_f64 v[198:199], v[2:3], v[196:197], -v[6:7]
	v_fmac_f64_e32 v[200:201], v[4:5], v[196:197]
	scratch_store_dwordx4 off, v[198:201], off offset:336
.LBB125_551:
	s_or_b64 exec, exec, s[4:5]
	scratch_load_dwordx4 v[2:5], v175, off
	v_cmp_lt_u32_e64 s[0:1], 20, v0
	s_waitcnt vmcnt(0)
	ds_write_b128 v9, v[2:5]
	s_waitcnt lgkmcnt(0)
	; wave barrier
	s_waitcnt lgkmcnt(0)
	s_and_saveexec_b64 s[4:5], s[0:1]
	s_cbranch_execz .LBB125_565
; %bb.552:
	ds_read_b128 v[2:5], v9
	s_andn2_b64 vcc, exec, s[6:7]
	s_cbranch_vccnz .LBB125_554
; %bb.553:
	scratch_load_dwordx4 v[196:199], v8, off
	s_waitcnt vmcnt(0) lgkmcnt(0)
	v_mul_f64 v[26:27], v[2:3], v[198:199]
	v_mul_f64 v[6:7], v[4:5], v[198:199]
	v_fmac_f64_e32 v[26:27], v[4:5], v[196:197]
	v_fma_f64 v[2:3], v[2:3], v[196:197], -v[6:7]
	v_mov_b64_e32 v[4:5], v[26:27]
.LBB125_554:
	s_and_saveexec_b64 s[8:9], s[2:3]
	s_cbranch_execz .LBB125_564
; %bb.555:
	v_subrev_u32_e32 v7, 22, v0
	v_subrev_u32_e32 v6, 21, v0
	v_cmp_lt_u32_e32 vcc, 6, v7
	v_mov_b32_e32 v196, 21
	s_and_saveexec_b64 s[2:3], vcc
	s_cbranch_execz .LBB125_559
; %bb.556:
	v_and_b32_e32 v7, -8, v6
	s_mov_b32 s12, 0
	s_mov_b64 s[10:11], 0
	v_mov_b32_e32 v195, 0
	s_mov_b32 s13, 0
.LBB125_557:                            ; =>This Inner Loop Header: Depth=1
	v_readfirstlane_b32 s14, v195
	s_add_i32 s14, s14, s12
	s_add_i32 s15, s14, 0x150
	v_mov_b32_e32 v13, s12
	ds_read_b128 v[196:199], v13 offset:1328
	ds_read_b128 v[200:203], v13 offset:1344
	;; [unrolled: 1-line block ×4, first 2 shown]
	scratch_load_dwordx4 v[212:215], off, s15
	s_add_i32 s15, s14, 0x160
	s_addk_i32 s12, 0x80
	s_waitcnt vmcnt(0) lgkmcnt(3)
	v_mul_f64 v[26:27], v[198:199], v[214:215]
	v_mul_f64 v[28:29], v[196:197], v[214:215]
	v_fma_f64 v[26:27], v[196:197], v[212:213], -v[26:27]
	v_fmac_f64_e32 v[28:29], v[198:199], v[212:213]
	v_add_f64 v[26:27], v[2:3], v[26:27]
	v_add_f64 v[28:29], v[4:5], v[28:29]
	scratch_load_dwordx4 v[2:5], off, s15
	s_add_i32 s15, s14, 0x170
	s_waitcnt vmcnt(0) lgkmcnt(2)
	v_mul_f64 v[36:37], v[202:203], v[4:5]
	v_mul_f64 v[4:5], v[200:201], v[4:5]
	v_fmac_f64_e32 v[4:5], v[202:203], v[2:3]
	v_fma_f64 v[36:37], v[200:201], v[2:3], -v[36:37]
	v_add_f64 v[28:29], v[28:29], v[4:5]
	scratch_load_dwordx4 v[2:5], off, s15
	v_add_f64 v[26:27], v[26:27], v[36:37]
	s_add_i32 s15, s14, 0x180
	s_waitcnt vmcnt(0) lgkmcnt(1)
	v_mul_f64 v[36:37], v[206:207], v[4:5]
	v_mul_f64 v[4:5], v[204:205], v[4:5]
	v_fmac_f64_e32 v[4:5], v[206:207], v[2:3]
	v_fma_f64 v[36:37], v[204:205], v[2:3], -v[36:37]
	v_add_f64 v[28:29], v[28:29], v[4:5]
	scratch_load_dwordx4 v[2:5], off, s15
	s_add_i32 s15, s14, 0x190
	scratch_load_dwordx4 v[196:199], off, s15
	v_add_f64 v[26:27], v[26:27], v[36:37]
	s_add_i32 s15, s14, 0x1a0
	s_waitcnt vmcnt(1) lgkmcnt(0)
	v_mul_f64 v[36:37], v[210:211], v[4:5]
	v_mul_f64 v[4:5], v[208:209], v[4:5]
	v_fmac_f64_e32 v[4:5], v[210:211], v[2:3]
	v_fma_f64 v[36:37], v[208:209], v[2:3], -v[36:37]
	v_add_f64 v[28:29], v[28:29], v[4:5]
	ds_read_b128 v[2:5], v13 offset:1392
	v_add_f64 v[26:27], v[26:27], v[36:37]
	s_waitcnt vmcnt(0) lgkmcnt(0)
	v_mul_f64 v[36:37], v[4:5], v[198:199]
	v_fma_f64 v[36:37], v[2:3], v[196:197], -v[36:37]
	v_mul_f64 v[2:3], v[2:3], v[198:199]
	v_fmac_f64_e32 v[2:3], v[4:5], v[196:197]
	scratch_load_dwordx4 v[196:199], off, s15
	v_add_f64 v[28:29], v[28:29], v[2:3]
	ds_read_b128 v[2:5], v13 offset:1408
	v_add_f64 v[26:27], v[26:27], v[36:37]
	s_add_i32 s15, s14, 0x1b0
	s_addk_i32 s14, 0x1c0
	s_waitcnt vmcnt(0) lgkmcnt(0)
	v_mul_f64 v[36:37], v[4:5], v[198:199]
	v_fma_f64 v[36:37], v[2:3], v[196:197], -v[36:37]
	v_mul_f64 v[2:3], v[2:3], v[198:199]
	v_fmac_f64_e32 v[2:3], v[4:5], v[196:197]
	scratch_load_dwordx4 v[196:199], off, s15
	v_add_f64 v[28:29], v[28:29], v[2:3]
	ds_read_b128 v[2:5], v13 offset:1424
	v_add_f64 v[26:27], v[26:27], v[36:37]
	s_waitcnt vmcnt(0) lgkmcnt(0)
	v_mul_f64 v[36:37], v[4:5], v[198:199]
	v_fma_f64 v[36:37], v[2:3], v[196:197], -v[36:37]
	v_mul_f64 v[2:3], v[2:3], v[198:199]
	v_fmac_f64_e32 v[2:3], v[4:5], v[196:197]
	scratch_load_dwordx4 v[196:199], off, s14
	v_add_f64 v[28:29], v[28:29], v[2:3]
	ds_read_b128 v[2:5], v13 offset:1440
	v_add_f64 v[26:27], v[26:27], v[36:37]
	s_add_i32 s14, s13, 8
	v_cmp_eq_u32_e32 vcc, s14, v7
	s_add_i32 s13, s13, 29
	s_or_b64 s[10:11], vcc, s[10:11]
	s_waitcnt vmcnt(0) lgkmcnt(0)
	v_mul_f64 v[36:37], v[4:5], v[198:199]
	v_mul_f64 v[138:139], v[2:3], v[198:199]
	v_fma_f64 v[36:37], v[2:3], v[196:197], -v[36:37]
	v_fmac_f64_e32 v[138:139], v[4:5], v[196:197]
	v_add_f64 v[2:3], v[26:27], v[36:37]
	v_add_f64 v[4:5], v[28:29], v[138:139]
	v_mov_b32_e32 v196, s13
	s_mov_b32 s13, s14
	s_andn2_b64 exec, exec, s[10:11]
	s_cbranch_execnz .LBB125_557
; %bb.558:
	s_or_b64 exec, exec, s[10:11]
.LBB125_559:
	s_or_b64 exec, exec, s[2:3]
	v_and_b32_e32 v6, 7, v6
	v_cmp_ne_u32_e32 vcc, 0, v6
	s_and_saveexec_b64 s[2:3], vcc
	s_cbranch_execz .LBB125_563
; %bb.560:
	v_lshlrev_b32_e32 v13, 4, v196
	v_add_u32_e32 v7, 0x3e0, v13
	v_add_u32_e32 v195, 0, v13
	s_mov_b64 s[10:11], 0
.LBB125_561:                            ; =>This Inner Loop Header: Depth=1
	scratch_load_dwordx4 v[196:199], v195, off
	ds_read_b128 v[200:203], v7
	v_add_u32_e32 v6, -1, v6
	v_cmp_eq_u32_e32 vcc, 0, v6
	v_add_u32_e32 v7, 16, v7
	v_add_u32_e32 v195, 16, v195
	s_or_b64 s[10:11], vcc, s[10:11]
	s_waitcnt vmcnt(0) lgkmcnt(0)
	v_mul_f64 v[26:27], v[202:203], v[198:199]
	v_mul_f64 v[28:29], v[200:201], v[198:199]
	v_fma_f64 v[26:27], v[200:201], v[196:197], -v[26:27]
	v_fmac_f64_e32 v[28:29], v[202:203], v[196:197]
	v_add_f64 v[2:3], v[2:3], v[26:27]
	v_add_f64 v[4:5], v[4:5], v[28:29]
	s_andn2_b64 exec, exec, s[10:11]
	s_cbranch_execnz .LBB125_561
; %bb.562:
	s_or_b64 exec, exec, s[10:11]
.LBB125_563:
	s_or_b64 exec, exec, s[2:3]
.LBB125_564:
	s_or_b64 exec, exec, s[8:9]
	v_mov_b32_e32 v6, 0
	ds_read_b128 v[196:199], v6 offset:320
	s_waitcnt lgkmcnt(0)
	v_mul_f64 v[6:7], v[4:5], v[198:199]
	v_mul_f64 v[200:201], v[2:3], v[198:199]
	v_fma_f64 v[198:199], v[2:3], v[196:197], -v[6:7]
	v_fmac_f64_e32 v[200:201], v[4:5], v[196:197]
	scratch_store_dwordx4 off, v[198:201], off offset:320
.LBB125_565:
	s_or_b64 exec, exec, s[4:5]
	scratch_load_dwordx4 v[2:5], v176, off
	v_cmp_lt_u32_e64 s[2:3], 19, v0
	s_waitcnt vmcnt(0)
	ds_write_b128 v9, v[2:5]
	s_waitcnt lgkmcnt(0)
	; wave barrier
	s_waitcnt lgkmcnt(0)
	s_and_saveexec_b64 s[4:5], s[2:3]
	s_cbranch_execz .LBB125_579
; %bb.566:
	ds_read_b128 v[2:5], v9
	s_andn2_b64 vcc, exec, s[6:7]
	s_cbranch_vccnz .LBB125_568
; %bb.567:
	scratch_load_dwordx4 v[196:199], v8, off
	s_waitcnt vmcnt(0) lgkmcnt(0)
	v_mul_f64 v[26:27], v[2:3], v[198:199]
	v_mul_f64 v[6:7], v[4:5], v[198:199]
	v_fmac_f64_e32 v[26:27], v[4:5], v[196:197]
	v_fma_f64 v[2:3], v[2:3], v[196:197], -v[6:7]
	v_mov_b64_e32 v[4:5], v[26:27]
.LBB125_568:
	s_and_saveexec_b64 s[8:9], s[0:1]
	s_cbranch_execz .LBB125_578
; %bb.569:
	v_subrev_u32_e32 v7, 21, v0
	v_subrev_u32_e32 v6, 20, v0
	v_cmp_lt_u32_e32 vcc, 6, v7
	v_mov_b32_e32 v196, 20
	s_and_saveexec_b64 s[0:1], vcc
	s_cbranch_execz .LBB125_573
; %bb.570:
	v_and_b32_e32 v7, -8, v6
	s_mov_b32 s12, 0
	s_mov_b64 s[10:11], 0
	v_mov_b32_e32 v195, 0
	s_mov_b32 s13, 0
.LBB125_571:                            ; =>This Inner Loop Header: Depth=1
	v_readfirstlane_b32 s14, v195
	s_add_i32 s14, s14, s12
	s_add_i32 s15, s14, 0x140
	v_mov_b32_e32 v13, s12
	ds_read_b128 v[196:199], v13 offset:1312
	ds_read_b128 v[200:203], v13 offset:1328
	;; [unrolled: 1-line block ×4, first 2 shown]
	scratch_load_dwordx4 v[212:215], off, s15
	s_add_i32 s15, s14, 0x150
	s_addk_i32 s12, 0x80
	s_waitcnt vmcnt(0) lgkmcnt(3)
	v_mul_f64 v[26:27], v[198:199], v[214:215]
	v_mul_f64 v[28:29], v[196:197], v[214:215]
	v_fma_f64 v[26:27], v[196:197], v[212:213], -v[26:27]
	v_fmac_f64_e32 v[28:29], v[198:199], v[212:213]
	v_add_f64 v[26:27], v[2:3], v[26:27]
	v_add_f64 v[28:29], v[4:5], v[28:29]
	scratch_load_dwordx4 v[2:5], off, s15
	s_add_i32 s15, s14, 0x160
	s_waitcnt vmcnt(0) lgkmcnt(2)
	v_mul_f64 v[36:37], v[202:203], v[4:5]
	v_mul_f64 v[4:5], v[200:201], v[4:5]
	v_fmac_f64_e32 v[4:5], v[202:203], v[2:3]
	v_fma_f64 v[36:37], v[200:201], v[2:3], -v[36:37]
	v_add_f64 v[28:29], v[28:29], v[4:5]
	scratch_load_dwordx4 v[2:5], off, s15
	v_add_f64 v[26:27], v[26:27], v[36:37]
	s_add_i32 s15, s14, 0x170
	s_waitcnt vmcnt(0) lgkmcnt(1)
	v_mul_f64 v[36:37], v[206:207], v[4:5]
	v_mul_f64 v[4:5], v[204:205], v[4:5]
	v_fmac_f64_e32 v[4:5], v[206:207], v[2:3]
	v_fma_f64 v[36:37], v[204:205], v[2:3], -v[36:37]
	v_add_f64 v[28:29], v[28:29], v[4:5]
	scratch_load_dwordx4 v[2:5], off, s15
	s_add_i32 s15, s14, 0x180
	scratch_load_dwordx4 v[196:199], off, s15
	v_add_f64 v[26:27], v[26:27], v[36:37]
	s_add_i32 s15, s14, 0x190
	s_waitcnt vmcnt(1) lgkmcnt(0)
	v_mul_f64 v[36:37], v[210:211], v[4:5]
	v_mul_f64 v[4:5], v[208:209], v[4:5]
	v_fmac_f64_e32 v[4:5], v[210:211], v[2:3]
	v_fma_f64 v[36:37], v[208:209], v[2:3], -v[36:37]
	v_add_f64 v[28:29], v[28:29], v[4:5]
	ds_read_b128 v[2:5], v13 offset:1376
	v_add_f64 v[26:27], v[26:27], v[36:37]
	s_waitcnt vmcnt(0) lgkmcnt(0)
	v_mul_f64 v[36:37], v[4:5], v[198:199]
	v_fma_f64 v[36:37], v[2:3], v[196:197], -v[36:37]
	v_mul_f64 v[2:3], v[2:3], v[198:199]
	v_fmac_f64_e32 v[2:3], v[4:5], v[196:197]
	scratch_load_dwordx4 v[196:199], off, s15
	v_add_f64 v[28:29], v[28:29], v[2:3]
	ds_read_b128 v[2:5], v13 offset:1392
	v_add_f64 v[26:27], v[26:27], v[36:37]
	s_add_i32 s15, s14, 0x1a0
	s_addk_i32 s14, 0x1b0
	s_waitcnt vmcnt(0) lgkmcnt(0)
	v_mul_f64 v[36:37], v[4:5], v[198:199]
	v_fma_f64 v[36:37], v[2:3], v[196:197], -v[36:37]
	v_mul_f64 v[2:3], v[2:3], v[198:199]
	v_fmac_f64_e32 v[2:3], v[4:5], v[196:197]
	scratch_load_dwordx4 v[196:199], off, s15
	v_add_f64 v[28:29], v[28:29], v[2:3]
	ds_read_b128 v[2:5], v13 offset:1408
	v_add_f64 v[26:27], v[26:27], v[36:37]
	s_waitcnt vmcnt(0) lgkmcnt(0)
	v_mul_f64 v[36:37], v[4:5], v[198:199]
	v_fma_f64 v[36:37], v[2:3], v[196:197], -v[36:37]
	v_mul_f64 v[2:3], v[2:3], v[198:199]
	v_fmac_f64_e32 v[2:3], v[4:5], v[196:197]
	scratch_load_dwordx4 v[196:199], off, s14
	v_add_f64 v[28:29], v[28:29], v[2:3]
	ds_read_b128 v[2:5], v13 offset:1424
	v_add_f64 v[26:27], v[26:27], v[36:37]
	s_add_i32 s14, s13, 8
	v_cmp_eq_u32_e32 vcc, s14, v7
	s_add_i32 s13, s13, 28
	s_or_b64 s[10:11], vcc, s[10:11]
	s_waitcnt vmcnt(0) lgkmcnt(0)
	v_mul_f64 v[36:37], v[4:5], v[198:199]
	v_mul_f64 v[138:139], v[2:3], v[198:199]
	v_fma_f64 v[36:37], v[2:3], v[196:197], -v[36:37]
	v_fmac_f64_e32 v[138:139], v[4:5], v[196:197]
	v_add_f64 v[2:3], v[26:27], v[36:37]
	v_add_f64 v[4:5], v[28:29], v[138:139]
	v_mov_b32_e32 v196, s13
	s_mov_b32 s13, s14
	s_andn2_b64 exec, exec, s[10:11]
	s_cbranch_execnz .LBB125_571
; %bb.572:
	s_or_b64 exec, exec, s[10:11]
.LBB125_573:
	s_or_b64 exec, exec, s[0:1]
	v_and_b32_e32 v6, 7, v6
	v_cmp_ne_u32_e32 vcc, 0, v6
	s_and_saveexec_b64 s[0:1], vcc
	s_cbranch_execz .LBB125_577
; %bb.574:
	v_lshlrev_b32_e32 v13, 4, v196
	v_add_u32_e32 v7, 0x3e0, v13
	v_add_u32_e32 v195, 0, v13
	s_mov_b64 s[10:11], 0
.LBB125_575:                            ; =>This Inner Loop Header: Depth=1
	scratch_load_dwordx4 v[196:199], v195, off
	ds_read_b128 v[200:203], v7
	v_add_u32_e32 v6, -1, v6
	v_cmp_eq_u32_e32 vcc, 0, v6
	v_add_u32_e32 v7, 16, v7
	v_add_u32_e32 v195, 16, v195
	s_or_b64 s[10:11], vcc, s[10:11]
	s_waitcnt vmcnt(0) lgkmcnt(0)
	v_mul_f64 v[26:27], v[202:203], v[198:199]
	v_mul_f64 v[28:29], v[200:201], v[198:199]
	v_fma_f64 v[26:27], v[200:201], v[196:197], -v[26:27]
	v_fmac_f64_e32 v[28:29], v[202:203], v[196:197]
	v_add_f64 v[2:3], v[2:3], v[26:27]
	v_add_f64 v[4:5], v[4:5], v[28:29]
	s_andn2_b64 exec, exec, s[10:11]
	s_cbranch_execnz .LBB125_575
; %bb.576:
	s_or_b64 exec, exec, s[10:11]
.LBB125_577:
	s_or_b64 exec, exec, s[0:1]
.LBB125_578:
	s_or_b64 exec, exec, s[8:9]
	v_mov_b32_e32 v6, 0
	ds_read_b128 v[196:199], v6 offset:304
	s_waitcnt lgkmcnt(0)
	v_mul_f64 v[6:7], v[4:5], v[198:199]
	v_mul_f64 v[200:201], v[2:3], v[198:199]
	v_fma_f64 v[198:199], v[2:3], v[196:197], -v[6:7]
	v_fmac_f64_e32 v[200:201], v[4:5], v[196:197]
	scratch_store_dwordx4 off, v[198:201], off offset:304
.LBB125_579:
	s_or_b64 exec, exec, s[4:5]
	scratch_load_dwordx4 v[2:5], v177, off
	v_cmp_lt_u32_e64 s[0:1], 18, v0
	s_waitcnt vmcnt(0)
	ds_write_b128 v9, v[2:5]
	s_waitcnt lgkmcnt(0)
	; wave barrier
	s_waitcnt lgkmcnt(0)
	s_and_saveexec_b64 s[4:5], s[0:1]
	s_cbranch_execz .LBB125_593
; %bb.580:
	ds_read_b128 v[2:5], v9
	s_andn2_b64 vcc, exec, s[6:7]
	s_cbranch_vccnz .LBB125_582
; %bb.581:
	scratch_load_dwordx4 v[196:199], v8, off
	s_waitcnt vmcnt(0) lgkmcnt(0)
	v_mul_f64 v[26:27], v[2:3], v[198:199]
	v_mul_f64 v[6:7], v[4:5], v[198:199]
	v_fmac_f64_e32 v[26:27], v[4:5], v[196:197]
	v_fma_f64 v[2:3], v[2:3], v[196:197], -v[6:7]
	v_mov_b64_e32 v[4:5], v[26:27]
.LBB125_582:
	s_and_saveexec_b64 s[8:9], s[2:3]
	s_cbranch_execz .LBB125_592
; %bb.583:
	v_subrev_u32_e32 v7, 20, v0
	v_subrev_u32_e32 v6, 19, v0
	v_cmp_lt_u32_e32 vcc, 6, v7
	v_mov_b32_e32 v196, 19
	s_and_saveexec_b64 s[2:3], vcc
	s_cbranch_execz .LBB125_587
; %bb.584:
	v_and_b32_e32 v7, -8, v6
	s_mov_b32 s12, 0
	s_mov_b64 s[10:11], 0
	v_mov_b32_e32 v195, 0
	s_mov_b32 s13, 0
.LBB125_585:                            ; =>This Inner Loop Header: Depth=1
	v_readfirstlane_b32 s14, v195
	s_add_i32 s14, s14, s12
	s_add_i32 s15, s14, 0x130
	v_mov_b32_e32 v13, s12
	ds_read_b128 v[196:199], v13 offset:1296
	ds_read_b128 v[200:203], v13 offset:1312
	;; [unrolled: 1-line block ×4, first 2 shown]
	scratch_load_dwordx4 v[212:215], off, s15
	s_add_i32 s15, s14, 0x140
	s_addk_i32 s12, 0x80
	s_waitcnt vmcnt(0) lgkmcnt(3)
	v_mul_f64 v[26:27], v[198:199], v[214:215]
	v_mul_f64 v[28:29], v[196:197], v[214:215]
	v_fma_f64 v[26:27], v[196:197], v[212:213], -v[26:27]
	v_fmac_f64_e32 v[28:29], v[198:199], v[212:213]
	v_add_f64 v[26:27], v[2:3], v[26:27]
	v_add_f64 v[28:29], v[4:5], v[28:29]
	scratch_load_dwordx4 v[2:5], off, s15
	s_add_i32 s15, s14, 0x150
	s_waitcnt vmcnt(0) lgkmcnt(2)
	v_mul_f64 v[36:37], v[202:203], v[4:5]
	v_mul_f64 v[4:5], v[200:201], v[4:5]
	v_fmac_f64_e32 v[4:5], v[202:203], v[2:3]
	v_fma_f64 v[36:37], v[200:201], v[2:3], -v[36:37]
	v_add_f64 v[28:29], v[28:29], v[4:5]
	scratch_load_dwordx4 v[2:5], off, s15
	v_add_f64 v[26:27], v[26:27], v[36:37]
	s_add_i32 s15, s14, 0x160
	s_waitcnt vmcnt(0) lgkmcnt(1)
	v_mul_f64 v[36:37], v[206:207], v[4:5]
	v_mul_f64 v[4:5], v[204:205], v[4:5]
	v_fmac_f64_e32 v[4:5], v[206:207], v[2:3]
	v_fma_f64 v[36:37], v[204:205], v[2:3], -v[36:37]
	v_add_f64 v[28:29], v[28:29], v[4:5]
	scratch_load_dwordx4 v[2:5], off, s15
	s_add_i32 s15, s14, 0x170
	scratch_load_dwordx4 v[196:199], off, s15
	v_add_f64 v[26:27], v[26:27], v[36:37]
	s_add_i32 s15, s14, 0x180
	s_waitcnt vmcnt(1) lgkmcnt(0)
	v_mul_f64 v[36:37], v[210:211], v[4:5]
	v_mul_f64 v[4:5], v[208:209], v[4:5]
	v_fmac_f64_e32 v[4:5], v[210:211], v[2:3]
	v_fma_f64 v[36:37], v[208:209], v[2:3], -v[36:37]
	v_add_f64 v[28:29], v[28:29], v[4:5]
	ds_read_b128 v[2:5], v13 offset:1360
	v_add_f64 v[26:27], v[26:27], v[36:37]
	s_waitcnt vmcnt(0) lgkmcnt(0)
	v_mul_f64 v[36:37], v[4:5], v[198:199]
	v_fma_f64 v[36:37], v[2:3], v[196:197], -v[36:37]
	v_mul_f64 v[2:3], v[2:3], v[198:199]
	v_fmac_f64_e32 v[2:3], v[4:5], v[196:197]
	scratch_load_dwordx4 v[196:199], off, s15
	v_add_f64 v[28:29], v[28:29], v[2:3]
	ds_read_b128 v[2:5], v13 offset:1376
	v_add_f64 v[26:27], v[26:27], v[36:37]
	s_add_i32 s15, s14, 0x190
	s_addk_i32 s14, 0x1a0
	s_waitcnt vmcnt(0) lgkmcnt(0)
	v_mul_f64 v[36:37], v[4:5], v[198:199]
	v_fma_f64 v[36:37], v[2:3], v[196:197], -v[36:37]
	v_mul_f64 v[2:3], v[2:3], v[198:199]
	v_fmac_f64_e32 v[2:3], v[4:5], v[196:197]
	scratch_load_dwordx4 v[196:199], off, s15
	v_add_f64 v[28:29], v[28:29], v[2:3]
	ds_read_b128 v[2:5], v13 offset:1392
	v_add_f64 v[26:27], v[26:27], v[36:37]
	s_waitcnt vmcnt(0) lgkmcnt(0)
	v_mul_f64 v[36:37], v[4:5], v[198:199]
	v_fma_f64 v[36:37], v[2:3], v[196:197], -v[36:37]
	v_mul_f64 v[2:3], v[2:3], v[198:199]
	v_fmac_f64_e32 v[2:3], v[4:5], v[196:197]
	scratch_load_dwordx4 v[196:199], off, s14
	v_add_f64 v[28:29], v[28:29], v[2:3]
	ds_read_b128 v[2:5], v13 offset:1408
	v_add_f64 v[26:27], v[26:27], v[36:37]
	s_add_i32 s14, s13, 8
	v_cmp_eq_u32_e32 vcc, s14, v7
	s_add_i32 s13, s13, 27
	s_or_b64 s[10:11], vcc, s[10:11]
	s_waitcnt vmcnt(0) lgkmcnt(0)
	v_mul_f64 v[36:37], v[4:5], v[198:199]
	v_mul_f64 v[138:139], v[2:3], v[198:199]
	v_fma_f64 v[36:37], v[2:3], v[196:197], -v[36:37]
	v_fmac_f64_e32 v[138:139], v[4:5], v[196:197]
	v_add_f64 v[2:3], v[26:27], v[36:37]
	v_add_f64 v[4:5], v[28:29], v[138:139]
	v_mov_b32_e32 v196, s13
	s_mov_b32 s13, s14
	s_andn2_b64 exec, exec, s[10:11]
	s_cbranch_execnz .LBB125_585
; %bb.586:
	s_or_b64 exec, exec, s[10:11]
.LBB125_587:
	s_or_b64 exec, exec, s[2:3]
	v_and_b32_e32 v6, 7, v6
	v_cmp_ne_u32_e32 vcc, 0, v6
	s_and_saveexec_b64 s[2:3], vcc
	s_cbranch_execz .LBB125_591
; %bb.588:
	v_lshlrev_b32_e32 v13, 4, v196
	v_add_u32_e32 v7, 0x3e0, v13
	v_add_u32_e32 v195, 0, v13
	s_mov_b64 s[10:11], 0
.LBB125_589:                            ; =>This Inner Loop Header: Depth=1
	scratch_load_dwordx4 v[196:199], v195, off
	ds_read_b128 v[200:203], v7
	v_add_u32_e32 v6, -1, v6
	v_cmp_eq_u32_e32 vcc, 0, v6
	v_add_u32_e32 v7, 16, v7
	v_add_u32_e32 v195, 16, v195
	s_or_b64 s[10:11], vcc, s[10:11]
	s_waitcnt vmcnt(0) lgkmcnt(0)
	v_mul_f64 v[26:27], v[202:203], v[198:199]
	v_mul_f64 v[28:29], v[200:201], v[198:199]
	v_fma_f64 v[26:27], v[200:201], v[196:197], -v[26:27]
	v_fmac_f64_e32 v[28:29], v[202:203], v[196:197]
	v_add_f64 v[2:3], v[2:3], v[26:27]
	v_add_f64 v[4:5], v[4:5], v[28:29]
	s_andn2_b64 exec, exec, s[10:11]
	s_cbranch_execnz .LBB125_589
; %bb.590:
	s_or_b64 exec, exec, s[10:11]
.LBB125_591:
	s_or_b64 exec, exec, s[2:3]
.LBB125_592:
	s_or_b64 exec, exec, s[8:9]
	v_mov_b32_e32 v6, 0
	ds_read_b128 v[196:199], v6 offset:288
	s_waitcnt lgkmcnt(0)
	v_mul_f64 v[6:7], v[4:5], v[198:199]
	v_mul_f64 v[200:201], v[2:3], v[198:199]
	v_fma_f64 v[198:199], v[2:3], v[196:197], -v[6:7]
	v_fmac_f64_e32 v[200:201], v[4:5], v[196:197]
	scratch_store_dwordx4 off, v[198:201], off offset:288
.LBB125_593:
	s_or_b64 exec, exec, s[4:5]
	scratch_load_dwordx4 v[2:5], v178, off
	v_cmp_lt_u32_e64 s[2:3], 17, v0
	s_waitcnt vmcnt(0)
	ds_write_b128 v9, v[2:5]
	s_waitcnt lgkmcnt(0)
	; wave barrier
	s_waitcnt lgkmcnt(0)
	s_and_saveexec_b64 s[4:5], s[2:3]
	s_cbranch_execz .LBB125_607
; %bb.594:
	ds_read_b128 v[2:5], v9
	s_andn2_b64 vcc, exec, s[6:7]
	s_cbranch_vccnz .LBB125_596
; %bb.595:
	scratch_load_dwordx4 v[196:199], v8, off
	s_waitcnt vmcnt(0) lgkmcnt(0)
	v_mul_f64 v[26:27], v[2:3], v[198:199]
	v_mul_f64 v[6:7], v[4:5], v[198:199]
	v_fmac_f64_e32 v[26:27], v[4:5], v[196:197]
	v_fma_f64 v[2:3], v[2:3], v[196:197], -v[6:7]
	v_mov_b64_e32 v[4:5], v[26:27]
.LBB125_596:
	s_and_saveexec_b64 s[8:9], s[0:1]
	s_cbranch_execz .LBB125_606
; %bb.597:
	v_subrev_u32_e32 v7, 19, v0
	v_subrev_u32_e32 v6, 18, v0
	v_cmp_lt_u32_e32 vcc, 6, v7
	v_mov_b32_e32 v196, 18
	s_and_saveexec_b64 s[0:1], vcc
	s_cbranch_execz .LBB125_601
; %bb.598:
	v_and_b32_e32 v7, -8, v6
	s_mov_b32 s12, 0
	s_mov_b64 s[10:11], 0
	v_mov_b32_e32 v195, 0
	s_mov_b32 s13, 0
.LBB125_599:                            ; =>This Inner Loop Header: Depth=1
	v_readfirstlane_b32 s14, v195
	s_add_i32 s14, s14, s12
	s_add_i32 s15, s14, 0x120
	v_mov_b32_e32 v13, s12
	ds_read_b128 v[196:199], v13 offset:1280
	ds_read_b128 v[200:203], v13 offset:1296
	;; [unrolled: 1-line block ×4, first 2 shown]
	scratch_load_dwordx4 v[212:215], off, s15
	s_add_i32 s15, s14, 0x130
	s_addk_i32 s12, 0x80
	s_waitcnt vmcnt(0) lgkmcnt(3)
	v_mul_f64 v[26:27], v[198:199], v[214:215]
	v_mul_f64 v[28:29], v[196:197], v[214:215]
	v_fma_f64 v[26:27], v[196:197], v[212:213], -v[26:27]
	v_fmac_f64_e32 v[28:29], v[198:199], v[212:213]
	v_add_f64 v[26:27], v[2:3], v[26:27]
	v_add_f64 v[28:29], v[4:5], v[28:29]
	scratch_load_dwordx4 v[2:5], off, s15
	s_add_i32 s15, s14, 0x140
	s_waitcnt vmcnt(0) lgkmcnt(2)
	v_mul_f64 v[36:37], v[202:203], v[4:5]
	v_mul_f64 v[4:5], v[200:201], v[4:5]
	v_fmac_f64_e32 v[4:5], v[202:203], v[2:3]
	v_fma_f64 v[36:37], v[200:201], v[2:3], -v[36:37]
	v_add_f64 v[28:29], v[28:29], v[4:5]
	scratch_load_dwordx4 v[2:5], off, s15
	v_add_f64 v[26:27], v[26:27], v[36:37]
	s_add_i32 s15, s14, 0x150
	s_waitcnt vmcnt(0) lgkmcnt(1)
	v_mul_f64 v[36:37], v[206:207], v[4:5]
	v_mul_f64 v[4:5], v[204:205], v[4:5]
	v_fmac_f64_e32 v[4:5], v[206:207], v[2:3]
	v_fma_f64 v[36:37], v[204:205], v[2:3], -v[36:37]
	v_add_f64 v[28:29], v[28:29], v[4:5]
	scratch_load_dwordx4 v[2:5], off, s15
	s_add_i32 s15, s14, 0x160
	scratch_load_dwordx4 v[196:199], off, s15
	v_add_f64 v[26:27], v[26:27], v[36:37]
	s_add_i32 s15, s14, 0x170
	s_waitcnt vmcnt(1) lgkmcnt(0)
	v_mul_f64 v[36:37], v[210:211], v[4:5]
	v_mul_f64 v[4:5], v[208:209], v[4:5]
	v_fmac_f64_e32 v[4:5], v[210:211], v[2:3]
	v_fma_f64 v[36:37], v[208:209], v[2:3], -v[36:37]
	v_add_f64 v[28:29], v[28:29], v[4:5]
	ds_read_b128 v[2:5], v13 offset:1344
	v_add_f64 v[26:27], v[26:27], v[36:37]
	s_waitcnt vmcnt(0) lgkmcnt(0)
	v_mul_f64 v[36:37], v[4:5], v[198:199]
	v_fma_f64 v[36:37], v[2:3], v[196:197], -v[36:37]
	v_mul_f64 v[2:3], v[2:3], v[198:199]
	v_fmac_f64_e32 v[2:3], v[4:5], v[196:197]
	scratch_load_dwordx4 v[196:199], off, s15
	v_add_f64 v[28:29], v[28:29], v[2:3]
	ds_read_b128 v[2:5], v13 offset:1360
	v_add_f64 v[26:27], v[26:27], v[36:37]
	s_add_i32 s15, s14, 0x180
	s_addk_i32 s14, 0x190
	s_waitcnt vmcnt(0) lgkmcnt(0)
	v_mul_f64 v[36:37], v[4:5], v[198:199]
	v_fma_f64 v[36:37], v[2:3], v[196:197], -v[36:37]
	v_mul_f64 v[2:3], v[2:3], v[198:199]
	v_fmac_f64_e32 v[2:3], v[4:5], v[196:197]
	scratch_load_dwordx4 v[196:199], off, s15
	v_add_f64 v[28:29], v[28:29], v[2:3]
	ds_read_b128 v[2:5], v13 offset:1376
	v_add_f64 v[26:27], v[26:27], v[36:37]
	s_waitcnt vmcnt(0) lgkmcnt(0)
	v_mul_f64 v[36:37], v[4:5], v[198:199]
	v_fma_f64 v[36:37], v[2:3], v[196:197], -v[36:37]
	v_mul_f64 v[2:3], v[2:3], v[198:199]
	v_fmac_f64_e32 v[2:3], v[4:5], v[196:197]
	scratch_load_dwordx4 v[196:199], off, s14
	v_add_f64 v[28:29], v[28:29], v[2:3]
	ds_read_b128 v[2:5], v13 offset:1392
	v_add_f64 v[26:27], v[26:27], v[36:37]
	s_add_i32 s14, s13, 8
	v_cmp_eq_u32_e32 vcc, s14, v7
	s_add_i32 s13, s13, 26
	s_or_b64 s[10:11], vcc, s[10:11]
	s_waitcnt vmcnt(0) lgkmcnt(0)
	v_mul_f64 v[36:37], v[4:5], v[198:199]
	v_mul_f64 v[138:139], v[2:3], v[198:199]
	v_fma_f64 v[36:37], v[2:3], v[196:197], -v[36:37]
	v_fmac_f64_e32 v[138:139], v[4:5], v[196:197]
	v_add_f64 v[2:3], v[26:27], v[36:37]
	v_add_f64 v[4:5], v[28:29], v[138:139]
	v_mov_b32_e32 v196, s13
	s_mov_b32 s13, s14
	s_andn2_b64 exec, exec, s[10:11]
	s_cbranch_execnz .LBB125_599
; %bb.600:
	s_or_b64 exec, exec, s[10:11]
.LBB125_601:
	s_or_b64 exec, exec, s[0:1]
	v_and_b32_e32 v6, 7, v6
	v_cmp_ne_u32_e32 vcc, 0, v6
	s_and_saveexec_b64 s[0:1], vcc
	s_cbranch_execz .LBB125_605
; %bb.602:
	v_lshlrev_b32_e32 v13, 4, v196
	v_add_u32_e32 v7, 0x3e0, v13
	v_add_u32_e32 v195, 0, v13
	s_mov_b64 s[10:11], 0
.LBB125_603:                            ; =>This Inner Loop Header: Depth=1
	scratch_load_dwordx4 v[196:199], v195, off
	ds_read_b128 v[200:203], v7
	v_add_u32_e32 v6, -1, v6
	v_cmp_eq_u32_e32 vcc, 0, v6
	v_add_u32_e32 v7, 16, v7
	v_add_u32_e32 v195, 16, v195
	s_or_b64 s[10:11], vcc, s[10:11]
	s_waitcnt vmcnt(0) lgkmcnt(0)
	v_mul_f64 v[26:27], v[202:203], v[198:199]
	v_mul_f64 v[28:29], v[200:201], v[198:199]
	v_fma_f64 v[26:27], v[200:201], v[196:197], -v[26:27]
	v_fmac_f64_e32 v[28:29], v[202:203], v[196:197]
	v_add_f64 v[2:3], v[2:3], v[26:27]
	v_add_f64 v[4:5], v[4:5], v[28:29]
	s_andn2_b64 exec, exec, s[10:11]
	s_cbranch_execnz .LBB125_603
; %bb.604:
	s_or_b64 exec, exec, s[10:11]
.LBB125_605:
	s_or_b64 exec, exec, s[0:1]
.LBB125_606:
	s_or_b64 exec, exec, s[8:9]
	v_mov_b32_e32 v6, 0
	ds_read_b128 v[196:199], v6 offset:272
	s_waitcnt lgkmcnt(0)
	v_mul_f64 v[6:7], v[4:5], v[198:199]
	v_mul_f64 v[200:201], v[2:3], v[198:199]
	v_fma_f64 v[198:199], v[2:3], v[196:197], -v[6:7]
	v_fmac_f64_e32 v[200:201], v[4:5], v[196:197]
	scratch_store_dwordx4 off, v[198:201], off offset:272
.LBB125_607:
	s_or_b64 exec, exec, s[4:5]
	scratch_load_dwordx4 v[2:5], v179, off
	v_cmp_lt_u32_e64 s[0:1], 16, v0
	s_waitcnt vmcnt(0)
	ds_write_b128 v9, v[2:5]
	s_waitcnt lgkmcnt(0)
	; wave barrier
	s_waitcnt lgkmcnt(0)
	s_and_saveexec_b64 s[4:5], s[0:1]
	s_cbranch_execz .LBB125_621
; %bb.608:
	ds_read_b128 v[2:5], v9
	s_andn2_b64 vcc, exec, s[6:7]
	s_cbranch_vccnz .LBB125_610
; %bb.609:
	scratch_load_dwordx4 v[196:199], v8, off
	s_waitcnt vmcnt(0) lgkmcnt(0)
	v_mul_f64 v[26:27], v[2:3], v[198:199]
	v_mul_f64 v[6:7], v[4:5], v[198:199]
	v_fmac_f64_e32 v[26:27], v[4:5], v[196:197]
	v_fma_f64 v[2:3], v[2:3], v[196:197], -v[6:7]
	v_mov_b64_e32 v[4:5], v[26:27]
.LBB125_610:
	s_and_saveexec_b64 s[8:9], s[2:3]
	s_cbranch_execz .LBB125_620
; %bb.611:
	v_subrev_u32_e32 v7, 18, v0
	v_subrev_u32_e32 v6, 17, v0
	v_cmp_lt_u32_e32 vcc, 6, v7
	v_mov_b32_e32 v196, 17
	s_and_saveexec_b64 s[2:3], vcc
	s_cbranch_execz .LBB125_615
; %bb.612:
	v_and_b32_e32 v7, -8, v6
	s_mov_b32 s12, 0
	s_mov_b64 s[10:11], 0
	v_mov_b32_e32 v195, 0
	s_mov_b32 s13, 0
.LBB125_613:                            ; =>This Inner Loop Header: Depth=1
	v_readfirstlane_b32 s14, v195
	s_add_i32 s14, s14, s12
	s_add_i32 s15, s14, 0x110
	v_mov_b32_e32 v13, s12
	ds_read_b128 v[196:199], v13 offset:1264
	ds_read_b128 v[200:203], v13 offset:1280
	;; [unrolled: 1-line block ×4, first 2 shown]
	scratch_load_dwordx4 v[212:215], off, s15
	s_add_i32 s15, s14, 0x120
	s_addk_i32 s12, 0x80
	s_waitcnt vmcnt(0) lgkmcnt(3)
	v_mul_f64 v[26:27], v[198:199], v[214:215]
	v_mul_f64 v[28:29], v[196:197], v[214:215]
	v_fma_f64 v[26:27], v[196:197], v[212:213], -v[26:27]
	v_fmac_f64_e32 v[28:29], v[198:199], v[212:213]
	v_add_f64 v[26:27], v[2:3], v[26:27]
	v_add_f64 v[28:29], v[4:5], v[28:29]
	scratch_load_dwordx4 v[2:5], off, s15
	s_add_i32 s15, s14, 0x130
	s_waitcnt vmcnt(0) lgkmcnt(2)
	v_mul_f64 v[36:37], v[202:203], v[4:5]
	v_mul_f64 v[4:5], v[200:201], v[4:5]
	v_fmac_f64_e32 v[4:5], v[202:203], v[2:3]
	v_fma_f64 v[36:37], v[200:201], v[2:3], -v[36:37]
	v_add_f64 v[28:29], v[28:29], v[4:5]
	scratch_load_dwordx4 v[2:5], off, s15
	v_add_f64 v[26:27], v[26:27], v[36:37]
	s_add_i32 s15, s14, 0x140
	s_waitcnt vmcnt(0) lgkmcnt(1)
	v_mul_f64 v[36:37], v[206:207], v[4:5]
	v_mul_f64 v[4:5], v[204:205], v[4:5]
	v_fmac_f64_e32 v[4:5], v[206:207], v[2:3]
	v_fma_f64 v[36:37], v[204:205], v[2:3], -v[36:37]
	v_add_f64 v[28:29], v[28:29], v[4:5]
	scratch_load_dwordx4 v[2:5], off, s15
	s_add_i32 s15, s14, 0x150
	scratch_load_dwordx4 v[196:199], off, s15
	v_add_f64 v[26:27], v[26:27], v[36:37]
	s_add_i32 s15, s14, 0x160
	s_waitcnt vmcnt(1) lgkmcnt(0)
	v_mul_f64 v[36:37], v[210:211], v[4:5]
	v_mul_f64 v[4:5], v[208:209], v[4:5]
	v_fmac_f64_e32 v[4:5], v[210:211], v[2:3]
	v_fma_f64 v[36:37], v[208:209], v[2:3], -v[36:37]
	v_add_f64 v[28:29], v[28:29], v[4:5]
	ds_read_b128 v[2:5], v13 offset:1328
	v_add_f64 v[26:27], v[26:27], v[36:37]
	s_waitcnt vmcnt(0) lgkmcnt(0)
	v_mul_f64 v[36:37], v[4:5], v[198:199]
	v_fma_f64 v[36:37], v[2:3], v[196:197], -v[36:37]
	v_mul_f64 v[2:3], v[2:3], v[198:199]
	v_fmac_f64_e32 v[2:3], v[4:5], v[196:197]
	scratch_load_dwordx4 v[196:199], off, s15
	v_add_f64 v[28:29], v[28:29], v[2:3]
	ds_read_b128 v[2:5], v13 offset:1344
	v_add_f64 v[26:27], v[26:27], v[36:37]
	s_add_i32 s15, s14, 0x170
	s_addk_i32 s14, 0x180
	s_waitcnt vmcnt(0) lgkmcnt(0)
	v_mul_f64 v[36:37], v[4:5], v[198:199]
	v_fma_f64 v[36:37], v[2:3], v[196:197], -v[36:37]
	v_mul_f64 v[2:3], v[2:3], v[198:199]
	v_fmac_f64_e32 v[2:3], v[4:5], v[196:197]
	scratch_load_dwordx4 v[196:199], off, s15
	v_add_f64 v[28:29], v[28:29], v[2:3]
	ds_read_b128 v[2:5], v13 offset:1360
	v_add_f64 v[26:27], v[26:27], v[36:37]
	s_waitcnt vmcnt(0) lgkmcnt(0)
	v_mul_f64 v[36:37], v[4:5], v[198:199]
	v_fma_f64 v[36:37], v[2:3], v[196:197], -v[36:37]
	v_mul_f64 v[2:3], v[2:3], v[198:199]
	v_fmac_f64_e32 v[2:3], v[4:5], v[196:197]
	scratch_load_dwordx4 v[196:199], off, s14
	v_add_f64 v[28:29], v[28:29], v[2:3]
	ds_read_b128 v[2:5], v13 offset:1376
	v_add_f64 v[26:27], v[26:27], v[36:37]
	s_add_i32 s14, s13, 8
	v_cmp_eq_u32_e32 vcc, s14, v7
	s_add_i32 s13, s13, 25
	s_or_b64 s[10:11], vcc, s[10:11]
	s_waitcnt vmcnt(0) lgkmcnt(0)
	v_mul_f64 v[36:37], v[4:5], v[198:199]
	v_mul_f64 v[138:139], v[2:3], v[198:199]
	v_fma_f64 v[36:37], v[2:3], v[196:197], -v[36:37]
	v_fmac_f64_e32 v[138:139], v[4:5], v[196:197]
	v_add_f64 v[2:3], v[26:27], v[36:37]
	v_add_f64 v[4:5], v[28:29], v[138:139]
	v_mov_b32_e32 v196, s13
	s_mov_b32 s13, s14
	s_andn2_b64 exec, exec, s[10:11]
	s_cbranch_execnz .LBB125_613
; %bb.614:
	s_or_b64 exec, exec, s[10:11]
.LBB125_615:
	s_or_b64 exec, exec, s[2:3]
	v_and_b32_e32 v6, 7, v6
	v_cmp_ne_u32_e32 vcc, 0, v6
	s_and_saveexec_b64 s[2:3], vcc
	s_cbranch_execz .LBB125_619
; %bb.616:
	v_lshlrev_b32_e32 v13, 4, v196
	v_add_u32_e32 v7, 0x3e0, v13
	v_add_u32_e32 v195, 0, v13
	s_mov_b64 s[10:11], 0
.LBB125_617:                            ; =>This Inner Loop Header: Depth=1
	scratch_load_dwordx4 v[196:199], v195, off
	ds_read_b128 v[200:203], v7
	v_add_u32_e32 v6, -1, v6
	v_cmp_eq_u32_e32 vcc, 0, v6
	v_add_u32_e32 v7, 16, v7
	v_add_u32_e32 v195, 16, v195
	s_or_b64 s[10:11], vcc, s[10:11]
	s_waitcnt vmcnt(0) lgkmcnt(0)
	v_mul_f64 v[26:27], v[202:203], v[198:199]
	v_mul_f64 v[28:29], v[200:201], v[198:199]
	v_fma_f64 v[26:27], v[200:201], v[196:197], -v[26:27]
	v_fmac_f64_e32 v[28:29], v[202:203], v[196:197]
	v_add_f64 v[2:3], v[2:3], v[26:27]
	v_add_f64 v[4:5], v[4:5], v[28:29]
	s_andn2_b64 exec, exec, s[10:11]
	s_cbranch_execnz .LBB125_617
; %bb.618:
	s_or_b64 exec, exec, s[10:11]
.LBB125_619:
	s_or_b64 exec, exec, s[2:3]
.LBB125_620:
	s_or_b64 exec, exec, s[8:9]
	v_mov_b32_e32 v6, 0
	ds_read_b128 v[196:199], v6 offset:256
	s_waitcnt lgkmcnt(0)
	v_mul_f64 v[6:7], v[4:5], v[198:199]
	v_mul_f64 v[200:201], v[2:3], v[198:199]
	v_fma_f64 v[198:199], v[2:3], v[196:197], -v[6:7]
	v_fmac_f64_e32 v[200:201], v[4:5], v[196:197]
	scratch_store_dwordx4 off, v[198:201], off offset:256
.LBB125_621:
	s_or_b64 exec, exec, s[4:5]
	scratch_load_dwordx4 v[2:5], v180, off
	v_cmp_lt_u32_e64 s[2:3], 15, v0
	s_waitcnt vmcnt(0)
	ds_write_b128 v9, v[2:5]
	s_waitcnt lgkmcnt(0)
	; wave barrier
	s_waitcnt lgkmcnt(0)
	s_and_saveexec_b64 s[4:5], s[2:3]
	s_cbranch_execz .LBB125_635
; %bb.622:
	ds_read_b128 v[2:5], v9
	s_andn2_b64 vcc, exec, s[6:7]
	s_cbranch_vccnz .LBB125_624
; %bb.623:
	scratch_load_dwordx4 v[196:199], v8, off
	s_waitcnt vmcnt(0) lgkmcnt(0)
	v_mul_f64 v[26:27], v[2:3], v[198:199]
	v_mul_f64 v[6:7], v[4:5], v[198:199]
	v_fmac_f64_e32 v[26:27], v[4:5], v[196:197]
	v_fma_f64 v[2:3], v[2:3], v[196:197], -v[6:7]
	v_mov_b64_e32 v[4:5], v[26:27]
.LBB125_624:
	s_and_saveexec_b64 s[8:9], s[0:1]
	s_cbranch_execz .LBB125_634
; %bb.625:
	v_subrev_u32_e32 v6, 17, v0
	v_cmp_lt_u32_e32 vcc, 6, v6
	v_mov_b32_e32 v6, 16
	s_and_saveexec_b64 s[0:1], vcc
	s_cbranch_execz .LBB125_629
; %bb.626:
	v_and_b32_e32 v6, 56, v0
	s_mov_b32 s12, 16
	s_mov_b32 s13, 0
	s_mov_b64 s[10:11], 0
	v_mov_b32_e32 v7, 0
.LBB125_627:                            ; =>This Inner Loop Header: Depth=1
	s_nop 0
	v_readfirstlane_b32 s14, v7
	s_add_i32 s14, s14, s13
	s_add_i32 s15, s14, 0x100
	v_mov_b32_e32 v13, s13
	ds_read_b128 v[196:199], v13 offset:1248
	ds_read_b128 v[200:203], v13 offset:1264
	;; [unrolled: 1-line block ×4, first 2 shown]
	scratch_load_dwordx4 v[212:215], off, s15
	s_add_i32 s15, s14, 0x110
	s_add_i32 s12, s12, 8
	s_addk_i32 s13, 0x80
	v_cmp_eq_u32_e32 vcc, s12, v6
	s_waitcnt vmcnt(0) lgkmcnt(3)
	v_mul_f64 v[26:27], v[198:199], v[214:215]
	v_mul_f64 v[28:29], v[196:197], v[214:215]
	v_fma_f64 v[26:27], v[196:197], v[212:213], -v[26:27]
	v_fmac_f64_e32 v[28:29], v[198:199], v[212:213]
	v_add_f64 v[26:27], v[2:3], v[26:27]
	v_add_f64 v[28:29], v[4:5], v[28:29]
	scratch_load_dwordx4 v[2:5], off, s15
	s_add_i32 s15, s14, 0x120
	s_waitcnt vmcnt(0) lgkmcnt(2)
	v_mul_f64 v[36:37], v[202:203], v[4:5]
	v_mul_f64 v[4:5], v[200:201], v[4:5]
	v_fmac_f64_e32 v[4:5], v[202:203], v[2:3]
	v_fma_f64 v[36:37], v[200:201], v[2:3], -v[36:37]
	v_add_f64 v[28:29], v[28:29], v[4:5]
	scratch_load_dwordx4 v[2:5], off, s15
	v_add_f64 v[26:27], v[26:27], v[36:37]
	s_add_i32 s15, s14, 0x130
	s_waitcnt vmcnt(0) lgkmcnt(1)
	v_mul_f64 v[36:37], v[206:207], v[4:5]
	v_mul_f64 v[4:5], v[204:205], v[4:5]
	v_fmac_f64_e32 v[4:5], v[206:207], v[2:3]
	v_fma_f64 v[36:37], v[204:205], v[2:3], -v[36:37]
	v_add_f64 v[28:29], v[28:29], v[4:5]
	scratch_load_dwordx4 v[2:5], off, s15
	s_add_i32 s15, s14, 0x140
	scratch_load_dwordx4 v[196:199], off, s15
	v_add_f64 v[26:27], v[26:27], v[36:37]
	s_add_i32 s15, s14, 0x150
	s_waitcnt vmcnt(1) lgkmcnt(0)
	v_mul_f64 v[36:37], v[210:211], v[4:5]
	v_mul_f64 v[4:5], v[208:209], v[4:5]
	v_fmac_f64_e32 v[4:5], v[210:211], v[2:3]
	v_fma_f64 v[36:37], v[208:209], v[2:3], -v[36:37]
	v_add_f64 v[28:29], v[28:29], v[4:5]
	ds_read_b128 v[2:5], v13 offset:1312
	v_add_f64 v[26:27], v[26:27], v[36:37]
	s_waitcnt vmcnt(0) lgkmcnt(0)
	v_mul_f64 v[36:37], v[4:5], v[198:199]
	v_fma_f64 v[36:37], v[2:3], v[196:197], -v[36:37]
	v_mul_f64 v[2:3], v[2:3], v[198:199]
	v_fmac_f64_e32 v[2:3], v[4:5], v[196:197]
	scratch_load_dwordx4 v[196:199], off, s15
	v_add_f64 v[28:29], v[28:29], v[2:3]
	ds_read_b128 v[2:5], v13 offset:1328
	v_add_f64 v[26:27], v[26:27], v[36:37]
	s_add_i32 s15, s14, 0x160
	s_addk_i32 s14, 0x170
	s_or_b64 s[10:11], vcc, s[10:11]
	s_waitcnt vmcnt(0) lgkmcnt(0)
	v_mul_f64 v[36:37], v[4:5], v[198:199]
	v_fma_f64 v[36:37], v[2:3], v[196:197], -v[36:37]
	v_mul_f64 v[2:3], v[2:3], v[198:199]
	v_fmac_f64_e32 v[2:3], v[4:5], v[196:197]
	scratch_load_dwordx4 v[196:199], off, s15
	v_add_f64 v[28:29], v[28:29], v[2:3]
	ds_read_b128 v[2:5], v13 offset:1344
	v_add_f64 v[26:27], v[26:27], v[36:37]
	s_waitcnt vmcnt(0) lgkmcnt(0)
	v_mul_f64 v[36:37], v[4:5], v[198:199]
	v_fma_f64 v[36:37], v[2:3], v[196:197], -v[36:37]
	v_mul_f64 v[2:3], v[2:3], v[198:199]
	v_fmac_f64_e32 v[2:3], v[4:5], v[196:197]
	scratch_load_dwordx4 v[196:199], off, s14
	v_add_f64 v[28:29], v[28:29], v[2:3]
	ds_read_b128 v[2:5], v13 offset:1360
	v_add_f64 v[26:27], v[26:27], v[36:37]
	s_waitcnt vmcnt(0) lgkmcnt(0)
	v_mul_f64 v[36:37], v[4:5], v[198:199]
	v_mul_f64 v[138:139], v[2:3], v[198:199]
	v_fma_f64 v[36:37], v[2:3], v[196:197], -v[36:37]
	v_fmac_f64_e32 v[138:139], v[4:5], v[196:197]
	v_add_f64 v[2:3], v[26:27], v[36:37]
	v_add_f64 v[4:5], v[28:29], v[138:139]
	s_andn2_b64 exec, exec, s[10:11]
	s_cbranch_execnz .LBB125_627
; %bb.628:
	s_or_b64 exec, exec, s[10:11]
.LBB125_629:
	s_or_b64 exec, exec, s[0:1]
	v_and_b32_e32 v7, 7, v0
	v_cmp_ne_u32_e32 vcc, 0, v7
	s_and_saveexec_b64 s[0:1], vcc
	s_cbranch_execz .LBB125_633
; %bb.630:
	v_lshlrev_b32_e32 v13, 4, v6
	v_add_u32_e32 v6, 0x3e0, v13
	v_add_u32_e32 v195, 0, v13
	s_mov_b64 s[10:11], 0
.LBB125_631:                            ; =>This Inner Loop Header: Depth=1
	scratch_load_dwordx4 v[196:199], v195, off
	ds_read_b128 v[200:203], v6
	v_add_u32_e32 v7, -1, v7
	v_cmp_eq_u32_e32 vcc, 0, v7
	v_add_u32_e32 v6, 16, v6
	v_add_u32_e32 v195, 16, v195
	s_or_b64 s[10:11], vcc, s[10:11]
	s_waitcnt vmcnt(0) lgkmcnt(0)
	v_mul_f64 v[26:27], v[202:203], v[198:199]
	v_mul_f64 v[28:29], v[200:201], v[198:199]
	v_fma_f64 v[26:27], v[200:201], v[196:197], -v[26:27]
	v_fmac_f64_e32 v[28:29], v[202:203], v[196:197]
	v_add_f64 v[2:3], v[2:3], v[26:27]
	v_add_f64 v[4:5], v[4:5], v[28:29]
	s_andn2_b64 exec, exec, s[10:11]
	s_cbranch_execnz .LBB125_631
; %bb.632:
	s_or_b64 exec, exec, s[10:11]
.LBB125_633:
	s_or_b64 exec, exec, s[0:1]
.LBB125_634:
	s_or_b64 exec, exec, s[8:9]
	v_mov_b32_e32 v6, 0
	ds_read_b128 v[196:199], v6 offset:240
	s_waitcnt lgkmcnt(0)
	v_mul_f64 v[6:7], v[4:5], v[198:199]
	v_mul_f64 v[200:201], v[2:3], v[198:199]
	v_fma_f64 v[198:199], v[2:3], v[196:197], -v[6:7]
	v_fmac_f64_e32 v[200:201], v[4:5], v[196:197]
	scratch_store_dwordx4 off, v[198:201], off offset:240
.LBB125_635:
	s_or_b64 exec, exec, s[4:5]
	scratch_load_dwordx4 v[2:5], v181, off
	v_cmp_lt_u32_e64 s[0:1], 14, v0
	s_waitcnt vmcnt(0)
	ds_write_b128 v9, v[2:5]
	s_waitcnt lgkmcnt(0)
	; wave barrier
	s_waitcnt lgkmcnt(0)
	s_and_saveexec_b64 s[4:5], s[0:1]
	s_cbranch_execz .LBB125_649
; %bb.636:
	ds_read_b128 v[2:5], v9
	s_andn2_b64 vcc, exec, s[6:7]
	s_cbranch_vccnz .LBB125_638
; %bb.637:
	scratch_load_dwordx4 v[196:199], v8, off
	s_waitcnt vmcnt(0) lgkmcnt(0)
	v_mul_f64 v[26:27], v[2:3], v[198:199]
	v_mul_f64 v[6:7], v[4:5], v[198:199]
	v_fmac_f64_e32 v[26:27], v[4:5], v[196:197]
	v_fma_f64 v[2:3], v[2:3], v[196:197], -v[6:7]
	v_mov_b64_e32 v[4:5], v[26:27]
.LBB125_638:
	s_and_saveexec_b64 s[8:9], s[2:3]
	s_cbranch_execz .LBB125_648
; %bb.639:
	v_add_u32_e32 v7, -16, v0
	v_add_u32_e32 v6, -15, v0
	v_cmp_lt_u32_e32 vcc, 6, v7
	v_mov_b32_e32 v196, 15
	s_and_saveexec_b64 s[2:3], vcc
	s_cbranch_execz .LBB125_643
; %bb.640:
	v_and_b32_e32 v7, -8, v6
	s_mov_b32 s12, 0
	s_mov_b64 s[10:11], 0
	v_mov_b32_e32 v195, 0
	s_mov_b32 s13, 0
.LBB125_641:                            ; =>This Inner Loop Header: Depth=1
	v_readfirstlane_b32 s14, v195
	s_add_i32 s14, s14, s12
	s_add_i32 s15, s14, 0xf0
	v_mov_b32_e32 v13, s12
	ds_read_b128 v[196:199], v13 offset:1232
	ds_read_b128 v[200:203], v13 offset:1248
	;; [unrolled: 1-line block ×4, first 2 shown]
	scratch_load_dwordx4 v[212:215], off, s15
	s_add_i32 s15, s14, 0x100
	s_addk_i32 s12, 0x80
	s_waitcnt vmcnt(0) lgkmcnt(3)
	v_mul_f64 v[26:27], v[198:199], v[214:215]
	v_mul_f64 v[28:29], v[196:197], v[214:215]
	v_fma_f64 v[26:27], v[196:197], v[212:213], -v[26:27]
	v_fmac_f64_e32 v[28:29], v[198:199], v[212:213]
	v_add_f64 v[26:27], v[2:3], v[26:27]
	v_add_f64 v[28:29], v[4:5], v[28:29]
	scratch_load_dwordx4 v[2:5], off, s15
	s_add_i32 s15, s14, 0x110
	s_waitcnt vmcnt(0) lgkmcnt(2)
	v_mul_f64 v[36:37], v[202:203], v[4:5]
	v_mul_f64 v[4:5], v[200:201], v[4:5]
	v_fmac_f64_e32 v[4:5], v[202:203], v[2:3]
	v_fma_f64 v[36:37], v[200:201], v[2:3], -v[36:37]
	v_add_f64 v[28:29], v[28:29], v[4:5]
	scratch_load_dwordx4 v[2:5], off, s15
	v_add_f64 v[26:27], v[26:27], v[36:37]
	s_add_i32 s15, s14, 0x120
	s_waitcnt vmcnt(0) lgkmcnt(1)
	v_mul_f64 v[36:37], v[206:207], v[4:5]
	v_mul_f64 v[4:5], v[204:205], v[4:5]
	v_fmac_f64_e32 v[4:5], v[206:207], v[2:3]
	v_fma_f64 v[36:37], v[204:205], v[2:3], -v[36:37]
	v_add_f64 v[28:29], v[28:29], v[4:5]
	scratch_load_dwordx4 v[2:5], off, s15
	s_add_i32 s15, s14, 0x130
	scratch_load_dwordx4 v[196:199], off, s15
	v_add_f64 v[26:27], v[26:27], v[36:37]
	s_add_i32 s15, s14, 0x140
	s_waitcnt vmcnt(1) lgkmcnt(0)
	v_mul_f64 v[36:37], v[210:211], v[4:5]
	v_mul_f64 v[4:5], v[208:209], v[4:5]
	v_fmac_f64_e32 v[4:5], v[210:211], v[2:3]
	v_fma_f64 v[36:37], v[208:209], v[2:3], -v[36:37]
	v_add_f64 v[28:29], v[28:29], v[4:5]
	ds_read_b128 v[2:5], v13 offset:1296
	v_add_f64 v[26:27], v[26:27], v[36:37]
	s_waitcnt vmcnt(0) lgkmcnt(0)
	v_mul_f64 v[36:37], v[4:5], v[198:199]
	v_fma_f64 v[36:37], v[2:3], v[196:197], -v[36:37]
	v_mul_f64 v[2:3], v[2:3], v[198:199]
	v_fmac_f64_e32 v[2:3], v[4:5], v[196:197]
	scratch_load_dwordx4 v[196:199], off, s15
	v_add_f64 v[28:29], v[28:29], v[2:3]
	ds_read_b128 v[2:5], v13 offset:1312
	v_add_f64 v[26:27], v[26:27], v[36:37]
	s_add_i32 s15, s14, 0x150
	s_addk_i32 s14, 0x160
	s_waitcnt vmcnt(0) lgkmcnt(0)
	v_mul_f64 v[36:37], v[4:5], v[198:199]
	v_fma_f64 v[36:37], v[2:3], v[196:197], -v[36:37]
	v_mul_f64 v[2:3], v[2:3], v[198:199]
	v_fmac_f64_e32 v[2:3], v[4:5], v[196:197]
	scratch_load_dwordx4 v[196:199], off, s15
	v_add_f64 v[28:29], v[28:29], v[2:3]
	ds_read_b128 v[2:5], v13 offset:1328
	v_add_f64 v[26:27], v[26:27], v[36:37]
	s_waitcnt vmcnt(0) lgkmcnt(0)
	v_mul_f64 v[36:37], v[4:5], v[198:199]
	v_fma_f64 v[36:37], v[2:3], v[196:197], -v[36:37]
	v_mul_f64 v[2:3], v[2:3], v[198:199]
	v_fmac_f64_e32 v[2:3], v[4:5], v[196:197]
	scratch_load_dwordx4 v[196:199], off, s14
	v_add_f64 v[28:29], v[28:29], v[2:3]
	ds_read_b128 v[2:5], v13 offset:1344
	v_add_f64 v[26:27], v[26:27], v[36:37]
	s_add_i32 s14, s13, 8
	v_cmp_eq_u32_e32 vcc, s14, v7
	s_add_i32 s13, s13, 23
	s_or_b64 s[10:11], vcc, s[10:11]
	s_waitcnt vmcnt(0) lgkmcnt(0)
	v_mul_f64 v[36:37], v[4:5], v[198:199]
	v_mul_f64 v[138:139], v[2:3], v[198:199]
	v_fma_f64 v[36:37], v[2:3], v[196:197], -v[36:37]
	v_fmac_f64_e32 v[138:139], v[4:5], v[196:197]
	v_add_f64 v[2:3], v[26:27], v[36:37]
	v_add_f64 v[4:5], v[28:29], v[138:139]
	v_mov_b32_e32 v196, s13
	s_mov_b32 s13, s14
	s_andn2_b64 exec, exec, s[10:11]
	s_cbranch_execnz .LBB125_641
; %bb.642:
	s_or_b64 exec, exec, s[10:11]
.LBB125_643:
	s_or_b64 exec, exec, s[2:3]
	v_and_b32_e32 v6, 7, v6
	v_cmp_ne_u32_e32 vcc, 0, v6
	s_and_saveexec_b64 s[2:3], vcc
	s_cbranch_execz .LBB125_647
; %bb.644:
	v_lshlrev_b32_e32 v13, 4, v196
	v_add_u32_e32 v7, 0x3e0, v13
	v_add_u32_e32 v195, 0, v13
	s_mov_b64 s[10:11], 0
.LBB125_645:                            ; =>This Inner Loop Header: Depth=1
	scratch_load_dwordx4 v[196:199], v195, off
	ds_read_b128 v[200:203], v7
	v_add_u32_e32 v6, -1, v6
	v_cmp_eq_u32_e32 vcc, 0, v6
	v_add_u32_e32 v7, 16, v7
	v_add_u32_e32 v195, 16, v195
	s_or_b64 s[10:11], vcc, s[10:11]
	s_waitcnt vmcnt(0) lgkmcnt(0)
	v_mul_f64 v[26:27], v[202:203], v[198:199]
	v_mul_f64 v[28:29], v[200:201], v[198:199]
	v_fma_f64 v[26:27], v[200:201], v[196:197], -v[26:27]
	v_fmac_f64_e32 v[28:29], v[202:203], v[196:197]
	v_add_f64 v[2:3], v[2:3], v[26:27]
	v_add_f64 v[4:5], v[4:5], v[28:29]
	s_andn2_b64 exec, exec, s[10:11]
	s_cbranch_execnz .LBB125_645
; %bb.646:
	s_or_b64 exec, exec, s[10:11]
.LBB125_647:
	s_or_b64 exec, exec, s[2:3]
.LBB125_648:
	s_or_b64 exec, exec, s[8:9]
	v_mov_b32_e32 v6, 0
	ds_read_b128 v[196:199], v6 offset:224
	s_waitcnt lgkmcnt(0)
	v_mul_f64 v[6:7], v[4:5], v[198:199]
	v_mul_f64 v[200:201], v[2:3], v[198:199]
	v_fma_f64 v[198:199], v[2:3], v[196:197], -v[6:7]
	v_fmac_f64_e32 v[200:201], v[4:5], v[196:197]
	scratch_store_dwordx4 off, v[198:201], off offset:224
.LBB125_649:
	s_or_b64 exec, exec, s[4:5]
	scratch_load_dwordx4 v[2:5], v182, off
	v_cmp_lt_u32_e64 s[2:3], 13, v0
	s_waitcnt vmcnt(0)
	ds_write_b128 v9, v[2:5]
	s_waitcnt lgkmcnt(0)
	; wave barrier
	s_waitcnt lgkmcnt(0)
	s_and_saveexec_b64 s[4:5], s[2:3]
	s_cbranch_execz .LBB125_663
; %bb.650:
	ds_read_b128 v[2:5], v9
	s_andn2_b64 vcc, exec, s[6:7]
	s_cbranch_vccnz .LBB125_652
; %bb.651:
	scratch_load_dwordx4 v[196:199], v8, off
	s_waitcnt vmcnt(0) lgkmcnt(0)
	v_mul_f64 v[26:27], v[2:3], v[198:199]
	v_mul_f64 v[6:7], v[4:5], v[198:199]
	v_fmac_f64_e32 v[26:27], v[4:5], v[196:197]
	v_fma_f64 v[2:3], v[2:3], v[196:197], -v[6:7]
	v_mov_b64_e32 v[4:5], v[26:27]
.LBB125_652:
	s_and_saveexec_b64 s[8:9], s[0:1]
	s_cbranch_execz .LBB125_662
; %bb.653:
	v_add_u32_e32 v7, -15, v0
	v_add_u32_e32 v6, -14, v0
	v_cmp_lt_u32_e32 vcc, 6, v7
	v_mov_b32_e32 v196, 14
	s_and_saveexec_b64 s[0:1], vcc
	s_cbranch_execz .LBB125_657
; %bb.654:
	v_and_b32_e32 v7, -8, v6
	s_mov_b32 s12, 0
	s_mov_b64 s[10:11], 0
	v_mov_b32_e32 v195, 0
	s_mov_b32 s13, 0
.LBB125_655:                            ; =>This Inner Loop Header: Depth=1
	v_readfirstlane_b32 s14, v195
	s_add_i32 s14, s14, s12
	s_add_i32 s15, s14, 0xe0
	v_mov_b32_e32 v13, s12
	ds_read_b128 v[196:199], v13 offset:1216
	ds_read_b128 v[200:203], v13 offset:1232
	;; [unrolled: 1-line block ×4, first 2 shown]
	scratch_load_dwordx4 v[212:215], off, s15
	s_add_i32 s15, s14, 0xf0
	s_addk_i32 s12, 0x80
	s_waitcnt vmcnt(0) lgkmcnt(3)
	v_mul_f64 v[26:27], v[198:199], v[214:215]
	v_mul_f64 v[28:29], v[196:197], v[214:215]
	v_fma_f64 v[26:27], v[196:197], v[212:213], -v[26:27]
	v_fmac_f64_e32 v[28:29], v[198:199], v[212:213]
	v_add_f64 v[26:27], v[2:3], v[26:27]
	v_add_f64 v[28:29], v[4:5], v[28:29]
	scratch_load_dwordx4 v[2:5], off, s15
	s_add_i32 s15, s14, 0x100
	s_waitcnt vmcnt(0) lgkmcnt(2)
	v_mul_f64 v[36:37], v[202:203], v[4:5]
	v_mul_f64 v[4:5], v[200:201], v[4:5]
	v_fmac_f64_e32 v[4:5], v[202:203], v[2:3]
	v_fma_f64 v[36:37], v[200:201], v[2:3], -v[36:37]
	v_add_f64 v[28:29], v[28:29], v[4:5]
	scratch_load_dwordx4 v[2:5], off, s15
	v_add_f64 v[26:27], v[26:27], v[36:37]
	s_add_i32 s15, s14, 0x110
	s_waitcnt vmcnt(0) lgkmcnt(1)
	v_mul_f64 v[36:37], v[206:207], v[4:5]
	v_mul_f64 v[4:5], v[204:205], v[4:5]
	v_fmac_f64_e32 v[4:5], v[206:207], v[2:3]
	v_fma_f64 v[36:37], v[204:205], v[2:3], -v[36:37]
	v_add_f64 v[28:29], v[28:29], v[4:5]
	scratch_load_dwordx4 v[2:5], off, s15
	s_add_i32 s15, s14, 0x120
	scratch_load_dwordx4 v[196:199], off, s15
	v_add_f64 v[26:27], v[26:27], v[36:37]
	s_add_i32 s15, s14, 0x130
	s_waitcnt vmcnt(1) lgkmcnt(0)
	v_mul_f64 v[36:37], v[210:211], v[4:5]
	v_mul_f64 v[4:5], v[208:209], v[4:5]
	v_fmac_f64_e32 v[4:5], v[210:211], v[2:3]
	v_fma_f64 v[36:37], v[208:209], v[2:3], -v[36:37]
	v_add_f64 v[28:29], v[28:29], v[4:5]
	ds_read_b128 v[2:5], v13 offset:1280
	v_add_f64 v[26:27], v[26:27], v[36:37]
	s_waitcnt vmcnt(0) lgkmcnt(0)
	v_mul_f64 v[36:37], v[4:5], v[198:199]
	v_fma_f64 v[36:37], v[2:3], v[196:197], -v[36:37]
	v_mul_f64 v[2:3], v[2:3], v[198:199]
	v_fmac_f64_e32 v[2:3], v[4:5], v[196:197]
	scratch_load_dwordx4 v[196:199], off, s15
	v_add_f64 v[28:29], v[28:29], v[2:3]
	ds_read_b128 v[2:5], v13 offset:1296
	v_add_f64 v[26:27], v[26:27], v[36:37]
	s_add_i32 s15, s14, 0x140
	s_addk_i32 s14, 0x150
	s_waitcnt vmcnt(0) lgkmcnt(0)
	v_mul_f64 v[36:37], v[4:5], v[198:199]
	v_fma_f64 v[36:37], v[2:3], v[196:197], -v[36:37]
	v_mul_f64 v[2:3], v[2:3], v[198:199]
	v_fmac_f64_e32 v[2:3], v[4:5], v[196:197]
	scratch_load_dwordx4 v[196:199], off, s15
	v_add_f64 v[28:29], v[28:29], v[2:3]
	ds_read_b128 v[2:5], v13 offset:1312
	v_add_f64 v[26:27], v[26:27], v[36:37]
	s_waitcnt vmcnt(0) lgkmcnt(0)
	v_mul_f64 v[36:37], v[4:5], v[198:199]
	v_fma_f64 v[36:37], v[2:3], v[196:197], -v[36:37]
	v_mul_f64 v[2:3], v[2:3], v[198:199]
	v_fmac_f64_e32 v[2:3], v[4:5], v[196:197]
	scratch_load_dwordx4 v[196:199], off, s14
	v_add_f64 v[28:29], v[28:29], v[2:3]
	ds_read_b128 v[2:5], v13 offset:1328
	v_add_f64 v[26:27], v[26:27], v[36:37]
	s_add_i32 s14, s13, 8
	v_cmp_eq_u32_e32 vcc, s14, v7
	s_add_i32 s13, s13, 22
	s_or_b64 s[10:11], vcc, s[10:11]
	s_waitcnt vmcnt(0) lgkmcnt(0)
	v_mul_f64 v[36:37], v[4:5], v[198:199]
	v_mul_f64 v[138:139], v[2:3], v[198:199]
	v_fma_f64 v[36:37], v[2:3], v[196:197], -v[36:37]
	v_fmac_f64_e32 v[138:139], v[4:5], v[196:197]
	v_add_f64 v[2:3], v[26:27], v[36:37]
	v_add_f64 v[4:5], v[28:29], v[138:139]
	v_mov_b32_e32 v196, s13
	s_mov_b32 s13, s14
	s_andn2_b64 exec, exec, s[10:11]
	s_cbranch_execnz .LBB125_655
; %bb.656:
	s_or_b64 exec, exec, s[10:11]
.LBB125_657:
	s_or_b64 exec, exec, s[0:1]
	v_and_b32_e32 v6, 7, v6
	v_cmp_ne_u32_e32 vcc, 0, v6
	s_and_saveexec_b64 s[0:1], vcc
	s_cbranch_execz .LBB125_661
; %bb.658:
	v_lshlrev_b32_e32 v13, 4, v196
	v_add_u32_e32 v7, 0x3e0, v13
	v_add_u32_e32 v195, 0, v13
	s_mov_b64 s[10:11], 0
.LBB125_659:                            ; =>This Inner Loop Header: Depth=1
	scratch_load_dwordx4 v[196:199], v195, off
	ds_read_b128 v[200:203], v7
	v_add_u32_e32 v6, -1, v6
	v_cmp_eq_u32_e32 vcc, 0, v6
	v_add_u32_e32 v7, 16, v7
	v_add_u32_e32 v195, 16, v195
	s_or_b64 s[10:11], vcc, s[10:11]
	s_waitcnt vmcnt(0) lgkmcnt(0)
	v_mul_f64 v[26:27], v[202:203], v[198:199]
	v_mul_f64 v[28:29], v[200:201], v[198:199]
	v_fma_f64 v[26:27], v[200:201], v[196:197], -v[26:27]
	v_fmac_f64_e32 v[28:29], v[202:203], v[196:197]
	v_add_f64 v[2:3], v[2:3], v[26:27]
	v_add_f64 v[4:5], v[4:5], v[28:29]
	s_andn2_b64 exec, exec, s[10:11]
	s_cbranch_execnz .LBB125_659
; %bb.660:
	s_or_b64 exec, exec, s[10:11]
.LBB125_661:
	s_or_b64 exec, exec, s[0:1]
.LBB125_662:
	s_or_b64 exec, exec, s[8:9]
	v_mov_b32_e32 v6, 0
	ds_read_b128 v[196:199], v6 offset:208
	s_waitcnt lgkmcnt(0)
	v_mul_f64 v[6:7], v[4:5], v[198:199]
	v_mul_f64 v[200:201], v[2:3], v[198:199]
	v_fma_f64 v[198:199], v[2:3], v[196:197], -v[6:7]
	v_fmac_f64_e32 v[200:201], v[4:5], v[196:197]
	scratch_store_dwordx4 off, v[198:201], off offset:208
.LBB125_663:
	s_or_b64 exec, exec, s[4:5]
	scratch_load_dwordx4 v[2:5], v183, off
	v_cmp_lt_u32_e64 s[0:1], 12, v0
	s_waitcnt vmcnt(0)
	ds_write_b128 v9, v[2:5]
	s_waitcnt lgkmcnt(0)
	; wave barrier
	s_waitcnt lgkmcnt(0)
	s_and_saveexec_b64 s[4:5], s[0:1]
	s_cbranch_execz .LBB125_677
; %bb.664:
	ds_read_b128 v[2:5], v9
	s_andn2_b64 vcc, exec, s[6:7]
	s_cbranch_vccnz .LBB125_666
; %bb.665:
	scratch_load_dwordx4 v[196:199], v8, off
	s_waitcnt vmcnt(0) lgkmcnt(0)
	v_mul_f64 v[26:27], v[2:3], v[198:199]
	v_mul_f64 v[6:7], v[4:5], v[198:199]
	v_fmac_f64_e32 v[26:27], v[4:5], v[196:197]
	v_fma_f64 v[2:3], v[2:3], v[196:197], -v[6:7]
	v_mov_b64_e32 v[4:5], v[26:27]
.LBB125_666:
	s_and_saveexec_b64 s[8:9], s[2:3]
	s_cbranch_execz .LBB125_676
; %bb.667:
	v_add_u32_e32 v7, -14, v0
	v_add_u32_e32 v6, -13, v0
	v_cmp_lt_u32_e32 vcc, 6, v7
	v_mov_b32_e32 v196, 13
	s_and_saveexec_b64 s[2:3], vcc
	s_cbranch_execz .LBB125_671
; %bb.668:
	v_and_b32_e32 v7, -8, v6
	s_mov_b32 s12, 0
	s_mov_b64 s[10:11], 0
	v_mov_b32_e32 v195, 0
	s_mov_b32 s13, 0
.LBB125_669:                            ; =>This Inner Loop Header: Depth=1
	v_readfirstlane_b32 s14, v195
	s_add_i32 s14, s14, s12
	s_add_i32 s15, s14, 0xd0
	v_mov_b32_e32 v13, s12
	ds_read_b128 v[196:199], v13 offset:1200
	ds_read_b128 v[200:203], v13 offset:1216
	;; [unrolled: 1-line block ×4, first 2 shown]
	scratch_load_dwordx4 v[212:215], off, s15
	s_add_i32 s15, s14, 0xe0
	s_addk_i32 s12, 0x80
	s_waitcnt vmcnt(0) lgkmcnt(3)
	v_mul_f64 v[26:27], v[198:199], v[214:215]
	v_mul_f64 v[28:29], v[196:197], v[214:215]
	v_fma_f64 v[26:27], v[196:197], v[212:213], -v[26:27]
	v_fmac_f64_e32 v[28:29], v[198:199], v[212:213]
	v_add_f64 v[26:27], v[2:3], v[26:27]
	v_add_f64 v[28:29], v[4:5], v[28:29]
	scratch_load_dwordx4 v[2:5], off, s15
	s_add_i32 s15, s14, 0xf0
	s_waitcnt vmcnt(0) lgkmcnt(2)
	v_mul_f64 v[36:37], v[202:203], v[4:5]
	v_mul_f64 v[4:5], v[200:201], v[4:5]
	v_fmac_f64_e32 v[4:5], v[202:203], v[2:3]
	v_fma_f64 v[36:37], v[200:201], v[2:3], -v[36:37]
	v_add_f64 v[28:29], v[28:29], v[4:5]
	scratch_load_dwordx4 v[2:5], off, s15
	v_add_f64 v[26:27], v[26:27], v[36:37]
	s_add_i32 s15, s14, 0x100
	s_waitcnt vmcnt(0) lgkmcnt(1)
	v_mul_f64 v[36:37], v[206:207], v[4:5]
	v_mul_f64 v[4:5], v[204:205], v[4:5]
	v_fmac_f64_e32 v[4:5], v[206:207], v[2:3]
	v_fma_f64 v[36:37], v[204:205], v[2:3], -v[36:37]
	v_add_f64 v[28:29], v[28:29], v[4:5]
	scratch_load_dwordx4 v[2:5], off, s15
	s_add_i32 s15, s14, 0x110
	scratch_load_dwordx4 v[196:199], off, s15
	v_add_f64 v[26:27], v[26:27], v[36:37]
	s_add_i32 s15, s14, 0x120
	s_waitcnt vmcnt(1) lgkmcnt(0)
	v_mul_f64 v[36:37], v[210:211], v[4:5]
	v_mul_f64 v[4:5], v[208:209], v[4:5]
	v_fmac_f64_e32 v[4:5], v[210:211], v[2:3]
	v_fma_f64 v[36:37], v[208:209], v[2:3], -v[36:37]
	v_add_f64 v[28:29], v[28:29], v[4:5]
	ds_read_b128 v[2:5], v13 offset:1264
	v_add_f64 v[26:27], v[26:27], v[36:37]
	s_waitcnt vmcnt(0) lgkmcnt(0)
	v_mul_f64 v[36:37], v[4:5], v[198:199]
	v_fma_f64 v[36:37], v[2:3], v[196:197], -v[36:37]
	v_mul_f64 v[2:3], v[2:3], v[198:199]
	v_fmac_f64_e32 v[2:3], v[4:5], v[196:197]
	scratch_load_dwordx4 v[196:199], off, s15
	v_add_f64 v[28:29], v[28:29], v[2:3]
	ds_read_b128 v[2:5], v13 offset:1280
	v_add_f64 v[26:27], v[26:27], v[36:37]
	s_add_i32 s15, s14, 0x130
	s_addk_i32 s14, 0x140
	s_waitcnt vmcnt(0) lgkmcnt(0)
	v_mul_f64 v[36:37], v[4:5], v[198:199]
	v_fma_f64 v[36:37], v[2:3], v[196:197], -v[36:37]
	v_mul_f64 v[2:3], v[2:3], v[198:199]
	v_fmac_f64_e32 v[2:3], v[4:5], v[196:197]
	scratch_load_dwordx4 v[196:199], off, s15
	v_add_f64 v[28:29], v[28:29], v[2:3]
	ds_read_b128 v[2:5], v13 offset:1296
	v_add_f64 v[26:27], v[26:27], v[36:37]
	s_waitcnt vmcnt(0) lgkmcnt(0)
	v_mul_f64 v[36:37], v[4:5], v[198:199]
	v_fma_f64 v[36:37], v[2:3], v[196:197], -v[36:37]
	v_mul_f64 v[2:3], v[2:3], v[198:199]
	v_fmac_f64_e32 v[2:3], v[4:5], v[196:197]
	scratch_load_dwordx4 v[196:199], off, s14
	v_add_f64 v[28:29], v[28:29], v[2:3]
	ds_read_b128 v[2:5], v13 offset:1312
	v_add_f64 v[26:27], v[26:27], v[36:37]
	s_add_i32 s14, s13, 8
	v_cmp_eq_u32_e32 vcc, s14, v7
	s_add_i32 s13, s13, 21
	s_or_b64 s[10:11], vcc, s[10:11]
	s_waitcnt vmcnt(0) lgkmcnt(0)
	v_mul_f64 v[36:37], v[4:5], v[198:199]
	v_mul_f64 v[138:139], v[2:3], v[198:199]
	v_fma_f64 v[36:37], v[2:3], v[196:197], -v[36:37]
	v_fmac_f64_e32 v[138:139], v[4:5], v[196:197]
	v_add_f64 v[2:3], v[26:27], v[36:37]
	v_add_f64 v[4:5], v[28:29], v[138:139]
	v_mov_b32_e32 v196, s13
	s_mov_b32 s13, s14
	s_andn2_b64 exec, exec, s[10:11]
	s_cbranch_execnz .LBB125_669
; %bb.670:
	s_or_b64 exec, exec, s[10:11]
.LBB125_671:
	s_or_b64 exec, exec, s[2:3]
	v_and_b32_e32 v6, 7, v6
	v_cmp_ne_u32_e32 vcc, 0, v6
	s_and_saveexec_b64 s[2:3], vcc
	s_cbranch_execz .LBB125_675
; %bb.672:
	v_lshlrev_b32_e32 v13, 4, v196
	v_add_u32_e32 v7, 0x3e0, v13
	v_add_u32_e32 v195, 0, v13
	s_mov_b64 s[10:11], 0
.LBB125_673:                            ; =>This Inner Loop Header: Depth=1
	scratch_load_dwordx4 v[196:199], v195, off
	ds_read_b128 v[200:203], v7
	v_add_u32_e32 v6, -1, v6
	v_cmp_eq_u32_e32 vcc, 0, v6
	v_add_u32_e32 v7, 16, v7
	v_add_u32_e32 v195, 16, v195
	s_or_b64 s[10:11], vcc, s[10:11]
	s_waitcnt vmcnt(0) lgkmcnt(0)
	v_mul_f64 v[26:27], v[202:203], v[198:199]
	v_mul_f64 v[28:29], v[200:201], v[198:199]
	v_fma_f64 v[26:27], v[200:201], v[196:197], -v[26:27]
	v_fmac_f64_e32 v[28:29], v[202:203], v[196:197]
	v_add_f64 v[2:3], v[2:3], v[26:27]
	v_add_f64 v[4:5], v[4:5], v[28:29]
	s_andn2_b64 exec, exec, s[10:11]
	s_cbranch_execnz .LBB125_673
; %bb.674:
	s_or_b64 exec, exec, s[10:11]
.LBB125_675:
	s_or_b64 exec, exec, s[2:3]
.LBB125_676:
	s_or_b64 exec, exec, s[8:9]
	v_mov_b32_e32 v6, 0
	ds_read_b128 v[196:199], v6 offset:192
	s_waitcnt lgkmcnt(0)
	v_mul_f64 v[6:7], v[4:5], v[198:199]
	v_mul_f64 v[200:201], v[2:3], v[198:199]
	v_fma_f64 v[198:199], v[2:3], v[196:197], -v[6:7]
	v_fmac_f64_e32 v[200:201], v[4:5], v[196:197]
	scratch_store_dwordx4 off, v[198:201], off offset:192
.LBB125_677:
	s_or_b64 exec, exec, s[4:5]
	scratch_load_dwordx4 v[2:5], v184, off
	v_cmp_lt_u32_e64 s[2:3], 11, v0
	s_waitcnt vmcnt(0)
	ds_write_b128 v9, v[2:5]
	s_waitcnt lgkmcnt(0)
	; wave barrier
	s_waitcnt lgkmcnt(0)
	s_and_saveexec_b64 s[4:5], s[2:3]
	s_cbranch_execz .LBB125_691
; %bb.678:
	ds_read_b128 v[2:5], v9
	s_andn2_b64 vcc, exec, s[6:7]
	s_cbranch_vccnz .LBB125_680
; %bb.679:
	scratch_load_dwordx4 v[196:199], v8, off
	s_waitcnt vmcnt(0) lgkmcnt(0)
	v_mul_f64 v[26:27], v[2:3], v[198:199]
	v_mul_f64 v[6:7], v[4:5], v[198:199]
	v_fmac_f64_e32 v[26:27], v[4:5], v[196:197]
	v_fma_f64 v[2:3], v[2:3], v[196:197], -v[6:7]
	v_mov_b64_e32 v[4:5], v[26:27]
.LBB125_680:
	s_and_saveexec_b64 s[8:9], s[0:1]
	s_cbranch_execz .LBB125_690
; %bb.681:
	v_add_u32_e32 v7, -13, v0
	v_add_u32_e32 v6, -12, v0
	v_cmp_lt_u32_e32 vcc, 6, v7
	v_mov_b32_e32 v196, 12
	s_and_saveexec_b64 s[0:1], vcc
	s_cbranch_execz .LBB125_685
; %bb.682:
	v_and_b32_e32 v7, -8, v6
	s_mov_b32 s12, 0
	s_mov_b64 s[10:11], 0
	v_mov_b32_e32 v195, 0
	s_mov_b32 s13, 0
.LBB125_683:                            ; =>This Inner Loop Header: Depth=1
	v_readfirstlane_b32 s14, v195
	s_add_i32 s14, s14, s12
	s_add_i32 s15, s14, 0xc0
	v_mov_b32_e32 v13, s12
	ds_read_b128 v[196:199], v13 offset:1184
	ds_read_b128 v[200:203], v13 offset:1200
	;; [unrolled: 1-line block ×4, first 2 shown]
	scratch_load_dwordx4 v[212:215], off, s15
	s_add_i32 s15, s14, 0xd0
	s_addk_i32 s12, 0x80
	s_waitcnt vmcnt(0) lgkmcnt(3)
	v_mul_f64 v[26:27], v[198:199], v[214:215]
	v_mul_f64 v[28:29], v[196:197], v[214:215]
	v_fma_f64 v[26:27], v[196:197], v[212:213], -v[26:27]
	v_fmac_f64_e32 v[28:29], v[198:199], v[212:213]
	v_add_f64 v[26:27], v[2:3], v[26:27]
	v_add_f64 v[28:29], v[4:5], v[28:29]
	scratch_load_dwordx4 v[2:5], off, s15
	s_add_i32 s15, s14, 0xe0
	s_waitcnt vmcnt(0) lgkmcnt(2)
	v_mul_f64 v[36:37], v[202:203], v[4:5]
	v_mul_f64 v[4:5], v[200:201], v[4:5]
	v_fmac_f64_e32 v[4:5], v[202:203], v[2:3]
	v_fma_f64 v[36:37], v[200:201], v[2:3], -v[36:37]
	v_add_f64 v[28:29], v[28:29], v[4:5]
	scratch_load_dwordx4 v[2:5], off, s15
	v_add_f64 v[26:27], v[26:27], v[36:37]
	s_add_i32 s15, s14, 0xf0
	s_waitcnt vmcnt(0) lgkmcnt(1)
	v_mul_f64 v[36:37], v[206:207], v[4:5]
	v_mul_f64 v[4:5], v[204:205], v[4:5]
	v_fmac_f64_e32 v[4:5], v[206:207], v[2:3]
	v_fma_f64 v[36:37], v[204:205], v[2:3], -v[36:37]
	v_add_f64 v[28:29], v[28:29], v[4:5]
	scratch_load_dwordx4 v[2:5], off, s15
	s_add_i32 s15, s14, 0x100
	scratch_load_dwordx4 v[196:199], off, s15
	v_add_f64 v[26:27], v[26:27], v[36:37]
	s_add_i32 s15, s14, 0x110
	s_waitcnt vmcnt(1) lgkmcnt(0)
	v_mul_f64 v[36:37], v[210:211], v[4:5]
	v_mul_f64 v[4:5], v[208:209], v[4:5]
	v_fmac_f64_e32 v[4:5], v[210:211], v[2:3]
	v_fma_f64 v[36:37], v[208:209], v[2:3], -v[36:37]
	v_add_f64 v[28:29], v[28:29], v[4:5]
	ds_read_b128 v[2:5], v13 offset:1248
	v_add_f64 v[26:27], v[26:27], v[36:37]
	s_waitcnt vmcnt(0) lgkmcnt(0)
	v_mul_f64 v[36:37], v[4:5], v[198:199]
	v_fma_f64 v[36:37], v[2:3], v[196:197], -v[36:37]
	v_mul_f64 v[2:3], v[2:3], v[198:199]
	v_fmac_f64_e32 v[2:3], v[4:5], v[196:197]
	scratch_load_dwordx4 v[196:199], off, s15
	v_add_f64 v[28:29], v[28:29], v[2:3]
	ds_read_b128 v[2:5], v13 offset:1264
	v_add_f64 v[26:27], v[26:27], v[36:37]
	s_add_i32 s15, s14, 0x120
	s_addk_i32 s14, 0x130
	s_waitcnt vmcnt(0) lgkmcnt(0)
	v_mul_f64 v[36:37], v[4:5], v[198:199]
	v_fma_f64 v[36:37], v[2:3], v[196:197], -v[36:37]
	v_mul_f64 v[2:3], v[2:3], v[198:199]
	v_fmac_f64_e32 v[2:3], v[4:5], v[196:197]
	scratch_load_dwordx4 v[196:199], off, s15
	v_add_f64 v[28:29], v[28:29], v[2:3]
	ds_read_b128 v[2:5], v13 offset:1280
	v_add_f64 v[26:27], v[26:27], v[36:37]
	s_waitcnt vmcnt(0) lgkmcnt(0)
	v_mul_f64 v[36:37], v[4:5], v[198:199]
	v_fma_f64 v[36:37], v[2:3], v[196:197], -v[36:37]
	v_mul_f64 v[2:3], v[2:3], v[198:199]
	v_fmac_f64_e32 v[2:3], v[4:5], v[196:197]
	scratch_load_dwordx4 v[196:199], off, s14
	v_add_f64 v[28:29], v[28:29], v[2:3]
	ds_read_b128 v[2:5], v13 offset:1296
	v_add_f64 v[26:27], v[26:27], v[36:37]
	s_add_i32 s14, s13, 8
	v_cmp_eq_u32_e32 vcc, s14, v7
	s_add_i32 s13, s13, 20
	s_or_b64 s[10:11], vcc, s[10:11]
	s_waitcnt vmcnt(0) lgkmcnt(0)
	v_mul_f64 v[36:37], v[4:5], v[198:199]
	v_mul_f64 v[138:139], v[2:3], v[198:199]
	v_fma_f64 v[36:37], v[2:3], v[196:197], -v[36:37]
	v_fmac_f64_e32 v[138:139], v[4:5], v[196:197]
	v_add_f64 v[2:3], v[26:27], v[36:37]
	v_add_f64 v[4:5], v[28:29], v[138:139]
	v_mov_b32_e32 v196, s13
	s_mov_b32 s13, s14
	s_andn2_b64 exec, exec, s[10:11]
	s_cbranch_execnz .LBB125_683
; %bb.684:
	s_or_b64 exec, exec, s[10:11]
.LBB125_685:
	s_or_b64 exec, exec, s[0:1]
	v_and_b32_e32 v6, 7, v6
	v_cmp_ne_u32_e32 vcc, 0, v6
	s_and_saveexec_b64 s[0:1], vcc
	s_cbranch_execz .LBB125_689
; %bb.686:
	v_lshlrev_b32_e32 v13, 4, v196
	v_add_u32_e32 v7, 0x3e0, v13
	v_add_u32_e32 v195, 0, v13
	s_mov_b64 s[10:11], 0
.LBB125_687:                            ; =>This Inner Loop Header: Depth=1
	scratch_load_dwordx4 v[196:199], v195, off
	ds_read_b128 v[200:203], v7
	v_add_u32_e32 v6, -1, v6
	v_cmp_eq_u32_e32 vcc, 0, v6
	v_add_u32_e32 v7, 16, v7
	v_add_u32_e32 v195, 16, v195
	s_or_b64 s[10:11], vcc, s[10:11]
	s_waitcnt vmcnt(0) lgkmcnt(0)
	v_mul_f64 v[26:27], v[202:203], v[198:199]
	v_mul_f64 v[28:29], v[200:201], v[198:199]
	v_fma_f64 v[26:27], v[200:201], v[196:197], -v[26:27]
	v_fmac_f64_e32 v[28:29], v[202:203], v[196:197]
	v_add_f64 v[2:3], v[2:3], v[26:27]
	v_add_f64 v[4:5], v[4:5], v[28:29]
	s_andn2_b64 exec, exec, s[10:11]
	s_cbranch_execnz .LBB125_687
; %bb.688:
	s_or_b64 exec, exec, s[10:11]
.LBB125_689:
	s_or_b64 exec, exec, s[0:1]
.LBB125_690:
	s_or_b64 exec, exec, s[8:9]
	v_mov_b32_e32 v6, 0
	ds_read_b128 v[196:199], v6 offset:176
	s_waitcnt lgkmcnt(0)
	v_mul_f64 v[6:7], v[4:5], v[198:199]
	v_mul_f64 v[200:201], v[2:3], v[198:199]
	v_fma_f64 v[198:199], v[2:3], v[196:197], -v[6:7]
	v_fmac_f64_e32 v[200:201], v[4:5], v[196:197]
	scratch_store_dwordx4 off, v[198:201], off offset:176
.LBB125_691:
	s_or_b64 exec, exec, s[4:5]
	scratch_load_dwordx4 v[2:5], v185, off
	v_cmp_lt_u32_e64 s[0:1], 10, v0
	s_waitcnt vmcnt(0)
	ds_write_b128 v9, v[2:5]
	s_waitcnt lgkmcnt(0)
	; wave barrier
	s_waitcnt lgkmcnt(0)
	s_and_saveexec_b64 s[4:5], s[0:1]
	s_cbranch_execz .LBB125_705
; %bb.692:
	ds_read_b128 v[2:5], v9
	s_andn2_b64 vcc, exec, s[6:7]
	s_cbranch_vccnz .LBB125_694
; %bb.693:
	scratch_load_dwordx4 v[196:199], v8, off
	s_waitcnt vmcnt(0) lgkmcnt(0)
	v_mul_f64 v[26:27], v[2:3], v[198:199]
	v_mul_f64 v[6:7], v[4:5], v[198:199]
	v_fmac_f64_e32 v[26:27], v[4:5], v[196:197]
	v_fma_f64 v[2:3], v[2:3], v[196:197], -v[6:7]
	v_mov_b64_e32 v[4:5], v[26:27]
.LBB125_694:
	s_and_saveexec_b64 s[8:9], s[2:3]
	s_cbranch_execz .LBB125_704
; %bb.695:
	v_add_u32_e32 v7, -12, v0
	v_add_u32_e32 v6, -11, v0
	v_cmp_lt_u32_e32 vcc, 6, v7
	v_mov_b32_e32 v196, 11
	s_and_saveexec_b64 s[2:3], vcc
	s_cbranch_execz .LBB125_699
; %bb.696:
	v_and_b32_e32 v7, -8, v6
	s_mov_b32 s12, 0
	s_mov_b64 s[10:11], 0
	v_mov_b32_e32 v195, 0
	s_mov_b32 s13, 0
.LBB125_697:                            ; =>This Inner Loop Header: Depth=1
	v_readfirstlane_b32 s14, v195
	s_add_i32 s14, s14, s12
	s_add_i32 s15, s14, 0xb0
	v_mov_b32_e32 v13, s12
	ds_read_b128 v[196:199], v13 offset:1168
	ds_read_b128 v[200:203], v13 offset:1184
	;; [unrolled: 1-line block ×4, first 2 shown]
	scratch_load_dwordx4 v[212:215], off, s15
	s_add_i32 s15, s14, 0xc0
	s_addk_i32 s12, 0x80
	s_waitcnt vmcnt(0) lgkmcnt(3)
	v_mul_f64 v[26:27], v[198:199], v[214:215]
	v_mul_f64 v[28:29], v[196:197], v[214:215]
	v_fma_f64 v[26:27], v[196:197], v[212:213], -v[26:27]
	v_fmac_f64_e32 v[28:29], v[198:199], v[212:213]
	v_add_f64 v[26:27], v[2:3], v[26:27]
	v_add_f64 v[28:29], v[4:5], v[28:29]
	scratch_load_dwordx4 v[2:5], off, s15
	s_add_i32 s15, s14, 0xd0
	s_waitcnt vmcnt(0) lgkmcnt(2)
	v_mul_f64 v[36:37], v[202:203], v[4:5]
	v_mul_f64 v[4:5], v[200:201], v[4:5]
	v_fmac_f64_e32 v[4:5], v[202:203], v[2:3]
	v_fma_f64 v[36:37], v[200:201], v[2:3], -v[36:37]
	v_add_f64 v[28:29], v[28:29], v[4:5]
	scratch_load_dwordx4 v[2:5], off, s15
	v_add_f64 v[26:27], v[26:27], v[36:37]
	s_add_i32 s15, s14, 0xe0
	s_waitcnt vmcnt(0) lgkmcnt(1)
	v_mul_f64 v[36:37], v[206:207], v[4:5]
	v_mul_f64 v[4:5], v[204:205], v[4:5]
	v_fmac_f64_e32 v[4:5], v[206:207], v[2:3]
	v_fma_f64 v[36:37], v[204:205], v[2:3], -v[36:37]
	v_add_f64 v[28:29], v[28:29], v[4:5]
	scratch_load_dwordx4 v[2:5], off, s15
	s_add_i32 s15, s14, 0xf0
	scratch_load_dwordx4 v[196:199], off, s15
	v_add_f64 v[26:27], v[26:27], v[36:37]
	s_add_i32 s15, s14, 0x100
	s_waitcnt vmcnt(1) lgkmcnt(0)
	v_mul_f64 v[36:37], v[210:211], v[4:5]
	v_mul_f64 v[4:5], v[208:209], v[4:5]
	v_fmac_f64_e32 v[4:5], v[210:211], v[2:3]
	v_fma_f64 v[36:37], v[208:209], v[2:3], -v[36:37]
	v_add_f64 v[28:29], v[28:29], v[4:5]
	ds_read_b128 v[2:5], v13 offset:1232
	v_add_f64 v[26:27], v[26:27], v[36:37]
	s_waitcnt vmcnt(0) lgkmcnt(0)
	v_mul_f64 v[36:37], v[4:5], v[198:199]
	v_fma_f64 v[36:37], v[2:3], v[196:197], -v[36:37]
	v_mul_f64 v[2:3], v[2:3], v[198:199]
	v_fmac_f64_e32 v[2:3], v[4:5], v[196:197]
	scratch_load_dwordx4 v[196:199], off, s15
	v_add_f64 v[28:29], v[28:29], v[2:3]
	ds_read_b128 v[2:5], v13 offset:1248
	v_add_f64 v[26:27], v[26:27], v[36:37]
	s_add_i32 s15, s14, 0x110
	s_addk_i32 s14, 0x120
	s_waitcnt vmcnt(0) lgkmcnt(0)
	v_mul_f64 v[36:37], v[4:5], v[198:199]
	v_fma_f64 v[36:37], v[2:3], v[196:197], -v[36:37]
	v_mul_f64 v[2:3], v[2:3], v[198:199]
	v_fmac_f64_e32 v[2:3], v[4:5], v[196:197]
	scratch_load_dwordx4 v[196:199], off, s15
	v_add_f64 v[28:29], v[28:29], v[2:3]
	ds_read_b128 v[2:5], v13 offset:1264
	v_add_f64 v[26:27], v[26:27], v[36:37]
	s_waitcnt vmcnt(0) lgkmcnt(0)
	v_mul_f64 v[36:37], v[4:5], v[198:199]
	v_fma_f64 v[36:37], v[2:3], v[196:197], -v[36:37]
	v_mul_f64 v[2:3], v[2:3], v[198:199]
	v_fmac_f64_e32 v[2:3], v[4:5], v[196:197]
	scratch_load_dwordx4 v[196:199], off, s14
	v_add_f64 v[28:29], v[28:29], v[2:3]
	ds_read_b128 v[2:5], v13 offset:1280
	v_add_f64 v[26:27], v[26:27], v[36:37]
	s_add_i32 s14, s13, 8
	v_cmp_eq_u32_e32 vcc, s14, v7
	s_add_i32 s13, s13, 19
	s_or_b64 s[10:11], vcc, s[10:11]
	s_waitcnt vmcnt(0) lgkmcnt(0)
	v_mul_f64 v[36:37], v[4:5], v[198:199]
	v_mul_f64 v[138:139], v[2:3], v[198:199]
	v_fma_f64 v[36:37], v[2:3], v[196:197], -v[36:37]
	v_fmac_f64_e32 v[138:139], v[4:5], v[196:197]
	v_add_f64 v[2:3], v[26:27], v[36:37]
	v_add_f64 v[4:5], v[28:29], v[138:139]
	v_mov_b32_e32 v196, s13
	s_mov_b32 s13, s14
	s_andn2_b64 exec, exec, s[10:11]
	s_cbranch_execnz .LBB125_697
; %bb.698:
	s_or_b64 exec, exec, s[10:11]
.LBB125_699:
	s_or_b64 exec, exec, s[2:3]
	v_and_b32_e32 v6, 7, v6
	v_cmp_ne_u32_e32 vcc, 0, v6
	s_and_saveexec_b64 s[2:3], vcc
	s_cbranch_execz .LBB125_703
; %bb.700:
	v_lshlrev_b32_e32 v13, 4, v196
	v_add_u32_e32 v7, 0x3e0, v13
	v_add_u32_e32 v195, 0, v13
	s_mov_b64 s[10:11], 0
.LBB125_701:                            ; =>This Inner Loop Header: Depth=1
	scratch_load_dwordx4 v[196:199], v195, off
	ds_read_b128 v[200:203], v7
	v_add_u32_e32 v6, -1, v6
	v_cmp_eq_u32_e32 vcc, 0, v6
	v_add_u32_e32 v7, 16, v7
	v_add_u32_e32 v195, 16, v195
	s_or_b64 s[10:11], vcc, s[10:11]
	s_waitcnt vmcnt(0) lgkmcnt(0)
	v_mul_f64 v[26:27], v[202:203], v[198:199]
	v_mul_f64 v[28:29], v[200:201], v[198:199]
	v_fma_f64 v[26:27], v[200:201], v[196:197], -v[26:27]
	v_fmac_f64_e32 v[28:29], v[202:203], v[196:197]
	v_add_f64 v[2:3], v[2:3], v[26:27]
	v_add_f64 v[4:5], v[4:5], v[28:29]
	s_andn2_b64 exec, exec, s[10:11]
	s_cbranch_execnz .LBB125_701
; %bb.702:
	s_or_b64 exec, exec, s[10:11]
.LBB125_703:
	s_or_b64 exec, exec, s[2:3]
.LBB125_704:
	s_or_b64 exec, exec, s[8:9]
	v_mov_b32_e32 v6, 0
	ds_read_b128 v[196:199], v6 offset:160
	s_waitcnt lgkmcnt(0)
	v_mul_f64 v[6:7], v[4:5], v[198:199]
	v_mul_f64 v[200:201], v[2:3], v[198:199]
	v_fma_f64 v[198:199], v[2:3], v[196:197], -v[6:7]
	v_fmac_f64_e32 v[200:201], v[4:5], v[196:197]
	scratch_store_dwordx4 off, v[198:201], off offset:160
.LBB125_705:
	s_or_b64 exec, exec, s[4:5]
	scratch_load_dwordx4 v[2:5], v186, off
	v_cmp_lt_u32_e64 s[2:3], 9, v0
	s_waitcnt vmcnt(0)
	ds_write_b128 v9, v[2:5]
	s_waitcnt lgkmcnt(0)
	; wave barrier
	s_waitcnt lgkmcnt(0)
	s_and_saveexec_b64 s[4:5], s[2:3]
	s_cbranch_execz .LBB125_719
; %bb.706:
	ds_read_b128 v[2:5], v9
	s_andn2_b64 vcc, exec, s[6:7]
	s_cbranch_vccnz .LBB125_708
; %bb.707:
	scratch_load_dwordx4 v[196:199], v8, off
	s_waitcnt vmcnt(0) lgkmcnt(0)
	v_mul_f64 v[26:27], v[2:3], v[198:199]
	v_mul_f64 v[6:7], v[4:5], v[198:199]
	v_fmac_f64_e32 v[26:27], v[4:5], v[196:197]
	v_fma_f64 v[2:3], v[2:3], v[196:197], -v[6:7]
	v_mov_b64_e32 v[4:5], v[26:27]
.LBB125_708:
	s_and_saveexec_b64 s[8:9], s[0:1]
	s_cbranch_execz .LBB125_718
; %bb.709:
	v_add_u32_e32 v7, -11, v0
	v_add_u32_e32 v6, -10, v0
	v_cmp_lt_u32_e32 vcc, 6, v7
	v_mov_b32_e32 v196, 10
	s_and_saveexec_b64 s[0:1], vcc
	s_cbranch_execz .LBB125_713
; %bb.710:
	v_and_b32_e32 v7, -8, v6
	s_mov_b32 s12, 0
	s_mov_b64 s[10:11], 0
	v_mov_b32_e32 v195, 0
	s_mov_b32 s13, 0
.LBB125_711:                            ; =>This Inner Loop Header: Depth=1
	v_readfirstlane_b32 s14, v195
	s_add_i32 s14, s14, s12
	s_add_i32 s15, s14, 0xa0
	v_mov_b32_e32 v13, s12
	ds_read_b128 v[196:199], v13 offset:1152
	ds_read_b128 v[200:203], v13 offset:1168
	;; [unrolled: 1-line block ×4, first 2 shown]
	scratch_load_dwordx4 v[212:215], off, s15
	s_add_i32 s15, s14, 0xb0
	s_addk_i32 s12, 0x80
	s_waitcnt vmcnt(0) lgkmcnt(3)
	v_mul_f64 v[26:27], v[198:199], v[214:215]
	v_mul_f64 v[28:29], v[196:197], v[214:215]
	v_fma_f64 v[26:27], v[196:197], v[212:213], -v[26:27]
	v_fmac_f64_e32 v[28:29], v[198:199], v[212:213]
	v_add_f64 v[26:27], v[2:3], v[26:27]
	v_add_f64 v[28:29], v[4:5], v[28:29]
	scratch_load_dwordx4 v[2:5], off, s15
	s_add_i32 s15, s14, 0xc0
	s_waitcnt vmcnt(0) lgkmcnt(2)
	v_mul_f64 v[36:37], v[202:203], v[4:5]
	v_mul_f64 v[4:5], v[200:201], v[4:5]
	v_fmac_f64_e32 v[4:5], v[202:203], v[2:3]
	v_fma_f64 v[36:37], v[200:201], v[2:3], -v[36:37]
	v_add_f64 v[28:29], v[28:29], v[4:5]
	scratch_load_dwordx4 v[2:5], off, s15
	v_add_f64 v[26:27], v[26:27], v[36:37]
	s_add_i32 s15, s14, 0xd0
	s_waitcnt vmcnt(0) lgkmcnt(1)
	v_mul_f64 v[36:37], v[206:207], v[4:5]
	v_mul_f64 v[4:5], v[204:205], v[4:5]
	v_fmac_f64_e32 v[4:5], v[206:207], v[2:3]
	v_fma_f64 v[36:37], v[204:205], v[2:3], -v[36:37]
	v_add_f64 v[28:29], v[28:29], v[4:5]
	scratch_load_dwordx4 v[2:5], off, s15
	s_add_i32 s15, s14, 0xe0
	scratch_load_dwordx4 v[196:199], off, s15
	v_add_f64 v[26:27], v[26:27], v[36:37]
	s_add_i32 s15, s14, 0xf0
	s_waitcnt vmcnt(1) lgkmcnt(0)
	v_mul_f64 v[36:37], v[210:211], v[4:5]
	v_mul_f64 v[4:5], v[208:209], v[4:5]
	v_fmac_f64_e32 v[4:5], v[210:211], v[2:3]
	v_fma_f64 v[36:37], v[208:209], v[2:3], -v[36:37]
	v_add_f64 v[28:29], v[28:29], v[4:5]
	ds_read_b128 v[2:5], v13 offset:1216
	v_add_f64 v[26:27], v[26:27], v[36:37]
	s_waitcnt vmcnt(0) lgkmcnt(0)
	v_mul_f64 v[36:37], v[4:5], v[198:199]
	v_fma_f64 v[36:37], v[2:3], v[196:197], -v[36:37]
	v_mul_f64 v[2:3], v[2:3], v[198:199]
	v_fmac_f64_e32 v[2:3], v[4:5], v[196:197]
	scratch_load_dwordx4 v[196:199], off, s15
	v_add_f64 v[28:29], v[28:29], v[2:3]
	ds_read_b128 v[2:5], v13 offset:1232
	v_add_f64 v[26:27], v[26:27], v[36:37]
	s_add_i32 s15, s14, 0x100
	s_addk_i32 s14, 0x110
	s_waitcnt vmcnt(0) lgkmcnt(0)
	v_mul_f64 v[36:37], v[4:5], v[198:199]
	v_fma_f64 v[36:37], v[2:3], v[196:197], -v[36:37]
	v_mul_f64 v[2:3], v[2:3], v[198:199]
	v_fmac_f64_e32 v[2:3], v[4:5], v[196:197]
	scratch_load_dwordx4 v[196:199], off, s15
	v_add_f64 v[28:29], v[28:29], v[2:3]
	ds_read_b128 v[2:5], v13 offset:1248
	v_add_f64 v[26:27], v[26:27], v[36:37]
	s_waitcnt vmcnt(0) lgkmcnt(0)
	v_mul_f64 v[36:37], v[4:5], v[198:199]
	v_fma_f64 v[36:37], v[2:3], v[196:197], -v[36:37]
	v_mul_f64 v[2:3], v[2:3], v[198:199]
	v_fmac_f64_e32 v[2:3], v[4:5], v[196:197]
	scratch_load_dwordx4 v[196:199], off, s14
	v_add_f64 v[28:29], v[28:29], v[2:3]
	ds_read_b128 v[2:5], v13 offset:1264
	v_add_f64 v[26:27], v[26:27], v[36:37]
	s_add_i32 s14, s13, 8
	v_cmp_eq_u32_e32 vcc, s14, v7
	s_add_i32 s13, s13, 18
	s_or_b64 s[10:11], vcc, s[10:11]
	s_waitcnt vmcnt(0) lgkmcnt(0)
	v_mul_f64 v[36:37], v[4:5], v[198:199]
	v_mul_f64 v[138:139], v[2:3], v[198:199]
	v_fma_f64 v[36:37], v[2:3], v[196:197], -v[36:37]
	v_fmac_f64_e32 v[138:139], v[4:5], v[196:197]
	v_add_f64 v[2:3], v[26:27], v[36:37]
	v_add_f64 v[4:5], v[28:29], v[138:139]
	v_mov_b32_e32 v196, s13
	s_mov_b32 s13, s14
	s_andn2_b64 exec, exec, s[10:11]
	s_cbranch_execnz .LBB125_711
; %bb.712:
	s_or_b64 exec, exec, s[10:11]
.LBB125_713:
	s_or_b64 exec, exec, s[0:1]
	v_and_b32_e32 v6, 7, v6
	v_cmp_ne_u32_e32 vcc, 0, v6
	s_and_saveexec_b64 s[0:1], vcc
	s_cbranch_execz .LBB125_717
; %bb.714:
	v_lshlrev_b32_e32 v13, 4, v196
	v_add_u32_e32 v7, 0x3e0, v13
	v_add_u32_e32 v195, 0, v13
	s_mov_b64 s[10:11], 0
.LBB125_715:                            ; =>This Inner Loop Header: Depth=1
	scratch_load_dwordx4 v[196:199], v195, off
	ds_read_b128 v[200:203], v7
	v_add_u32_e32 v6, -1, v6
	v_cmp_eq_u32_e32 vcc, 0, v6
	v_add_u32_e32 v7, 16, v7
	v_add_u32_e32 v195, 16, v195
	s_or_b64 s[10:11], vcc, s[10:11]
	s_waitcnt vmcnt(0) lgkmcnt(0)
	v_mul_f64 v[26:27], v[202:203], v[198:199]
	v_mul_f64 v[28:29], v[200:201], v[198:199]
	v_fma_f64 v[26:27], v[200:201], v[196:197], -v[26:27]
	v_fmac_f64_e32 v[28:29], v[202:203], v[196:197]
	v_add_f64 v[2:3], v[2:3], v[26:27]
	v_add_f64 v[4:5], v[4:5], v[28:29]
	s_andn2_b64 exec, exec, s[10:11]
	s_cbranch_execnz .LBB125_715
; %bb.716:
	s_or_b64 exec, exec, s[10:11]
.LBB125_717:
	s_or_b64 exec, exec, s[0:1]
.LBB125_718:
	s_or_b64 exec, exec, s[8:9]
	v_mov_b32_e32 v6, 0
	ds_read_b128 v[196:199], v6 offset:144
	s_waitcnt lgkmcnt(0)
	v_mul_f64 v[6:7], v[4:5], v[198:199]
	v_mul_f64 v[200:201], v[2:3], v[198:199]
	v_fma_f64 v[198:199], v[2:3], v[196:197], -v[6:7]
	v_fmac_f64_e32 v[200:201], v[4:5], v[196:197]
	scratch_store_dwordx4 off, v[198:201], off offset:144
.LBB125_719:
	s_or_b64 exec, exec, s[4:5]
	scratch_load_dwordx4 v[2:5], v187, off
	v_cmp_lt_u32_e64 s[0:1], 8, v0
	s_waitcnt vmcnt(0)
	ds_write_b128 v9, v[2:5]
	s_waitcnt lgkmcnt(0)
	; wave barrier
	s_waitcnt lgkmcnt(0)
	s_and_saveexec_b64 s[4:5], s[0:1]
	s_cbranch_execz .LBB125_733
; %bb.720:
	ds_read_b128 v[2:5], v9
	s_andn2_b64 vcc, exec, s[6:7]
	s_cbranch_vccnz .LBB125_722
; %bb.721:
	scratch_load_dwordx4 v[196:199], v8, off
	s_waitcnt vmcnt(0) lgkmcnt(0)
	v_mul_f64 v[26:27], v[2:3], v[198:199]
	v_mul_f64 v[6:7], v[4:5], v[198:199]
	v_fmac_f64_e32 v[26:27], v[4:5], v[196:197]
	v_fma_f64 v[2:3], v[2:3], v[196:197], -v[6:7]
	v_mov_b64_e32 v[4:5], v[26:27]
.LBB125_722:
	s_and_saveexec_b64 s[8:9], s[2:3]
	s_cbranch_execz .LBB125_732
; %bb.723:
	v_add_u32_e32 v7, -10, v0
	v_add_u32_e32 v6, -9, v0
	v_cmp_lt_u32_e32 vcc, 6, v7
	v_mov_b32_e32 v196, 9
	s_and_saveexec_b64 s[2:3], vcc
	s_cbranch_execz .LBB125_727
; %bb.724:
	v_and_b32_e32 v7, -8, v6
	s_mov_b32 s12, 0
	s_mov_b64 s[10:11], 0
	v_mov_b32_e32 v195, 0
	s_mov_b32 s13, 0
.LBB125_725:                            ; =>This Inner Loop Header: Depth=1
	v_readfirstlane_b32 s14, v195
	s_add_i32 s14, s14, s12
	s_add_i32 s15, s14, 0x90
	v_mov_b32_e32 v13, s12
	ds_read_b128 v[196:199], v13 offset:1136
	ds_read_b128 v[200:203], v13 offset:1152
	;; [unrolled: 1-line block ×4, first 2 shown]
	scratch_load_dwordx4 v[212:215], off, s15
	s_add_i32 s15, s14, 0xa0
	s_addk_i32 s12, 0x80
	s_waitcnt vmcnt(0) lgkmcnt(3)
	v_mul_f64 v[26:27], v[198:199], v[214:215]
	v_mul_f64 v[28:29], v[196:197], v[214:215]
	v_fma_f64 v[26:27], v[196:197], v[212:213], -v[26:27]
	v_fmac_f64_e32 v[28:29], v[198:199], v[212:213]
	v_add_f64 v[26:27], v[2:3], v[26:27]
	v_add_f64 v[28:29], v[4:5], v[28:29]
	scratch_load_dwordx4 v[2:5], off, s15
	s_add_i32 s15, s14, 0xb0
	s_waitcnt vmcnt(0) lgkmcnt(2)
	v_mul_f64 v[36:37], v[202:203], v[4:5]
	v_mul_f64 v[4:5], v[200:201], v[4:5]
	v_fmac_f64_e32 v[4:5], v[202:203], v[2:3]
	v_fma_f64 v[36:37], v[200:201], v[2:3], -v[36:37]
	v_add_f64 v[28:29], v[28:29], v[4:5]
	scratch_load_dwordx4 v[2:5], off, s15
	v_add_f64 v[26:27], v[26:27], v[36:37]
	s_add_i32 s15, s14, 0xc0
	s_waitcnt vmcnt(0) lgkmcnt(1)
	v_mul_f64 v[36:37], v[206:207], v[4:5]
	v_mul_f64 v[4:5], v[204:205], v[4:5]
	v_fmac_f64_e32 v[4:5], v[206:207], v[2:3]
	v_fma_f64 v[36:37], v[204:205], v[2:3], -v[36:37]
	v_add_f64 v[28:29], v[28:29], v[4:5]
	scratch_load_dwordx4 v[2:5], off, s15
	s_add_i32 s15, s14, 0xd0
	scratch_load_dwordx4 v[196:199], off, s15
	v_add_f64 v[26:27], v[26:27], v[36:37]
	s_add_i32 s15, s14, 0xe0
	s_waitcnt vmcnt(1) lgkmcnt(0)
	v_mul_f64 v[36:37], v[210:211], v[4:5]
	v_mul_f64 v[4:5], v[208:209], v[4:5]
	v_fmac_f64_e32 v[4:5], v[210:211], v[2:3]
	v_fma_f64 v[36:37], v[208:209], v[2:3], -v[36:37]
	v_add_f64 v[28:29], v[28:29], v[4:5]
	ds_read_b128 v[2:5], v13 offset:1200
	v_add_f64 v[26:27], v[26:27], v[36:37]
	s_waitcnt vmcnt(0) lgkmcnt(0)
	v_mul_f64 v[36:37], v[4:5], v[198:199]
	v_fma_f64 v[36:37], v[2:3], v[196:197], -v[36:37]
	v_mul_f64 v[2:3], v[2:3], v[198:199]
	v_fmac_f64_e32 v[2:3], v[4:5], v[196:197]
	scratch_load_dwordx4 v[196:199], off, s15
	v_add_f64 v[28:29], v[28:29], v[2:3]
	ds_read_b128 v[2:5], v13 offset:1216
	v_add_f64 v[26:27], v[26:27], v[36:37]
	s_add_i32 s15, s14, 0xf0
	s_addk_i32 s14, 0x100
	s_waitcnt vmcnt(0) lgkmcnt(0)
	v_mul_f64 v[36:37], v[4:5], v[198:199]
	v_fma_f64 v[36:37], v[2:3], v[196:197], -v[36:37]
	v_mul_f64 v[2:3], v[2:3], v[198:199]
	v_fmac_f64_e32 v[2:3], v[4:5], v[196:197]
	scratch_load_dwordx4 v[196:199], off, s15
	v_add_f64 v[28:29], v[28:29], v[2:3]
	ds_read_b128 v[2:5], v13 offset:1232
	v_add_f64 v[26:27], v[26:27], v[36:37]
	s_waitcnt vmcnt(0) lgkmcnt(0)
	v_mul_f64 v[36:37], v[4:5], v[198:199]
	v_fma_f64 v[36:37], v[2:3], v[196:197], -v[36:37]
	v_mul_f64 v[2:3], v[2:3], v[198:199]
	v_fmac_f64_e32 v[2:3], v[4:5], v[196:197]
	scratch_load_dwordx4 v[196:199], off, s14
	v_add_f64 v[28:29], v[28:29], v[2:3]
	ds_read_b128 v[2:5], v13 offset:1248
	v_add_f64 v[26:27], v[26:27], v[36:37]
	s_add_i32 s14, s13, 8
	v_cmp_eq_u32_e32 vcc, s14, v7
	s_add_i32 s13, s13, 17
	s_or_b64 s[10:11], vcc, s[10:11]
	s_waitcnt vmcnt(0) lgkmcnt(0)
	v_mul_f64 v[36:37], v[4:5], v[198:199]
	v_mul_f64 v[138:139], v[2:3], v[198:199]
	v_fma_f64 v[36:37], v[2:3], v[196:197], -v[36:37]
	v_fmac_f64_e32 v[138:139], v[4:5], v[196:197]
	v_add_f64 v[2:3], v[26:27], v[36:37]
	v_add_f64 v[4:5], v[28:29], v[138:139]
	v_mov_b32_e32 v196, s13
	s_mov_b32 s13, s14
	s_andn2_b64 exec, exec, s[10:11]
	s_cbranch_execnz .LBB125_725
; %bb.726:
	s_or_b64 exec, exec, s[10:11]
.LBB125_727:
	s_or_b64 exec, exec, s[2:3]
	v_and_b32_e32 v6, 7, v6
	v_cmp_ne_u32_e32 vcc, 0, v6
	s_and_saveexec_b64 s[2:3], vcc
	s_cbranch_execz .LBB125_731
; %bb.728:
	v_lshlrev_b32_e32 v13, 4, v196
	v_add_u32_e32 v7, 0x3e0, v13
	v_add_u32_e32 v195, 0, v13
	s_mov_b64 s[10:11], 0
.LBB125_729:                            ; =>This Inner Loop Header: Depth=1
	scratch_load_dwordx4 v[196:199], v195, off
	ds_read_b128 v[200:203], v7
	v_add_u32_e32 v6, -1, v6
	v_cmp_eq_u32_e32 vcc, 0, v6
	v_add_u32_e32 v7, 16, v7
	v_add_u32_e32 v195, 16, v195
	s_or_b64 s[10:11], vcc, s[10:11]
	s_waitcnt vmcnt(0) lgkmcnt(0)
	v_mul_f64 v[26:27], v[202:203], v[198:199]
	v_mul_f64 v[28:29], v[200:201], v[198:199]
	v_fma_f64 v[26:27], v[200:201], v[196:197], -v[26:27]
	v_fmac_f64_e32 v[28:29], v[202:203], v[196:197]
	v_add_f64 v[2:3], v[2:3], v[26:27]
	v_add_f64 v[4:5], v[4:5], v[28:29]
	s_andn2_b64 exec, exec, s[10:11]
	s_cbranch_execnz .LBB125_729
; %bb.730:
	s_or_b64 exec, exec, s[10:11]
.LBB125_731:
	s_or_b64 exec, exec, s[2:3]
.LBB125_732:
	s_or_b64 exec, exec, s[8:9]
	v_mov_b32_e32 v6, 0
	ds_read_b128 v[196:199], v6 offset:128
	s_waitcnt lgkmcnt(0)
	v_mul_f64 v[6:7], v[4:5], v[198:199]
	v_mul_f64 v[200:201], v[2:3], v[198:199]
	v_fma_f64 v[198:199], v[2:3], v[196:197], -v[6:7]
	v_fmac_f64_e32 v[200:201], v[4:5], v[196:197]
	scratch_store_dwordx4 off, v[198:201], off offset:128
.LBB125_733:
	s_or_b64 exec, exec, s[4:5]
	scratch_load_dwordx4 v[2:5], v188, off
	v_cmp_lt_u32_e64 s[2:3], 7, v0
	s_waitcnt vmcnt(0)
	ds_write_b128 v9, v[2:5]
	s_waitcnt lgkmcnt(0)
	; wave barrier
	s_waitcnt lgkmcnt(0)
	s_and_saveexec_b64 s[4:5], s[2:3]
	s_cbranch_execz .LBB125_747
; %bb.734:
	ds_read_b128 v[2:5], v9
	s_andn2_b64 vcc, exec, s[6:7]
	s_cbranch_vccnz .LBB125_736
; %bb.735:
	scratch_load_dwordx4 v[196:199], v8, off
	s_waitcnt vmcnt(0) lgkmcnt(0)
	v_mul_f64 v[26:27], v[2:3], v[198:199]
	v_mul_f64 v[6:7], v[4:5], v[198:199]
	v_fmac_f64_e32 v[26:27], v[4:5], v[196:197]
	v_fma_f64 v[2:3], v[2:3], v[196:197], -v[6:7]
	v_mov_b64_e32 v[4:5], v[26:27]
.LBB125_736:
	s_and_saveexec_b64 s[8:9], s[0:1]
	s_cbranch_execz .LBB125_746
; %bb.737:
	v_add_u32_e32 v6, -9, v0
	v_cmp_lt_u32_e32 vcc, 6, v6
	v_mov_b32_e32 v6, 8
	s_and_saveexec_b64 s[0:1], vcc
	s_cbranch_execz .LBB125_741
; %bb.738:
	v_and_b32_e32 v6, 56, v0
	s_mov_b32 s12, 8
	s_mov_b32 s13, 0
	s_mov_b64 s[10:11], 0
	v_mov_b32_e32 v7, 0
.LBB125_739:                            ; =>This Inner Loop Header: Depth=1
	s_nop 0
	v_readfirstlane_b32 s14, v7
	s_add_i32 s14, s14, s13
	s_add_i32 s15, s14, 0x80
	v_mov_b32_e32 v13, s13
	ds_read_b128 v[196:199], v13 offset:1120
	ds_read_b128 v[200:203], v13 offset:1136
	ds_read_b128 v[204:207], v13 offset:1152
	ds_read_b128 v[208:211], v13 offset:1168
	scratch_load_dwordx4 v[212:215], off, s15
	s_add_i32 s15, s14, 0x90
	s_add_i32 s12, s12, 8
	s_addk_i32 s13, 0x80
	v_cmp_eq_u32_e32 vcc, s12, v6
	s_waitcnt vmcnt(0) lgkmcnt(3)
	v_mul_f64 v[26:27], v[198:199], v[214:215]
	v_mul_f64 v[28:29], v[196:197], v[214:215]
	v_fma_f64 v[26:27], v[196:197], v[212:213], -v[26:27]
	v_fmac_f64_e32 v[28:29], v[198:199], v[212:213]
	v_add_f64 v[26:27], v[2:3], v[26:27]
	v_add_f64 v[28:29], v[4:5], v[28:29]
	scratch_load_dwordx4 v[2:5], off, s15
	s_add_i32 s15, s14, 0xa0
	s_waitcnt vmcnt(0) lgkmcnt(2)
	v_mul_f64 v[36:37], v[202:203], v[4:5]
	v_mul_f64 v[4:5], v[200:201], v[4:5]
	v_fmac_f64_e32 v[4:5], v[202:203], v[2:3]
	v_fma_f64 v[36:37], v[200:201], v[2:3], -v[36:37]
	v_add_f64 v[28:29], v[28:29], v[4:5]
	scratch_load_dwordx4 v[2:5], off, s15
	v_add_f64 v[26:27], v[26:27], v[36:37]
	s_add_i32 s15, s14, 0xb0
	s_waitcnt vmcnt(0) lgkmcnt(1)
	v_mul_f64 v[36:37], v[206:207], v[4:5]
	v_mul_f64 v[4:5], v[204:205], v[4:5]
	v_fmac_f64_e32 v[4:5], v[206:207], v[2:3]
	v_fma_f64 v[36:37], v[204:205], v[2:3], -v[36:37]
	v_add_f64 v[28:29], v[28:29], v[4:5]
	scratch_load_dwordx4 v[2:5], off, s15
	s_add_i32 s15, s14, 0xc0
	scratch_load_dwordx4 v[196:199], off, s15
	v_add_f64 v[26:27], v[26:27], v[36:37]
	s_add_i32 s15, s14, 0xd0
	s_waitcnt vmcnt(1) lgkmcnt(0)
	v_mul_f64 v[36:37], v[210:211], v[4:5]
	v_mul_f64 v[4:5], v[208:209], v[4:5]
	v_fmac_f64_e32 v[4:5], v[210:211], v[2:3]
	v_fma_f64 v[36:37], v[208:209], v[2:3], -v[36:37]
	v_add_f64 v[28:29], v[28:29], v[4:5]
	ds_read_b128 v[2:5], v13 offset:1184
	v_add_f64 v[26:27], v[26:27], v[36:37]
	s_waitcnt vmcnt(0) lgkmcnt(0)
	v_mul_f64 v[36:37], v[4:5], v[198:199]
	v_fma_f64 v[36:37], v[2:3], v[196:197], -v[36:37]
	v_mul_f64 v[2:3], v[2:3], v[198:199]
	v_fmac_f64_e32 v[2:3], v[4:5], v[196:197]
	scratch_load_dwordx4 v[196:199], off, s15
	v_add_f64 v[28:29], v[28:29], v[2:3]
	ds_read_b128 v[2:5], v13 offset:1200
	v_add_f64 v[26:27], v[26:27], v[36:37]
	s_add_i32 s15, s14, 0xe0
	s_addk_i32 s14, 0xf0
	s_or_b64 s[10:11], vcc, s[10:11]
	s_waitcnt vmcnt(0) lgkmcnt(0)
	v_mul_f64 v[36:37], v[4:5], v[198:199]
	v_fma_f64 v[36:37], v[2:3], v[196:197], -v[36:37]
	v_mul_f64 v[2:3], v[2:3], v[198:199]
	v_fmac_f64_e32 v[2:3], v[4:5], v[196:197]
	scratch_load_dwordx4 v[196:199], off, s15
	v_add_f64 v[28:29], v[28:29], v[2:3]
	ds_read_b128 v[2:5], v13 offset:1216
	v_add_f64 v[26:27], v[26:27], v[36:37]
	s_waitcnt vmcnt(0) lgkmcnt(0)
	v_mul_f64 v[36:37], v[4:5], v[198:199]
	v_fma_f64 v[36:37], v[2:3], v[196:197], -v[36:37]
	v_mul_f64 v[2:3], v[2:3], v[198:199]
	v_fmac_f64_e32 v[2:3], v[4:5], v[196:197]
	scratch_load_dwordx4 v[196:199], off, s14
	v_add_f64 v[28:29], v[28:29], v[2:3]
	ds_read_b128 v[2:5], v13 offset:1232
	v_add_f64 v[26:27], v[26:27], v[36:37]
	s_waitcnt vmcnt(0) lgkmcnt(0)
	v_mul_f64 v[36:37], v[4:5], v[198:199]
	v_mul_f64 v[138:139], v[2:3], v[198:199]
	v_fma_f64 v[36:37], v[2:3], v[196:197], -v[36:37]
	v_fmac_f64_e32 v[138:139], v[4:5], v[196:197]
	v_add_f64 v[2:3], v[26:27], v[36:37]
	v_add_f64 v[4:5], v[28:29], v[138:139]
	s_andn2_b64 exec, exec, s[10:11]
	s_cbranch_execnz .LBB125_739
; %bb.740:
	s_or_b64 exec, exec, s[10:11]
.LBB125_741:
	s_or_b64 exec, exec, s[0:1]
	v_and_b32_e32 v7, 7, v0
	v_cmp_ne_u32_e32 vcc, 0, v7
	s_and_saveexec_b64 s[0:1], vcc
	s_cbranch_execz .LBB125_745
; %bb.742:
	v_lshlrev_b32_e32 v13, 4, v6
	v_add_u32_e32 v6, 0x3e0, v13
	v_add_u32_e32 v195, 0, v13
	s_mov_b64 s[10:11], 0
.LBB125_743:                            ; =>This Inner Loop Header: Depth=1
	scratch_load_dwordx4 v[196:199], v195, off
	ds_read_b128 v[200:203], v6
	v_add_u32_e32 v7, -1, v7
	v_cmp_eq_u32_e32 vcc, 0, v7
	v_add_u32_e32 v6, 16, v6
	v_add_u32_e32 v195, 16, v195
	s_or_b64 s[10:11], vcc, s[10:11]
	s_waitcnt vmcnt(0) lgkmcnt(0)
	v_mul_f64 v[26:27], v[202:203], v[198:199]
	v_mul_f64 v[28:29], v[200:201], v[198:199]
	v_fma_f64 v[26:27], v[200:201], v[196:197], -v[26:27]
	v_fmac_f64_e32 v[28:29], v[202:203], v[196:197]
	v_add_f64 v[2:3], v[2:3], v[26:27]
	v_add_f64 v[4:5], v[4:5], v[28:29]
	s_andn2_b64 exec, exec, s[10:11]
	s_cbranch_execnz .LBB125_743
; %bb.744:
	s_or_b64 exec, exec, s[10:11]
.LBB125_745:
	s_or_b64 exec, exec, s[0:1]
.LBB125_746:
	s_or_b64 exec, exec, s[8:9]
	v_mov_b32_e32 v6, 0
	ds_read_b128 v[196:199], v6 offset:112
	s_waitcnt lgkmcnt(0)
	v_mul_f64 v[6:7], v[4:5], v[198:199]
	v_mul_f64 v[200:201], v[2:3], v[198:199]
	v_fma_f64 v[198:199], v[2:3], v[196:197], -v[6:7]
	v_fmac_f64_e32 v[200:201], v[4:5], v[196:197]
	scratch_store_dwordx4 off, v[198:201], off offset:112
.LBB125_747:
	s_or_b64 exec, exec, s[4:5]
	scratch_load_dwordx4 v[2:5], v189, off
	v_cmp_lt_u32_e64 s[0:1], 6, v0
	s_waitcnt vmcnt(0)
	ds_write_b128 v9, v[2:5]
	s_waitcnt lgkmcnt(0)
	; wave barrier
	s_waitcnt lgkmcnt(0)
	s_and_saveexec_b64 s[4:5], s[0:1]
	s_cbranch_execz .LBB125_761
; %bb.748:
	ds_read_b128 v[2:5], v9
	s_andn2_b64 vcc, exec, s[6:7]
	s_cbranch_vccnz .LBB125_750
; %bb.749:
	scratch_load_dwordx4 v[196:199], v8, off
	s_waitcnt vmcnt(0) lgkmcnt(0)
	v_mul_f64 v[26:27], v[2:3], v[198:199]
	v_mul_f64 v[6:7], v[4:5], v[198:199]
	v_fmac_f64_e32 v[26:27], v[4:5], v[196:197]
	v_fma_f64 v[2:3], v[2:3], v[196:197], -v[6:7]
	v_mov_b64_e32 v[4:5], v[26:27]
.LBB125_750:
	s_and_saveexec_b64 s[8:9], s[2:3]
	s_cbranch_execz .LBB125_760
; %bb.751:
	v_add_u32_e32 v7, -8, v0
	v_add_u32_e32 v6, -7, v0
	v_cmp_lt_u32_e32 vcc, 6, v7
	v_mov_b32_e32 v196, 7
	s_and_saveexec_b64 s[2:3], vcc
	s_cbranch_execz .LBB125_755
; %bb.752:
	v_and_b32_e32 v7, -8, v6
	s_mov_b32 s12, 0
	s_mov_b64 s[10:11], 0
	v_mov_b32_e32 v195, 0
	s_mov_b32 s13, 0
.LBB125_753:                            ; =>This Inner Loop Header: Depth=1
	v_readfirstlane_b32 s14, v195
	s_add_i32 s14, s14, s12
	s_add_i32 s15, s14, 0x70
	v_mov_b32_e32 v13, s12
	ds_read_b128 v[196:199], v13 offset:1104
	ds_read_b128 v[200:203], v13 offset:1120
	;; [unrolled: 1-line block ×4, first 2 shown]
	scratch_load_dwordx4 v[212:215], off, s15
	s_add_i32 s15, s14, 0x80
	s_addk_i32 s12, 0x80
	s_waitcnt vmcnt(0) lgkmcnt(3)
	v_mul_f64 v[26:27], v[198:199], v[214:215]
	v_mul_f64 v[28:29], v[196:197], v[214:215]
	v_fma_f64 v[26:27], v[196:197], v[212:213], -v[26:27]
	v_fmac_f64_e32 v[28:29], v[198:199], v[212:213]
	v_add_f64 v[26:27], v[2:3], v[26:27]
	v_add_f64 v[28:29], v[4:5], v[28:29]
	scratch_load_dwordx4 v[2:5], off, s15
	s_add_i32 s15, s14, 0x90
	s_waitcnt vmcnt(0) lgkmcnt(2)
	v_mul_f64 v[36:37], v[202:203], v[4:5]
	v_mul_f64 v[4:5], v[200:201], v[4:5]
	v_fmac_f64_e32 v[4:5], v[202:203], v[2:3]
	v_fma_f64 v[36:37], v[200:201], v[2:3], -v[36:37]
	v_add_f64 v[28:29], v[28:29], v[4:5]
	scratch_load_dwordx4 v[2:5], off, s15
	v_add_f64 v[26:27], v[26:27], v[36:37]
	s_add_i32 s15, s14, 0xa0
	s_waitcnt vmcnt(0) lgkmcnt(1)
	v_mul_f64 v[36:37], v[206:207], v[4:5]
	v_mul_f64 v[4:5], v[204:205], v[4:5]
	v_fmac_f64_e32 v[4:5], v[206:207], v[2:3]
	v_fma_f64 v[36:37], v[204:205], v[2:3], -v[36:37]
	v_add_f64 v[28:29], v[28:29], v[4:5]
	scratch_load_dwordx4 v[2:5], off, s15
	s_add_i32 s15, s14, 0xb0
	scratch_load_dwordx4 v[196:199], off, s15
	v_add_f64 v[26:27], v[26:27], v[36:37]
	s_add_i32 s15, s14, 0xc0
	s_waitcnt vmcnt(1) lgkmcnt(0)
	v_mul_f64 v[36:37], v[210:211], v[4:5]
	v_mul_f64 v[4:5], v[208:209], v[4:5]
	v_fmac_f64_e32 v[4:5], v[210:211], v[2:3]
	v_fma_f64 v[36:37], v[208:209], v[2:3], -v[36:37]
	v_add_f64 v[28:29], v[28:29], v[4:5]
	ds_read_b128 v[2:5], v13 offset:1168
	v_add_f64 v[26:27], v[26:27], v[36:37]
	s_waitcnt vmcnt(0) lgkmcnt(0)
	v_mul_f64 v[36:37], v[4:5], v[198:199]
	v_fma_f64 v[36:37], v[2:3], v[196:197], -v[36:37]
	v_mul_f64 v[2:3], v[2:3], v[198:199]
	v_fmac_f64_e32 v[2:3], v[4:5], v[196:197]
	scratch_load_dwordx4 v[196:199], off, s15
	v_add_f64 v[28:29], v[28:29], v[2:3]
	ds_read_b128 v[2:5], v13 offset:1184
	v_add_f64 v[26:27], v[26:27], v[36:37]
	s_add_i32 s15, s14, 0xd0
	s_addk_i32 s14, 0xe0
	s_waitcnt vmcnt(0) lgkmcnt(0)
	v_mul_f64 v[36:37], v[4:5], v[198:199]
	v_fma_f64 v[36:37], v[2:3], v[196:197], -v[36:37]
	v_mul_f64 v[2:3], v[2:3], v[198:199]
	v_fmac_f64_e32 v[2:3], v[4:5], v[196:197]
	scratch_load_dwordx4 v[196:199], off, s15
	v_add_f64 v[28:29], v[28:29], v[2:3]
	ds_read_b128 v[2:5], v13 offset:1200
	v_add_f64 v[26:27], v[26:27], v[36:37]
	s_waitcnt vmcnt(0) lgkmcnt(0)
	v_mul_f64 v[36:37], v[4:5], v[198:199]
	v_fma_f64 v[36:37], v[2:3], v[196:197], -v[36:37]
	v_mul_f64 v[2:3], v[2:3], v[198:199]
	v_fmac_f64_e32 v[2:3], v[4:5], v[196:197]
	scratch_load_dwordx4 v[196:199], off, s14
	v_add_f64 v[28:29], v[28:29], v[2:3]
	ds_read_b128 v[2:5], v13 offset:1216
	v_add_f64 v[26:27], v[26:27], v[36:37]
	s_add_i32 s14, s13, 8
	v_cmp_eq_u32_e32 vcc, s14, v7
	s_add_i32 s13, s13, 15
	s_or_b64 s[10:11], vcc, s[10:11]
	s_waitcnt vmcnt(0) lgkmcnt(0)
	v_mul_f64 v[36:37], v[4:5], v[198:199]
	v_mul_f64 v[138:139], v[2:3], v[198:199]
	v_fma_f64 v[36:37], v[2:3], v[196:197], -v[36:37]
	v_fmac_f64_e32 v[138:139], v[4:5], v[196:197]
	v_add_f64 v[2:3], v[26:27], v[36:37]
	v_add_f64 v[4:5], v[28:29], v[138:139]
	v_mov_b32_e32 v196, s13
	s_mov_b32 s13, s14
	s_andn2_b64 exec, exec, s[10:11]
	s_cbranch_execnz .LBB125_753
; %bb.754:
	s_or_b64 exec, exec, s[10:11]
.LBB125_755:
	s_or_b64 exec, exec, s[2:3]
	v_and_b32_e32 v6, 7, v6
	v_cmp_ne_u32_e32 vcc, 0, v6
	s_and_saveexec_b64 s[2:3], vcc
	s_cbranch_execz .LBB125_759
; %bb.756:
	v_lshlrev_b32_e32 v13, 4, v196
	v_add_u32_e32 v7, 0x3e0, v13
	v_add_u32_e32 v195, 0, v13
	s_mov_b64 s[10:11], 0
.LBB125_757:                            ; =>This Inner Loop Header: Depth=1
	scratch_load_dwordx4 v[196:199], v195, off
	ds_read_b128 v[200:203], v7
	v_add_u32_e32 v6, -1, v6
	v_cmp_eq_u32_e32 vcc, 0, v6
	v_add_u32_e32 v7, 16, v7
	v_add_u32_e32 v195, 16, v195
	s_or_b64 s[10:11], vcc, s[10:11]
	s_waitcnt vmcnt(0) lgkmcnt(0)
	v_mul_f64 v[26:27], v[202:203], v[198:199]
	v_mul_f64 v[28:29], v[200:201], v[198:199]
	v_fma_f64 v[26:27], v[200:201], v[196:197], -v[26:27]
	v_fmac_f64_e32 v[28:29], v[202:203], v[196:197]
	v_add_f64 v[2:3], v[2:3], v[26:27]
	v_add_f64 v[4:5], v[4:5], v[28:29]
	s_andn2_b64 exec, exec, s[10:11]
	s_cbranch_execnz .LBB125_757
; %bb.758:
	s_or_b64 exec, exec, s[10:11]
.LBB125_759:
	s_or_b64 exec, exec, s[2:3]
.LBB125_760:
	s_or_b64 exec, exec, s[8:9]
	v_mov_b32_e32 v6, 0
	ds_read_b128 v[196:199], v6 offset:96
	s_waitcnt lgkmcnt(0)
	v_mul_f64 v[6:7], v[4:5], v[198:199]
	v_mul_f64 v[200:201], v[2:3], v[198:199]
	v_fma_f64 v[198:199], v[2:3], v[196:197], -v[6:7]
	v_fmac_f64_e32 v[200:201], v[4:5], v[196:197]
	scratch_store_dwordx4 off, v[198:201], off offset:96
.LBB125_761:
	s_or_b64 exec, exec, s[4:5]
	scratch_load_dwordx4 v[2:5], v190, off
	v_cmp_lt_u32_e64 s[2:3], 5, v0
	s_waitcnt vmcnt(0)
	ds_write_b128 v9, v[2:5]
	s_waitcnt lgkmcnt(0)
	; wave barrier
	s_waitcnt lgkmcnt(0)
	s_and_saveexec_b64 s[4:5], s[2:3]
	s_cbranch_execz .LBB125_775
; %bb.762:
	ds_read_b128 v[2:5], v9
	s_andn2_b64 vcc, exec, s[6:7]
	s_cbranch_vccnz .LBB125_764
; %bb.763:
	scratch_load_dwordx4 v[196:199], v8, off
	s_waitcnt vmcnt(0) lgkmcnt(0)
	v_mul_f64 v[26:27], v[2:3], v[198:199]
	v_mul_f64 v[6:7], v[4:5], v[198:199]
	v_fmac_f64_e32 v[26:27], v[4:5], v[196:197]
	v_fma_f64 v[2:3], v[2:3], v[196:197], -v[6:7]
	v_mov_b64_e32 v[4:5], v[26:27]
.LBB125_764:
	s_and_saveexec_b64 s[8:9], s[0:1]
	s_cbranch_execz .LBB125_774
; %bb.765:
	v_add_u32_e32 v7, -7, v0
	v_add_u32_e32 v6, -6, v0
	v_cmp_lt_u32_e32 vcc, 6, v7
	v_mov_b32_e32 v196, 6
	s_and_saveexec_b64 s[0:1], vcc
	s_cbranch_execz .LBB125_769
; %bb.766:
	v_and_b32_e32 v7, -8, v6
	s_mov_b32 s12, 0
	s_mov_b64 s[10:11], 0
	v_mov_b32_e32 v195, 0
	s_mov_b32 s13, 0
.LBB125_767:                            ; =>This Inner Loop Header: Depth=1
	v_readfirstlane_b32 s14, v195
	s_add_i32 s14, s14, s12
	s_add_i32 s15, s14, 0x60
	v_mov_b32_e32 v13, s12
	ds_read_b128 v[196:199], v13 offset:1088
	ds_read_b128 v[200:203], v13 offset:1104
	;; [unrolled: 1-line block ×4, first 2 shown]
	scratch_load_dwordx4 v[212:215], off, s15
	s_add_i32 s15, s14, 0x70
	s_addk_i32 s12, 0x80
	s_waitcnt vmcnt(0) lgkmcnt(3)
	v_mul_f64 v[26:27], v[198:199], v[214:215]
	v_mul_f64 v[28:29], v[196:197], v[214:215]
	v_fma_f64 v[26:27], v[196:197], v[212:213], -v[26:27]
	v_fmac_f64_e32 v[28:29], v[198:199], v[212:213]
	v_add_f64 v[26:27], v[2:3], v[26:27]
	v_add_f64 v[28:29], v[4:5], v[28:29]
	scratch_load_dwordx4 v[2:5], off, s15
	s_add_i32 s15, s14, 0x80
	s_waitcnt vmcnt(0) lgkmcnt(2)
	v_mul_f64 v[36:37], v[202:203], v[4:5]
	v_mul_f64 v[4:5], v[200:201], v[4:5]
	v_fmac_f64_e32 v[4:5], v[202:203], v[2:3]
	v_fma_f64 v[36:37], v[200:201], v[2:3], -v[36:37]
	v_add_f64 v[28:29], v[28:29], v[4:5]
	scratch_load_dwordx4 v[2:5], off, s15
	v_add_f64 v[26:27], v[26:27], v[36:37]
	s_add_i32 s15, s14, 0x90
	s_waitcnt vmcnt(0) lgkmcnt(1)
	v_mul_f64 v[36:37], v[206:207], v[4:5]
	v_mul_f64 v[4:5], v[204:205], v[4:5]
	v_fmac_f64_e32 v[4:5], v[206:207], v[2:3]
	v_fma_f64 v[36:37], v[204:205], v[2:3], -v[36:37]
	v_add_f64 v[28:29], v[28:29], v[4:5]
	scratch_load_dwordx4 v[2:5], off, s15
	s_add_i32 s15, s14, 0xa0
	scratch_load_dwordx4 v[196:199], off, s15
	v_add_f64 v[26:27], v[26:27], v[36:37]
	s_add_i32 s15, s14, 0xb0
	s_waitcnt vmcnt(1) lgkmcnt(0)
	v_mul_f64 v[36:37], v[210:211], v[4:5]
	v_mul_f64 v[4:5], v[208:209], v[4:5]
	v_fmac_f64_e32 v[4:5], v[210:211], v[2:3]
	v_fma_f64 v[36:37], v[208:209], v[2:3], -v[36:37]
	v_add_f64 v[28:29], v[28:29], v[4:5]
	ds_read_b128 v[2:5], v13 offset:1152
	v_add_f64 v[26:27], v[26:27], v[36:37]
	s_waitcnt vmcnt(0) lgkmcnt(0)
	v_mul_f64 v[36:37], v[4:5], v[198:199]
	v_fma_f64 v[36:37], v[2:3], v[196:197], -v[36:37]
	v_mul_f64 v[2:3], v[2:3], v[198:199]
	v_fmac_f64_e32 v[2:3], v[4:5], v[196:197]
	scratch_load_dwordx4 v[196:199], off, s15
	v_add_f64 v[28:29], v[28:29], v[2:3]
	ds_read_b128 v[2:5], v13 offset:1168
	v_add_f64 v[26:27], v[26:27], v[36:37]
	s_add_i32 s15, s14, 0xc0
	s_addk_i32 s14, 0xd0
	s_waitcnt vmcnt(0) lgkmcnt(0)
	v_mul_f64 v[36:37], v[4:5], v[198:199]
	v_fma_f64 v[36:37], v[2:3], v[196:197], -v[36:37]
	v_mul_f64 v[2:3], v[2:3], v[198:199]
	v_fmac_f64_e32 v[2:3], v[4:5], v[196:197]
	scratch_load_dwordx4 v[196:199], off, s15
	v_add_f64 v[28:29], v[28:29], v[2:3]
	ds_read_b128 v[2:5], v13 offset:1184
	v_add_f64 v[26:27], v[26:27], v[36:37]
	s_waitcnt vmcnt(0) lgkmcnt(0)
	v_mul_f64 v[36:37], v[4:5], v[198:199]
	v_fma_f64 v[36:37], v[2:3], v[196:197], -v[36:37]
	v_mul_f64 v[2:3], v[2:3], v[198:199]
	v_fmac_f64_e32 v[2:3], v[4:5], v[196:197]
	scratch_load_dwordx4 v[196:199], off, s14
	v_add_f64 v[28:29], v[28:29], v[2:3]
	ds_read_b128 v[2:5], v13 offset:1200
	v_add_f64 v[26:27], v[26:27], v[36:37]
	s_add_i32 s14, s13, 8
	v_cmp_eq_u32_e32 vcc, s14, v7
	s_add_i32 s13, s13, 14
	s_or_b64 s[10:11], vcc, s[10:11]
	s_waitcnt vmcnt(0) lgkmcnt(0)
	v_mul_f64 v[36:37], v[4:5], v[198:199]
	v_mul_f64 v[138:139], v[2:3], v[198:199]
	v_fma_f64 v[36:37], v[2:3], v[196:197], -v[36:37]
	v_fmac_f64_e32 v[138:139], v[4:5], v[196:197]
	v_add_f64 v[2:3], v[26:27], v[36:37]
	v_add_f64 v[4:5], v[28:29], v[138:139]
	v_mov_b32_e32 v196, s13
	s_mov_b32 s13, s14
	s_andn2_b64 exec, exec, s[10:11]
	s_cbranch_execnz .LBB125_767
; %bb.768:
	s_or_b64 exec, exec, s[10:11]
.LBB125_769:
	s_or_b64 exec, exec, s[0:1]
	v_and_b32_e32 v6, 7, v6
	v_cmp_ne_u32_e32 vcc, 0, v6
	s_and_saveexec_b64 s[0:1], vcc
	s_cbranch_execz .LBB125_773
; %bb.770:
	v_lshlrev_b32_e32 v13, 4, v196
	v_add_u32_e32 v7, 0x3e0, v13
	v_add_u32_e32 v195, 0, v13
	s_mov_b64 s[10:11], 0
.LBB125_771:                            ; =>This Inner Loop Header: Depth=1
	scratch_load_dwordx4 v[196:199], v195, off
	ds_read_b128 v[200:203], v7
	v_add_u32_e32 v6, -1, v6
	v_cmp_eq_u32_e32 vcc, 0, v6
	v_add_u32_e32 v7, 16, v7
	v_add_u32_e32 v195, 16, v195
	s_or_b64 s[10:11], vcc, s[10:11]
	s_waitcnt vmcnt(0) lgkmcnt(0)
	v_mul_f64 v[26:27], v[202:203], v[198:199]
	v_mul_f64 v[28:29], v[200:201], v[198:199]
	v_fma_f64 v[26:27], v[200:201], v[196:197], -v[26:27]
	v_fmac_f64_e32 v[28:29], v[202:203], v[196:197]
	v_add_f64 v[2:3], v[2:3], v[26:27]
	v_add_f64 v[4:5], v[4:5], v[28:29]
	s_andn2_b64 exec, exec, s[10:11]
	s_cbranch_execnz .LBB125_771
; %bb.772:
	s_or_b64 exec, exec, s[10:11]
.LBB125_773:
	s_or_b64 exec, exec, s[0:1]
.LBB125_774:
	s_or_b64 exec, exec, s[8:9]
	v_mov_b32_e32 v6, 0
	ds_read_b128 v[196:199], v6 offset:80
	s_waitcnt lgkmcnt(0)
	v_mul_f64 v[6:7], v[4:5], v[198:199]
	v_mul_f64 v[200:201], v[2:3], v[198:199]
	v_fma_f64 v[198:199], v[2:3], v[196:197], -v[6:7]
	v_fmac_f64_e32 v[200:201], v[4:5], v[196:197]
	scratch_store_dwordx4 off, v[198:201], off offset:80
.LBB125_775:
	s_or_b64 exec, exec, s[4:5]
	scratch_load_dwordx4 v[2:5], v191, off
	v_cmp_lt_u32_e64 s[0:1], 4, v0
	s_waitcnt vmcnt(0)
	ds_write_b128 v9, v[2:5]
	s_waitcnt lgkmcnt(0)
	; wave barrier
	s_waitcnt lgkmcnt(0)
	s_and_saveexec_b64 s[4:5], s[0:1]
	s_cbranch_execz .LBB125_789
; %bb.776:
	ds_read_b128 v[2:5], v9
	s_andn2_b64 vcc, exec, s[6:7]
	s_cbranch_vccnz .LBB125_778
; %bb.777:
	scratch_load_dwordx4 v[196:199], v8, off
	s_waitcnt vmcnt(0) lgkmcnt(0)
	v_mul_f64 v[26:27], v[2:3], v[198:199]
	v_mul_f64 v[6:7], v[4:5], v[198:199]
	v_fmac_f64_e32 v[26:27], v[4:5], v[196:197]
	v_fma_f64 v[2:3], v[2:3], v[196:197], -v[6:7]
	v_mov_b64_e32 v[4:5], v[26:27]
.LBB125_778:
	s_and_saveexec_b64 s[8:9], s[2:3]
	s_cbranch_execz .LBB125_788
; %bb.779:
	v_add_u32_e32 v7, -6, v0
	v_add_u32_e32 v6, -5, v0
	v_cmp_lt_u32_e32 vcc, 6, v7
	v_mov_b32_e32 v196, 5
	s_and_saveexec_b64 s[2:3], vcc
	s_cbranch_execz .LBB125_783
; %bb.780:
	v_and_b32_e32 v7, -8, v6
	s_mov_b32 s12, 0
	s_mov_b64 s[10:11], 0
	v_mov_b32_e32 v195, 0
	s_mov_b32 s13, 0
.LBB125_781:                            ; =>This Inner Loop Header: Depth=1
	v_readfirstlane_b32 s14, v195
	s_add_i32 s14, s14, s12
	s_add_i32 s15, s14, 0x50
	v_mov_b32_e32 v13, s12
	ds_read_b128 v[196:199], v13 offset:1072
	ds_read_b128 v[200:203], v13 offset:1088
	;; [unrolled: 1-line block ×4, first 2 shown]
	scratch_load_dwordx4 v[212:215], off, s15
	s_add_i32 s15, s14, 0x60
	s_addk_i32 s12, 0x80
	s_waitcnt vmcnt(0) lgkmcnt(3)
	v_mul_f64 v[26:27], v[198:199], v[214:215]
	v_mul_f64 v[28:29], v[196:197], v[214:215]
	v_fma_f64 v[26:27], v[196:197], v[212:213], -v[26:27]
	v_fmac_f64_e32 v[28:29], v[198:199], v[212:213]
	v_add_f64 v[26:27], v[2:3], v[26:27]
	v_add_f64 v[28:29], v[4:5], v[28:29]
	scratch_load_dwordx4 v[2:5], off, s15
	s_add_i32 s15, s14, 0x70
	s_waitcnt vmcnt(0) lgkmcnt(2)
	v_mul_f64 v[36:37], v[202:203], v[4:5]
	v_mul_f64 v[4:5], v[200:201], v[4:5]
	v_fmac_f64_e32 v[4:5], v[202:203], v[2:3]
	v_fma_f64 v[36:37], v[200:201], v[2:3], -v[36:37]
	v_add_f64 v[28:29], v[28:29], v[4:5]
	scratch_load_dwordx4 v[2:5], off, s15
	v_add_f64 v[26:27], v[26:27], v[36:37]
	s_add_i32 s15, s14, 0x80
	s_waitcnt vmcnt(0) lgkmcnt(1)
	v_mul_f64 v[36:37], v[206:207], v[4:5]
	v_mul_f64 v[4:5], v[204:205], v[4:5]
	v_fmac_f64_e32 v[4:5], v[206:207], v[2:3]
	v_fma_f64 v[36:37], v[204:205], v[2:3], -v[36:37]
	v_add_f64 v[28:29], v[28:29], v[4:5]
	scratch_load_dwordx4 v[2:5], off, s15
	s_add_i32 s15, s14, 0x90
	scratch_load_dwordx4 v[196:199], off, s15
	v_add_f64 v[26:27], v[26:27], v[36:37]
	s_add_i32 s15, s14, 0xa0
	s_waitcnt vmcnt(1) lgkmcnt(0)
	v_mul_f64 v[36:37], v[210:211], v[4:5]
	v_mul_f64 v[4:5], v[208:209], v[4:5]
	v_fmac_f64_e32 v[4:5], v[210:211], v[2:3]
	v_fma_f64 v[36:37], v[208:209], v[2:3], -v[36:37]
	v_add_f64 v[28:29], v[28:29], v[4:5]
	ds_read_b128 v[2:5], v13 offset:1136
	v_add_f64 v[26:27], v[26:27], v[36:37]
	s_waitcnt vmcnt(0) lgkmcnt(0)
	v_mul_f64 v[36:37], v[4:5], v[198:199]
	v_fma_f64 v[36:37], v[2:3], v[196:197], -v[36:37]
	v_mul_f64 v[2:3], v[2:3], v[198:199]
	v_fmac_f64_e32 v[2:3], v[4:5], v[196:197]
	scratch_load_dwordx4 v[196:199], off, s15
	v_add_f64 v[28:29], v[28:29], v[2:3]
	ds_read_b128 v[2:5], v13 offset:1152
	v_add_f64 v[26:27], v[26:27], v[36:37]
	s_add_i32 s15, s14, 0xb0
	s_addk_i32 s14, 0xc0
	s_waitcnt vmcnt(0) lgkmcnt(0)
	v_mul_f64 v[36:37], v[4:5], v[198:199]
	v_fma_f64 v[36:37], v[2:3], v[196:197], -v[36:37]
	v_mul_f64 v[2:3], v[2:3], v[198:199]
	v_fmac_f64_e32 v[2:3], v[4:5], v[196:197]
	scratch_load_dwordx4 v[196:199], off, s15
	v_add_f64 v[28:29], v[28:29], v[2:3]
	ds_read_b128 v[2:5], v13 offset:1168
	v_add_f64 v[26:27], v[26:27], v[36:37]
	s_waitcnt vmcnt(0) lgkmcnt(0)
	v_mul_f64 v[36:37], v[4:5], v[198:199]
	v_fma_f64 v[36:37], v[2:3], v[196:197], -v[36:37]
	v_mul_f64 v[2:3], v[2:3], v[198:199]
	v_fmac_f64_e32 v[2:3], v[4:5], v[196:197]
	scratch_load_dwordx4 v[196:199], off, s14
	v_add_f64 v[28:29], v[28:29], v[2:3]
	ds_read_b128 v[2:5], v13 offset:1184
	v_add_f64 v[26:27], v[26:27], v[36:37]
	s_add_i32 s14, s13, 8
	v_cmp_eq_u32_e32 vcc, s14, v7
	s_add_i32 s13, s13, 13
	s_or_b64 s[10:11], vcc, s[10:11]
	s_waitcnt vmcnt(0) lgkmcnt(0)
	v_mul_f64 v[36:37], v[4:5], v[198:199]
	v_mul_f64 v[138:139], v[2:3], v[198:199]
	v_fma_f64 v[36:37], v[2:3], v[196:197], -v[36:37]
	v_fmac_f64_e32 v[138:139], v[4:5], v[196:197]
	v_add_f64 v[2:3], v[26:27], v[36:37]
	v_add_f64 v[4:5], v[28:29], v[138:139]
	v_mov_b32_e32 v196, s13
	s_mov_b32 s13, s14
	s_andn2_b64 exec, exec, s[10:11]
	s_cbranch_execnz .LBB125_781
; %bb.782:
	s_or_b64 exec, exec, s[10:11]
.LBB125_783:
	s_or_b64 exec, exec, s[2:3]
	v_and_b32_e32 v6, 7, v6
	v_cmp_ne_u32_e32 vcc, 0, v6
	s_and_saveexec_b64 s[2:3], vcc
	s_cbranch_execz .LBB125_787
; %bb.784:
	v_lshlrev_b32_e32 v13, 4, v196
	v_add_u32_e32 v7, 0x3e0, v13
	v_add_u32_e32 v195, 0, v13
	s_mov_b64 s[10:11], 0
.LBB125_785:                            ; =>This Inner Loop Header: Depth=1
	scratch_load_dwordx4 v[196:199], v195, off
	ds_read_b128 v[200:203], v7
	v_add_u32_e32 v6, -1, v6
	v_cmp_eq_u32_e32 vcc, 0, v6
	v_add_u32_e32 v7, 16, v7
	v_add_u32_e32 v195, 16, v195
	s_or_b64 s[10:11], vcc, s[10:11]
	s_waitcnt vmcnt(0) lgkmcnt(0)
	v_mul_f64 v[26:27], v[202:203], v[198:199]
	v_mul_f64 v[28:29], v[200:201], v[198:199]
	v_fma_f64 v[26:27], v[200:201], v[196:197], -v[26:27]
	v_fmac_f64_e32 v[28:29], v[202:203], v[196:197]
	v_add_f64 v[2:3], v[2:3], v[26:27]
	v_add_f64 v[4:5], v[4:5], v[28:29]
	s_andn2_b64 exec, exec, s[10:11]
	s_cbranch_execnz .LBB125_785
; %bb.786:
	s_or_b64 exec, exec, s[10:11]
.LBB125_787:
	s_or_b64 exec, exec, s[2:3]
.LBB125_788:
	s_or_b64 exec, exec, s[8:9]
	v_mov_b32_e32 v6, 0
	ds_read_b128 v[196:199], v6 offset:64
	s_waitcnt lgkmcnt(0)
	v_mul_f64 v[6:7], v[4:5], v[198:199]
	v_mul_f64 v[200:201], v[2:3], v[198:199]
	v_fma_f64 v[198:199], v[2:3], v[196:197], -v[6:7]
	v_fmac_f64_e32 v[200:201], v[4:5], v[196:197]
	scratch_store_dwordx4 off, v[198:201], off offset:64
.LBB125_789:
	s_or_b64 exec, exec, s[4:5]
	scratch_load_dwordx4 v[2:5], v192, off
	v_cmp_lt_u32_e64 s[2:3], 3, v0
	s_waitcnt vmcnt(0)
	ds_write_b128 v9, v[2:5]
	s_waitcnt lgkmcnt(0)
	; wave barrier
	s_waitcnt lgkmcnt(0)
	s_and_saveexec_b64 s[4:5], s[2:3]
	s_cbranch_execz .LBB125_803
; %bb.790:
	ds_read_b128 v[2:5], v9
	s_andn2_b64 vcc, exec, s[6:7]
	s_cbranch_vccnz .LBB125_792
; %bb.791:
	scratch_load_dwordx4 v[196:199], v8, off
	s_waitcnt vmcnt(0) lgkmcnt(0)
	v_mul_f64 v[26:27], v[2:3], v[198:199]
	v_mul_f64 v[6:7], v[4:5], v[198:199]
	v_fmac_f64_e32 v[26:27], v[4:5], v[196:197]
	v_fma_f64 v[2:3], v[2:3], v[196:197], -v[6:7]
	v_mov_b64_e32 v[4:5], v[26:27]
.LBB125_792:
	s_and_saveexec_b64 s[8:9], s[0:1]
	s_cbranch_execz .LBB125_802
; %bb.793:
	v_add_u32_e32 v7, -5, v0
	v_add_u32_e32 v6, -4, v0
	v_cmp_lt_u32_e32 vcc, 6, v7
	v_mov_b32_e32 v196, 4
	s_and_saveexec_b64 s[0:1], vcc
	s_cbranch_execz .LBB125_797
; %bb.794:
	v_and_b32_e32 v7, -8, v6
	s_mov_b32 s12, 0
	s_mov_b64 s[10:11], 0
	v_mov_b32_e32 v195, 0
	s_mov_b32 s13, 0
.LBB125_795:                            ; =>This Inner Loop Header: Depth=1
	v_readfirstlane_b32 s14, v195
	s_add_i32 s14, s14, s12
	s_add_i32 s15, s14, 64
	v_mov_b32_e32 v13, s12
	ds_read_b128 v[196:199], v13 offset:1056
	ds_read_b128 v[200:203], v13 offset:1072
	;; [unrolled: 1-line block ×4, first 2 shown]
	scratch_load_dwordx4 v[212:215], off, s15
	s_add_i32 s15, s14, 0x50
	s_addk_i32 s12, 0x80
	s_waitcnt vmcnt(0) lgkmcnt(3)
	v_mul_f64 v[26:27], v[198:199], v[214:215]
	v_mul_f64 v[28:29], v[196:197], v[214:215]
	v_fma_f64 v[26:27], v[196:197], v[212:213], -v[26:27]
	v_fmac_f64_e32 v[28:29], v[198:199], v[212:213]
	v_add_f64 v[26:27], v[2:3], v[26:27]
	v_add_f64 v[28:29], v[4:5], v[28:29]
	scratch_load_dwordx4 v[2:5], off, s15
	s_add_i32 s15, s14, 0x60
	s_waitcnt vmcnt(0) lgkmcnt(2)
	v_mul_f64 v[36:37], v[202:203], v[4:5]
	v_mul_f64 v[4:5], v[200:201], v[4:5]
	v_fmac_f64_e32 v[4:5], v[202:203], v[2:3]
	v_fma_f64 v[36:37], v[200:201], v[2:3], -v[36:37]
	v_add_f64 v[28:29], v[28:29], v[4:5]
	scratch_load_dwordx4 v[2:5], off, s15
	v_add_f64 v[26:27], v[26:27], v[36:37]
	s_add_i32 s15, s14, 0x70
	s_waitcnt vmcnt(0) lgkmcnt(1)
	v_mul_f64 v[36:37], v[206:207], v[4:5]
	v_mul_f64 v[4:5], v[204:205], v[4:5]
	v_fmac_f64_e32 v[4:5], v[206:207], v[2:3]
	v_fma_f64 v[36:37], v[204:205], v[2:3], -v[36:37]
	v_add_f64 v[28:29], v[28:29], v[4:5]
	scratch_load_dwordx4 v[2:5], off, s15
	s_add_i32 s15, s14, 0x80
	scratch_load_dwordx4 v[196:199], off, s15
	v_add_f64 v[26:27], v[26:27], v[36:37]
	s_add_i32 s15, s14, 0x90
	s_waitcnt vmcnt(1) lgkmcnt(0)
	v_mul_f64 v[36:37], v[210:211], v[4:5]
	v_mul_f64 v[4:5], v[208:209], v[4:5]
	v_fmac_f64_e32 v[4:5], v[210:211], v[2:3]
	v_fma_f64 v[36:37], v[208:209], v[2:3], -v[36:37]
	v_add_f64 v[28:29], v[28:29], v[4:5]
	ds_read_b128 v[2:5], v13 offset:1120
	v_add_f64 v[26:27], v[26:27], v[36:37]
	s_waitcnt vmcnt(0) lgkmcnt(0)
	v_mul_f64 v[36:37], v[4:5], v[198:199]
	v_fma_f64 v[36:37], v[2:3], v[196:197], -v[36:37]
	v_mul_f64 v[2:3], v[2:3], v[198:199]
	v_fmac_f64_e32 v[2:3], v[4:5], v[196:197]
	scratch_load_dwordx4 v[196:199], off, s15
	v_add_f64 v[28:29], v[28:29], v[2:3]
	ds_read_b128 v[2:5], v13 offset:1136
	v_add_f64 v[26:27], v[26:27], v[36:37]
	s_add_i32 s15, s14, 0xa0
	s_addk_i32 s14, 0xb0
	s_waitcnt vmcnt(0) lgkmcnt(0)
	v_mul_f64 v[36:37], v[4:5], v[198:199]
	v_fma_f64 v[36:37], v[2:3], v[196:197], -v[36:37]
	v_mul_f64 v[2:3], v[2:3], v[198:199]
	v_fmac_f64_e32 v[2:3], v[4:5], v[196:197]
	scratch_load_dwordx4 v[196:199], off, s15
	v_add_f64 v[28:29], v[28:29], v[2:3]
	ds_read_b128 v[2:5], v13 offset:1152
	v_add_f64 v[26:27], v[26:27], v[36:37]
	s_waitcnt vmcnt(0) lgkmcnt(0)
	v_mul_f64 v[36:37], v[4:5], v[198:199]
	v_fma_f64 v[36:37], v[2:3], v[196:197], -v[36:37]
	v_mul_f64 v[2:3], v[2:3], v[198:199]
	v_fmac_f64_e32 v[2:3], v[4:5], v[196:197]
	scratch_load_dwordx4 v[196:199], off, s14
	v_add_f64 v[28:29], v[28:29], v[2:3]
	ds_read_b128 v[2:5], v13 offset:1168
	v_add_f64 v[26:27], v[26:27], v[36:37]
	s_add_i32 s14, s13, 8
	v_cmp_eq_u32_e32 vcc, s14, v7
	s_add_i32 s13, s13, 12
	s_or_b64 s[10:11], vcc, s[10:11]
	s_waitcnt vmcnt(0) lgkmcnt(0)
	v_mul_f64 v[36:37], v[4:5], v[198:199]
	v_mul_f64 v[138:139], v[2:3], v[198:199]
	v_fma_f64 v[36:37], v[2:3], v[196:197], -v[36:37]
	v_fmac_f64_e32 v[138:139], v[4:5], v[196:197]
	v_add_f64 v[2:3], v[26:27], v[36:37]
	v_add_f64 v[4:5], v[28:29], v[138:139]
	v_mov_b32_e32 v196, s13
	s_mov_b32 s13, s14
	s_andn2_b64 exec, exec, s[10:11]
	s_cbranch_execnz .LBB125_795
; %bb.796:
	s_or_b64 exec, exec, s[10:11]
.LBB125_797:
	s_or_b64 exec, exec, s[0:1]
	v_and_b32_e32 v6, 7, v6
	v_cmp_ne_u32_e32 vcc, 0, v6
	s_and_saveexec_b64 s[0:1], vcc
	s_cbranch_execz .LBB125_801
; %bb.798:
	v_lshlrev_b32_e32 v13, 4, v196
	v_add_u32_e32 v7, 0x3e0, v13
	v_add_u32_e32 v195, 0, v13
	s_mov_b64 s[10:11], 0
.LBB125_799:                            ; =>This Inner Loop Header: Depth=1
	scratch_load_dwordx4 v[196:199], v195, off
	ds_read_b128 v[200:203], v7
	v_add_u32_e32 v6, -1, v6
	v_cmp_eq_u32_e32 vcc, 0, v6
	v_add_u32_e32 v7, 16, v7
	v_add_u32_e32 v195, 16, v195
	s_or_b64 s[10:11], vcc, s[10:11]
	s_waitcnt vmcnt(0) lgkmcnt(0)
	v_mul_f64 v[26:27], v[202:203], v[198:199]
	v_mul_f64 v[28:29], v[200:201], v[198:199]
	v_fma_f64 v[26:27], v[200:201], v[196:197], -v[26:27]
	v_fmac_f64_e32 v[28:29], v[202:203], v[196:197]
	v_add_f64 v[2:3], v[2:3], v[26:27]
	v_add_f64 v[4:5], v[4:5], v[28:29]
	s_andn2_b64 exec, exec, s[10:11]
	s_cbranch_execnz .LBB125_799
; %bb.800:
	s_or_b64 exec, exec, s[10:11]
.LBB125_801:
	s_or_b64 exec, exec, s[0:1]
.LBB125_802:
	s_or_b64 exec, exec, s[8:9]
	v_mov_b32_e32 v6, 0
	ds_read_b128 v[196:199], v6 offset:48
	s_waitcnt lgkmcnt(0)
	v_mul_f64 v[6:7], v[4:5], v[198:199]
	v_mul_f64 v[200:201], v[2:3], v[198:199]
	v_fma_f64 v[198:199], v[2:3], v[196:197], -v[6:7]
	v_fmac_f64_e32 v[200:201], v[4:5], v[196:197]
	scratch_store_dwordx4 off, v[198:201], off offset:48
.LBB125_803:
	s_or_b64 exec, exec, s[4:5]
	scratch_load_dwordx4 v[2:5], v193, off
	v_cmp_lt_u32_e64 s[4:5], 2, v0
	s_waitcnt vmcnt(0)
	ds_write_b128 v9, v[2:5]
	s_waitcnt lgkmcnt(0)
	; wave barrier
	s_waitcnt lgkmcnt(0)
	s_and_saveexec_b64 s[0:1], s[4:5]
	s_cbranch_execz .LBB125_817
; %bb.804:
	ds_read_b128 v[2:5], v9
	s_andn2_b64 vcc, exec, s[6:7]
	s_cbranch_vccnz .LBB125_806
; %bb.805:
	scratch_load_dwordx4 v[196:199], v8, off
	s_waitcnt vmcnt(0) lgkmcnt(0)
	v_mul_f64 v[26:27], v[2:3], v[198:199]
	v_mul_f64 v[6:7], v[4:5], v[198:199]
	v_fmac_f64_e32 v[26:27], v[4:5], v[196:197]
	v_fma_f64 v[2:3], v[2:3], v[196:197], -v[6:7]
	v_mov_b64_e32 v[4:5], v[26:27]
.LBB125_806:
	s_and_saveexec_b64 s[8:9], s[2:3]
	s_cbranch_execz .LBB125_816
; %bb.807:
	v_add_u32_e32 v7, -4, v0
	v_add_u32_e32 v6, -3, v0
	v_cmp_lt_u32_e32 vcc, 6, v7
	v_mov_b32_e32 v196, 3
	s_and_saveexec_b64 s[2:3], vcc
	s_cbranch_execz .LBB125_811
; %bb.808:
	v_and_b32_e32 v7, -8, v6
	s_mov_b32 s12, 0
	s_mov_b64 s[10:11], 0
	v_mov_b32_e32 v195, 0
	s_mov_b32 s13, 0
.LBB125_809:                            ; =>This Inner Loop Header: Depth=1
	v_readfirstlane_b32 s14, v195
	s_add_i32 s14, s14, s12
	s_add_i32 s15, s14, 48
	v_mov_b32_e32 v13, s12
	ds_read_b128 v[196:199], v13 offset:1040
	ds_read_b128 v[200:203], v13 offset:1056
	;; [unrolled: 1-line block ×4, first 2 shown]
	scratch_load_dwordx4 v[212:215], off, s15
	s_add_i32 s15, s14, 64
	s_addk_i32 s12, 0x80
	s_waitcnt vmcnt(0) lgkmcnt(3)
	v_mul_f64 v[26:27], v[198:199], v[214:215]
	v_mul_f64 v[28:29], v[196:197], v[214:215]
	v_fma_f64 v[26:27], v[196:197], v[212:213], -v[26:27]
	v_fmac_f64_e32 v[28:29], v[198:199], v[212:213]
	v_add_f64 v[26:27], v[2:3], v[26:27]
	v_add_f64 v[28:29], v[4:5], v[28:29]
	scratch_load_dwordx4 v[2:5], off, s15
	s_add_i32 s15, s14, 0x50
	s_waitcnt vmcnt(0) lgkmcnt(2)
	v_mul_f64 v[36:37], v[202:203], v[4:5]
	v_mul_f64 v[4:5], v[200:201], v[4:5]
	v_fmac_f64_e32 v[4:5], v[202:203], v[2:3]
	v_fma_f64 v[36:37], v[200:201], v[2:3], -v[36:37]
	v_add_f64 v[28:29], v[28:29], v[4:5]
	scratch_load_dwordx4 v[2:5], off, s15
	v_add_f64 v[26:27], v[26:27], v[36:37]
	s_add_i32 s15, s14, 0x60
	s_waitcnt vmcnt(0) lgkmcnt(1)
	v_mul_f64 v[36:37], v[206:207], v[4:5]
	v_mul_f64 v[4:5], v[204:205], v[4:5]
	v_fmac_f64_e32 v[4:5], v[206:207], v[2:3]
	v_fma_f64 v[36:37], v[204:205], v[2:3], -v[36:37]
	v_add_f64 v[28:29], v[28:29], v[4:5]
	scratch_load_dwordx4 v[2:5], off, s15
	s_add_i32 s15, s14, 0x70
	scratch_load_dwordx4 v[196:199], off, s15
	v_add_f64 v[26:27], v[26:27], v[36:37]
	s_add_i32 s15, s14, 0x80
	s_waitcnt vmcnt(1) lgkmcnt(0)
	v_mul_f64 v[36:37], v[210:211], v[4:5]
	v_mul_f64 v[4:5], v[208:209], v[4:5]
	v_fmac_f64_e32 v[4:5], v[210:211], v[2:3]
	v_fma_f64 v[36:37], v[208:209], v[2:3], -v[36:37]
	v_add_f64 v[28:29], v[28:29], v[4:5]
	ds_read_b128 v[2:5], v13 offset:1104
	v_add_f64 v[26:27], v[26:27], v[36:37]
	s_waitcnt vmcnt(0) lgkmcnt(0)
	v_mul_f64 v[36:37], v[4:5], v[198:199]
	v_fma_f64 v[36:37], v[2:3], v[196:197], -v[36:37]
	v_mul_f64 v[2:3], v[2:3], v[198:199]
	v_fmac_f64_e32 v[2:3], v[4:5], v[196:197]
	scratch_load_dwordx4 v[196:199], off, s15
	v_add_f64 v[28:29], v[28:29], v[2:3]
	ds_read_b128 v[2:5], v13 offset:1120
	v_add_f64 v[26:27], v[26:27], v[36:37]
	s_add_i32 s15, s14, 0x90
	s_addk_i32 s14, 0xa0
	s_waitcnt vmcnt(0) lgkmcnt(0)
	v_mul_f64 v[36:37], v[4:5], v[198:199]
	v_fma_f64 v[36:37], v[2:3], v[196:197], -v[36:37]
	v_mul_f64 v[2:3], v[2:3], v[198:199]
	v_fmac_f64_e32 v[2:3], v[4:5], v[196:197]
	scratch_load_dwordx4 v[196:199], off, s15
	v_add_f64 v[28:29], v[28:29], v[2:3]
	ds_read_b128 v[2:5], v13 offset:1136
	v_add_f64 v[26:27], v[26:27], v[36:37]
	s_waitcnt vmcnt(0) lgkmcnt(0)
	v_mul_f64 v[36:37], v[4:5], v[198:199]
	v_fma_f64 v[36:37], v[2:3], v[196:197], -v[36:37]
	v_mul_f64 v[2:3], v[2:3], v[198:199]
	v_fmac_f64_e32 v[2:3], v[4:5], v[196:197]
	scratch_load_dwordx4 v[196:199], off, s14
	v_add_f64 v[28:29], v[28:29], v[2:3]
	ds_read_b128 v[2:5], v13 offset:1152
	v_add_f64 v[26:27], v[26:27], v[36:37]
	s_add_i32 s14, s13, 8
	v_cmp_eq_u32_e32 vcc, s14, v7
	s_add_i32 s13, s13, 11
	s_or_b64 s[10:11], vcc, s[10:11]
	s_waitcnt vmcnt(0) lgkmcnt(0)
	v_mul_f64 v[36:37], v[4:5], v[198:199]
	v_mul_f64 v[138:139], v[2:3], v[198:199]
	v_fma_f64 v[36:37], v[2:3], v[196:197], -v[36:37]
	v_fmac_f64_e32 v[138:139], v[4:5], v[196:197]
	v_add_f64 v[2:3], v[26:27], v[36:37]
	v_add_f64 v[4:5], v[28:29], v[138:139]
	v_mov_b32_e32 v196, s13
	s_mov_b32 s13, s14
	s_andn2_b64 exec, exec, s[10:11]
	s_cbranch_execnz .LBB125_809
; %bb.810:
	s_or_b64 exec, exec, s[10:11]
.LBB125_811:
	s_or_b64 exec, exec, s[2:3]
	v_and_b32_e32 v6, 7, v6
	v_cmp_ne_u32_e32 vcc, 0, v6
	s_and_saveexec_b64 s[2:3], vcc
	s_cbranch_execz .LBB125_815
; %bb.812:
	v_lshlrev_b32_e32 v13, 4, v196
	v_add_u32_e32 v7, 0x3e0, v13
	v_add_u32_e32 v195, 0, v13
	s_mov_b64 s[10:11], 0
.LBB125_813:                            ; =>This Inner Loop Header: Depth=1
	scratch_load_dwordx4 v[196:199], v195, off
	ds_read_b128 v[200:203], v7
	v_add_u32_e32 v6, -1, v6
	v_cmp_eq_u32_e32 vcc, 0, v6
	v_add_u32_e32 v7, 16, v7
	v_add_u32_e32 v195, 16, v195
	s_or_b64 s[10:11], vcc, s[10:11]
	s_waitcnt vmcnt(0) lgkmcnt(0)
	v_mul_f64 v[26:27], v[202:203], v[198:199]
	v_mul_f64 v[28:29], v[200:201], v[198:199]
	v_fma_f64 v[26:27], v[200:201], v[196:197], -v[26:27]
	v_fmac_f64_e32 v[28:29], v[202:203], v[196:197]
	v_add_f64 v[2:3], v[2:3], v[26:27]
	v_add_f64 v[4:5], v[4:5], v[28:29]
	s_andn2_b64 exec, exec, s[10:11]
	s_cbranch_execnz .LBB125_813
; %bb.814:
	s_or_b64 exec, exec, s[10:11]
.LBB125_815:
	s_or_b64 exec, exec, s[2:3]
.LBB125_816:
	s_or_b64 exec, exec, s[8:9]
	v_mov_b32_e32 v6, 0
	ds_read_b128 v[196:199], v6 offset:32
	s_waitcnt lgkmcnt(0)
	v_mul_f64 v[6:7], v[4:5], v[198:199]
	v_mul_f64 v[200:201], v[2:3], v[198:199]
	v_fma_f64 v[198:199], v[2:3], v[196:197], -v[6:7]
	v_fmac_f64_e32 v[200:201], v[4:5], v[196:197]
	scratch_store_dwordx4 off, v[198:201], off offset:32
.LBB125_817:
	s_or_b64 exec, exec, s[0:1]
	scratch_load_dwordx4 v[2:5], v194, off
	v_cmp_lt_u32_e64 s[0:1], 1, v0
	s_waitcnt vmcnt(0)
	ds_write_b128 v9, v[2:5]
	s_waitcnt lgkmcnt(0)
	; wave barrier
	s_waitcnt lgkmcnt(0)
	s_and_saveexec_b64 s[2:3], s[0:1]
	s_cbranch_execz .LBB125_831
; %bb.818:
	ds_read_b128 v[2:5], v9
	s_andn2_b64 vcc, exec, s[6:7]
	s_cbranch_vccnz .LBB125_820
; %bb.819:
	scratch_load_dwordx4 v[196:199], v8, off
	s_waitcnt vmcnt(0) lgkmcnt(0)
	v_mul_f64 v[26:27], v[2:3], v[198:199]
	v_mul_f64 v[6:7], v[4:5], v[198:199]
	v_fmac_f64_e32 v[26:27], v[4:5], v[196:197]
	v_fma_f64 v[2:3], v[2:3], v[196:197], -v[6:7]
	v_mov_b64_e32 v[4:5], v[26:27]
.LBB125_820:
	s_and_saveexec_b64 s[8:9], s[4:5]
	s_cbranch_execz .LBB125_830
; %bb.821:
	v_add_u32_e32 v7, -3, v0
	v_add_u32_e32 v6, -2, v0
	v_cmp_lt_u32_e32 vcc, 6, v7
	v_mov_b32_e32 v196, 2
	s_and_saveexec_b64 s[4:5], vcc
	s_cbranch_execz .LBB125_825
; %bb.822:
	v_and_b32_e32 v7, -8, v6
	s_mov_b32 s12, 0
	s_mov_b64 s[10:11], 0
	v_mov_b32_e32 v195, 0
	s_mov_b32 s13, 0
.LBB125_823:                            ; =>This Inner Loop Header: Depth=1
	v_readfirstlane_b32 s14, v195
	s_add_i32 s14, s14, s12
	s_add_i32 s15, s14, 32
	v_mov_b32_e32 v13, s12
	ds_read_b128 v[196:199], v13 offset:1024
	ds_read_b128 v[200:203], v13 offset:1040
	;; [unrolled: 1-line block ×4, first 2 shown]
	scratch_load_dwordx4 v[212:215], off, s15
	s_add_i32 s15, s14, 48
	s_addk_i32 s12, 0x80
	s_waitcnt vmcnt(0) lgkmcnt(3)
	v_mul_f64 v[26:27], v[198:199], v[214:215]
	v_mul_f64 v[28:29], v[196:197], v[214:215]
	v_fma_f64 v[26:27], v[196:197], v[212:213], -v[26:27]
	v_fmac_f64_e32 v[28:29], v[198:199], v[212:213]
	v_add_f64 v[26:27], v[2:3], v[26:27]
	v_add_f64 v[28:29], v[4:5], v[28:29]
	scratch_load_dwordx4 v[2:5], off, s15
	s_add_i32 s15, s14, 64
	s_waitcnt vmcnt(0) lgkmcnt(2)
	v_mul_f64 v[36:37], v[202:203], v[4:5]
	v_mul_f64 v[4:5], v[200:201], v[4:5]
	v_fmac_f64_e32 v[4:5], v[202:203], v[2:3]
	v_fma_f64 v[36:37], v[200:201], v[2:3], -v[36:37]
	v_add_f64 v[28:29], v[28:29], v[4:5]
	scratch_load_dwordx4 v[2:5], off, s15
	v_add_f64 v[26:27], v[26:27], v[36:37]
	s_add_i32 s15, s14, 0x50
	s_waitcnt vmcnt(0) lgkmcnt(1)
	v_mul_f64 v[36:37], v[206:207], v[4:5]
	v_mul_f64 v[4:5], v[204:205], v[4:5]
	v_fmac_f64_e32 v[4:5], v[206:207], v[2:3]
	v_fma_f64 v[36:37], v[204:205], v[2:3], -v[36:37]
	v_add_f64 v[28:29], v[28:29], v[4:5]
	scratch_load_dwordx4 v[2:5], off, s15
	s_add_i32 s15, s14, 0x60
	scratch_load_dwordx4 v[196:199], off, s15
	v_add_f64 v[26:27], v[26:27], v[36:37]
	s_add_i32 s15, s14, 0x70
	s_waitcnt vmcnt(1) lgkmcnt(0)
	v_mul_f64 v[36:37], v[210:211], v[4:5]
	v_mul_f64 v[4:5], v[208:209], v[4:5]
	v_fmac_f64_e32 v[4:5], v[210:211], v[2:3]
	v_fma_f64 v[36:37], v[208:209], v[2:3], -v[36:37]
	v_add_f64 v[28:29], v[28:29], v[4:5]
	ds_read_b128 v[2:5], v13 offset:1088
	v_add_f64 v[26:27], v[26:27], v[36:37]
	s_waitcnt vmcnt(0) lgkmcnt(0)
	v_mul_f64 v[36:37], v[4:5], v[198:199]
	v_fma_f64 v[36:37], v[2:3], v[196:197], -v[36:37]
	v_mul_f64 v[2:3], v[2:3], v[198:199]
	v_fmac_f64_e32 v[2:3], v[4:5], v[196:197]
	scratch_load_dwordx4 v[196:199], off, s15
	v_add_f64 v[28:29], v[28:29], v[2:3]
	ds_read_b128 v[2:5], v13 offset:1104
	v_add_f64 v[26:27], v[26:27], v[36:37]
	s_add_i32 s15, s14, 0x80
	s_addk_i32 s14, 0x90
	s_waitcnt vmcnt(0) lgkmcnt(0)
	v_mul_f64 v[36:37], v[4:5], v[198:199]
	v_fma_f64 v[36:37], v[2:3], v[196:197], -v[36:37]
	v_mul_f64 v[2:3], v[2:3], v[198:199]
	v_fmac_f64_e32 v[2:3], v[4:5], v[196:197]
	scratch_load_dwordx4 v[196:199], off, s15
	v_add_f64 v[28:29], v[28:29], v[2:3]
	ds_read_b128 v[2:5], v13 offset:1120
	v_add_f64 v[26:27], v[26:27], v[36:37]
	s_waitcnt vmcnt(0) lgkmcnt(0)
	v_mul_f64 v[36:37], v[4:5], v[198:199]
	v_fma_f64 v[36:37], v[2:3], v[196:197], -v[36:37]
	v_mul_f64 v[2:3], v[2:3], v[198:199]
	v_fmac_f64_e32 v[2:3], v[4:5], v[196:197]
	scratch_load_dwordx4 v[196:199], off, s14
	v_add_f64 v[28:29], v[28:29], v[2:3]
	ds_read_b128 v[2:5], v13 offset:1136
	v_add_f64 v[26:27], v[26:27], v[36:37]
	s_add_i32 s14, s13, 8
	v_cmp_eq_u32_e32 vcc, s14, v7
	s_add_i32 s13, s13, 10
	s_or_b64 s[10:11], vcc, s[10:11]
	s_waitcnt vmcnt(0) lgkmcnt(0)
	v_mul_f64 v[36:37], v[4:5], v[198:199]
	v_mul_f64 v[138:139], v[2:3], v[198:199]
	v_fma_f64 v[36:37], v[2:3], v[196:197], -v[36:37]
	v_fmac_f64_e32 v[138:139], v[4:5], v[196:197]
	v_add_f64 v[2:3], v[26:27], v[36:37]
	v_add_f64 v[4:5], v[28:29], v[138:139]
	v_mov_b32_e32 v196, s13
	s_mov_b32 s13, s14
	s_andn2_b64 exec, exec, s[10:11]
	s_cbranch_execnz .LBB125_823
; %bb.824:
	s_or_b64 exec, exec, s[10:11]
.LBB125_825:
	s_or_b64 exec, exec, s[4:5]
	v_and_b32_e32 v6, 7, v6
	v_cmp_ne_u32_e32 vcc, 0, v6
	s_and_saveexec_b64 s[4:5], vcc
	s_cbranch_execz .LBB125_829
; %bb.826:
	v_lshlrev_b32_e32 v13, 4, v196
	v_add_u32_e32 v7, 0x3e0, v13
	v_add_u32_e32 v195, 0, v13
	s_mov_b64 s[10:11], 0
.LBB125_827:                            ; =>This Inner Loop Header: Depth=1
	scratch_load_dwordx4 v[196:199], v195, off
	ds_read_b128 v[200:203], v7
	v_add_u32_e32 v6, -1, v6
	v_cmp_eq_u32_e32 vcc, 0, v6
	v_add_u32_e32 v7, 16, v7
	v_add_u32_e32 v195, 16, v195
	s_or_b64 s[10:11], vcc, s[10:11]
	s_waitcnt vmcnt(0) lgkmcnt(0)
	v_mul_f64 v[26:27], v[202:203], v[198:199]
	v_mul_f64 v[28:29], v[200:201], v[198:199]
	v_fma_f64 v[26:27], v[200:201], v[196:197], -v[26:27]
	v_fmac_f64_e32 v[28:29], v[202:203], v[196:197]
	v_add_f64 v[2:3], v[2:3], v[26:27]
	v_add_f64 v[4:5], v[4:5], v[28:29]
	s_andn2_b64 exec, exec, s[10:11]
	s_cbranch_execnz .LBB125_827
; %bb.828:
	s_or_b64 exec, exec, s[10:11]
.LBB125_829:
	s_or_b64 exec, exec, s[4:5]
.LBB125_830:
	s_or_b64 exec, exec, s[8:9]
	v_mov_b32_e32 v6, 0
	ds_read_b128 v[196:199], v6 offset:16
	s_waitcnt lgkmcnt(0)
	v_mul_f64 v[6:7], v[4:5], v[198:199]
	v_mul_f64 v[200:201], v[2:3], v[198:199]
	v_fma_f64 v[198:199], v[2:3], v[196:197], -v[6:7]
	v_fmac_f64_e32 v[200:201], v[4:5], v[196:197]
	scratch_store_dwordx4 off, v[198:201], off offset:16
.LBB125_831:
	s_or_b64 exec, exec, s[2:3]
	scratch_load_dwordx4 v[2:5], off, off
	v_cmp_ne_u32_e32 vcc, 0, v0
	s_mov_b64 s[2:3], 0
	s_mov_b64 s[10:11], 0
                                        ; implicit-def: $vgpr6_vgpr7
                                        ; implicit-def: $vgpr195
	s_waitcnt vmcnt(0)
	ds_write_b128 v9, v[2:5]
	s_waitcnt lgkmcnt(0)
	; wave barrier
	s_waitcnt lgkmcnt(0)
	s_and_saveexec_b64 s[4:5], vcc
	s_cbranch_execz .LBB125_845
; %bb.832:
	ds_read_b128 v[2:5], v9
	s_andn2_b64 vcc, exec, s[6:7]
	s_cbranch_vccnz .LBB125_834
; %bb.833:
	scratch_load_dwordx4 v[196:199], v8, off
	s_waitcnt vmcnt(0) lgkmcnt(0)
	v_mul_f64 v[26:27], v[2:3], v[198:199]
	v_mul_f64 v[6:7], v[4:5], v[198:199]
	v_fmac_f64_e32 v[26:27], v[4:5], v[196:197]
	v_fma_f64 v[2:3], v[2:3], v[196:197], -v[6:7]
	v_mov_b64_e32 v[4:5], v[26:27]
.LBB125_834:
	s_and_saveexec_b64 s[8:9], s[0:1]
	s_cbranch_execz .LBB125_844
; %bb.835:
	v_add_u32_e32 v7, -2, v0
	v_add_u32_e32 v6, -1, v0
	v_cmp_lt_u32_e32 vcc, 6, v7
	v_mov_b32_e32 v196, 1
	s_and_saveexec_b64 s[0:1], vcc
	s_cbranch_execz .LBB125_839
; %bb.836:
	v_and_b32_e32 v7, -8, v6
	s_mov_b32 s12, 0
	v_mov_b32_e32 v195, 0
	s_mov_b32 s13, 0
.LBB125_837:                            ; =>This Inner Loop Header: Depth=1
	v_readfirstlane_b32 s14, v195
	s_add_i32 s14, s14, s12
	s_add_i32 s15, s14, 16
	v_mov_b32_e32 v13, s12
	ds_read_b128 v[196:199], v13 offset:1008
	ds_read_b128 v[200:203], v13 offset:1024
	;; [unrolled: 1-line block ×4, first 2 shown]
	scratch_load_dwordx4 v[212:215], off, s15
	s_add_i32 s15, s14, 32
	s_addk_i32 s12, 0x80
	s_waitcnt vmcnt(0) lgkmcnt(3)
	v_mul_f64 v[26:27], v[198:199], v[214:215]
	v_mul_f64 v[28:29], v[196:197], v[214:215]
	v_fma_f64 v[26:27], v[196:197], v[212:213], -v[26:27]
	v_fmac_f64_e32 v[28:29], v[198:199], v[212:213]
	v_add_f64 v[26:27], v[2:3], v[26:27]
	v_add_f64 v[28:29], v[4:5], v[28:29]
	scratch_load_dwordx4 v[2:5], off, s15
	s_add_i32 s15, s14, 48
	s_waitcnt vmcnt(0) lgkmcnt(2)
	v_mul_f64 v[36:37], v[202:203], v[4:5]
	v_mul_f64 v[4:5], v[200:201], v[4:5]
	v_fmac_f64_e32 v[4:5], v[202:203], v[2:3]
	v_fma_f64 v[36:37], v[200:201], v[2:3], -v[36:37]
	v_add_f64 v[28:29], v[28:29], v[4:5]
	scratch_load_dwordx4 v[2:5], off, s15
	v_add_f64 v[26:27], v[26:27], v[36:37]
	s_add_i32 s15, s14, 64
	s_waitcnt vmcnt(0) lgkmcnt(1)
	v_mul_f64 v[36:37], v[206:207], v[4:5]
	v_mul_f64 v[4:5], v[204:205], v[4:5]
	v_fmac_f64_e32 v[4:5], v[206:207], v[2:3]
	v_fma_f64 v[36:37], v[204:205], v[2:3], -v[36:37]
	v_add_f64 v[28:29], v[28:29], v[4:5]
	scratch_load_dwordx4 v[2:5], off, s15
	s_add_i32 s15, s14, 0x50
	scratch_load_dwordx4 v[196:199], off, s15
	v_add_f64 v[26:27], v[26:27], v[36:37]
	s_add_i32 s15, s14, 0x60
	s_waitcnt vmcnt(1) lgkmcnt(0)
	v_mul_f64 v[36:37], v[210:211], v[4:5]
	v_mul_f64 v[4:5], v[208:209], v[4:5]
	v_fmac_f64_e32 v[4:5], v[210:211], v[2:3]
	v_fma_f64 v[36:37], v[208:209], v[2:3], -v[36:37]
	v_add_f64 v[28:29], v[28:29], v[4:5]
	ds_read_b128 v[2:5], v13 offset:1072
	v_add_f64 v[26:27], v[26:27], v[36:37]
	s_waitcnt vmcnt(0) lgkmcnt(0)
	v_mul_f64 v[36:37], v[4:5], v[198:199]
	v_fma_f64 v[36:37], v[2:3], v[196:197], -v[36:37]
	v_mul_f64 v[2:3], v[2:3], v[198:199]
	v_fmac_f64_e32 v[2:3], v[4:5], v[196:197]
	scratch_load_dwordx4 v[196:199], off, s15
	v_add_f64 v[28:29], v[28:29], v[2:3]
	ds_read_b128 v[2:5], v13 offset:1088
	v_add_f64 v[26:27], v[26:27], v[36:37]
	s_add_i32 s15, s14, 0x70
	s_addk_i32 s14, 0x80
	s_waitcnt vmcnt(0) lgkmcnt(0)
	v_mul_f64 v[36:37], v[4:5], v[198:199]
	v_fma_f64 v[36:37], v[2:3], v[196:197], -v[36:37]
	v_mul_f64 v[2:3], v[2:3], v[198:199]
	v_fmac_f64_e32 v[2:3], v[4:5], v[196:197]
	scratch_load_dwordx4 v[196:199], off, s15
	v_add_f64 v[28:29], v[28:29], v[2:3]
	ds_read_b128 v[2:5], v13 offset:1104
	v_add_f64 v[26:27], v[26:27], v[36:37]
	s_waitcnt vmcnt(0) lgkmcnt(0)
	v_mul_f64 v[36:37], v[4:5], v[198:199]
	v_fma_f64 v[36:37], v[2:3], v[196:197], -v[36:37]
	v_mul_f64 v[2:3], v[2:3], v[198:199]
	v_fmac_f64_e32 v[2:3], v[4:5], v[196:197]
	scratch_load_dwordx4 v[196:199], off, s14
	v_add_f64 v[28:29], v[28:29], v[2:3]
	ds_read_b128 v[2:5], v13 offset:1120
	v_add_f64 v[26:27], v[26:27], v[36:37]
	s_add_i32 s14, s13, 8
	v_cmp_eq_u32_e32 vcc, s14, v7
	s_add_i32 s13, s13, 9
	s_or_b64 s[10:11], vcc, s[10:11]
	s_waitcnt vmcnt(0) lgkmcnt(0)
	v_mul_f64 v[36:37], v[4:5], v[198:199]
	v_mul_f64 v[138:139], v[2:3], v[198:199]
	v_fma_f64 v[36:37], v[2:3], v[196:197], -v[36:37]
	v_fmac_f64_e32 v[138:139], v[4:5], v[196:197]
	v_add_f64 v[2:3], v[26:27], v[36:37]
	v_add_f64 v[4:5], v[28:29], v[138:139]
	v_mov_b32_e32 v196, s13
	s_mov_b32 s13, s14
	s_andn2_b64 exec, exec, s[10:11]
	s_cbranch_execnz .LBB125_837
; %bb.838:
	s_or_b64 exec, exec, s[10:11]
.LBB125_839:
	s_or_b64 exec, exec, s[0:1]
	v_and_b32_e32 v6, 7, v6
	v_cmp_ne_u32_e32 vcc, 0, v6
	s_and_saveexec_b64 s[0:1], vcc
	s_cbranch_execz .LBB125_843
; %bb.840:
	v_lshlrev_b32_e32 v13, 4, v196
	v_add_u32_e32 v7, 0x3e0, v13
	v_add_u32_e32 v195, 0, v13
	s_mov_b64 s[10:11], 0
.LBB125_841:                            ; =>This Inner Loop Header: Depth=1
	scratch_load_dwordx4 v[196:199], v195, off
	ds_read_b128 v[200:203], v7
	v_add_u32_e32 v6, -1, v6
	v_cmp_eq_u32_e32 vcc, 0, v6
	v_add_u32_e32 v7, 16, v7
	v_add_u32_e32 v195, 16, v195
	s_or_b64 s[10:11], vcc, s[10:11]
	s_waitcnt vmcnt(0) lgkmcnt(0)
	v_mul_f64 v[26:27], v[202:203], v[198:199]
	v_mul_f64 v[28:29], v[200:201], v[198:199]
	v_fma_f64 v[26:27], v[200:201], v[196:197], -v[26:27]
	v_fmac_f64_e32 v[28:29], v[202:203], v[196:197]
	v_add_f64 v[2:3], v[2:3], v[26:27]
	v_add_f64 v[4:5], v[4:5], v[28:29]
	s_andn2_b64 exec, exec, s[10:11]
	s_cbranch_execnz .LBB125_841
; %bb.842:
	s_or_b64 exec, exec, s[10:11]
.LBB125_843:
	s_or_b64 exec, exec, s[0:1]
.LBB125_844:
	s_or_b64 exec, exec, s[8:9]
	v_mov_b32_e32 v6, 0
	ds_read_b128 v[196:199], v6
	v_mov_b32_e32 v6, 0
	v_or_b32_e32 v195, 8, v6
	s_mov_b64 s[10:11], exec
	s_waitcnt lgkmcnt(0)
	v_mul_f64 v[26:27], v[4:5], v[198:199]
	v_mul_f64 v[6:7], v[2:3], v[198:199]
	v_fma_f64 v[2:3], v[2:3], v[196:197], -v[26:27]
	v_fmac_f64_e32 v[6:7], v[4:5], v[196:197]
	scratch_store_dwordx2 off, v[2:3], off
.LBB125_845:
	s_or_b64 exec, exec, s[4:5]
	s_and_b64 vcc, exec, s[2:3]
	s_cbranch_vccnz .LBB125_847
	s_branch .LBB125_1342
.LBB125_846:
	s_mov_b64 s[10:11], 0
                                        ; implicit-def: $vgpr6_vgpr7
                                        ; implicit-def: $vgpr195
	s_cbranch_execz .LBB125_1342
.LBB125_847:
	scratch_load_dwordx4 v[2:5], v194, off
	v_cndmask_b32_e64 v6, 0, 1, s[6:7]
	v_cmp_eq_u32_e64 s[2:3], 0, v0
	v_cmp_ne_u32_e64 s[0:1], 1, v6
	s_waitcnt vmcnt(0)
	ds_write_b128 v9, v[2:5]
	s_waitcnt lgkmcnt(0)
	; wave barrier
	s_waitcnt lgkmcnt(0)
	s_and_saveexec_b64 s[4:5], s[2:3]
	s_cbranch_execz .LBB125_851
; %bb.848:
	ds_read_b128 v[2:5], v9
	s_and_b64 vcc, exec, s[0:1]
	s_cbranch_vccnz .LBB125_850
; %bb.849:
	scratch_load_dwordx4 v[196:199], v8, off
	s_waitcnt vmcnt(0) lgkmcnt(0)
	v_mul_f64 v[26:27], v[2:3], v[198:199]
	v_mul_f64 v[6:7], v[4:5], v[198:199]
	v_fmac_f64_e32 v[26:27], v[4:5], v[196:197]
	v_fma_f64 v[2:3], v[2:3], v[196:197], -v[6:7]
	v_mov_b64_e32 v[4:5], v[26:27]
.LBB125_850:
	v_mov_b32_e32 v6, 0
	ds_read_b128 v[196:199], v6 offset:16
	s_waitcnt lgkmcnt(0)
	v_mul_f64 v[6:7], v[4:5], v[198:199]
	v_mul_f64 v[200:201], v[2:3], v[198:199]
	v_fma_f64 v[198:199], v[2:3], v[196:197], -v[6:7]
	v_fmac_f64_e32 v[200:201], v[4:5], v[196:197]
	scratch_store_dwordx4 off, v[198:201], off offset:16
.LBB125_851:
	s_or_b64 exec, exec, s[4:5]
	scratch_load_dwordx4 v[2:5], v193, off
	v_cmp_gt_u32_e32 vcc, 2, v0
	s_waitcnt vmcnt(0)
	ds_write_b128 v9, v[2:5]
	s_waitcnt lgkmcnt(0)
	; wave barrier
	s_waitcnt lgkmcnt(0)
	s_and_saveexec_b64 s[4:5], vcc
	s_cbranch_execz .LBB125_857
; %bb.852:
	ds_read_b128 v[2:5], v9
	s_and_b64 vcc, exec, s[0:1]
	s_cbranch_vccnz .LBB125_854
; %bb.853:
	scratch_load_dwordx4 v[196:199], v8, off
	s_waitcnt vmcnt(0) lgkmcnt(0)
	v_mul_f64 v[26:27], v[2:3], v[198:199]
	v_mul_f64 v[6:7], v[4:5], v[198:199]
	v_fmac_f64_e32 v[26:27], v[4:5], v[196:197]
	v_fma_f64 v[2:3], v[2:3], v[196:197], -v[6:7]
	v_mov_b64_e32 v[4:5], v[26:27]
.LBB125_854:
	s_and_saveexec_b64 s[6:7], s[2:3]
	s_cbranch_execz .LBB125_856
; %bb.855:
	scratch_load_dwordx4 v[196:199], v8, off offset:16
	ds_read_b128 v[200:203], v9 offset:16
	s_waitcnt vmcnt(0) lgkmcnt(0)
	v_mul_f64 v[6:7], v[202:203], v[198:199]
	v_mul_f64 v[26:27], v[200:201], v[198:199]
	v_fma_f64 v[6:7], v[200:201], v[196:197], -v[6:7]
	v_fmac_f64_e32 v[26:27], v[202:203], v[196:197]
	v_add_f64 v[2:3], v[2:3], v[6:7]
	v_add_f64 v[4:5], v[4:5], v[26:27]
.LBB125_856:
	s_or_b64 exec, exec, s[6:7]
	v_mov_b32_e32 v6, 0
	ds_read_b128 v[196:199], v6 offset:32
	s_waitcnt lgkmcnt(0)
	v_mul_f64 v[6:7], v[4:5], v[198:199]
	v_mul_f64 v[200:201], v[2:3], v[198:199]
	v_fma_f64 v[198:199], v[2:3], v[196:197], -v[6:7]
	v_fmac_f64_e32 v[200:201], v[4:5], v[196:197]
	scratch_store_dwordx4 off, v[198:201], off offset:32
.LBB125_857:
	s_or_b64 exec, exec, s[4:5]
	scratch_load_dwordx4 v[2:5], v192, off
	v_cmp_gt_u32_e64 s[4:5], 3, v0
	s_waitcnt vmcnt(0)
	ds_write_b128 v9, v[2:5]
	s_waitcnt lgkmcnt(0)
	; wave barrier
	s_waitcnt lgkmcnt(0)
	s_and_saveexec_b64 s[6:7], s[4:5]
	s_cbranch_execz .LBB125_865
; %bb.858:
	ds_read_b128 v[2:5], v9
	s_and_b64 vcc, exec, s[0:1]
	s_cbranch_vccnz .LBB125_860
; %bb.859:
	scratch_load_dwordx4 v[196:199], v8, off
	s_waitcnt vmcnt(0) lgkmcnt(0)
	v_mul_f64 v[26:27], v[2:3], v[198:199]
	v_mul_f64 v[6:7], v[4:5], v[198:199]
	v_fmac_f64_e32 v[26:27], v[4:5], v[196:197]
	v_fma_f64 v[2:3], v[2:3], v[196:197], -v[6:7]
	v_mov_b64_e32 v[4:5], v[26:27]
.LBB125_860:
	v_cmp_ne_u32_e32 vcc, 2, v0
	s_and_saveexec_b64 s[8:9], vcc
	s_cbranch_execz .LBB125_864
; %bb.861:
	scratch_load_dwordx4 v[196:199], v8, off offset:16
	ds_read_b128 v[200:203], v9 offset:16
	s_waitcnt vmcnt(0) lgkmcnt(0)
	v_mul_f64 v[6:7], v[202:203], v[198:199]
	v_mul_f64 v[26:27], v[200:201], v[198:199]
	v_fma_f64 v[6:7], v[200:201], v[196:197], -v[6:7]
	v_fmac_f64_e32 v[26:27], v[202:203], v[196:197]
	v_add_f64 v[2:3], v[2:3], v[6:7]
	v_add_f64 v[4:5], v[4:5], v[26:27]
	s_and_saveexec_b64 s[12:13], s[2:3]
	s_cbranch_execz .LBB125_863
; %bb.862:
	scratch_load_dwordx4 v[196:199], off, off offset:32
	v_mov_b32_e32 v6, 0
	ds_read_b128 v[200:203], v6 offset:1024
	s_waitcnt vmcnt(0) lgkmcnt(0)
	v_mul_f64 v[6:7], v[200:201], v[198:199]
	v_mul_f64 v[26:27], v[202:203], v[198:199]
	v_fmac_f64_e32 v[6:7], v[202:203], v[196:197]
	v_fma_f64 v[26:27], v[200:201], v[196:197], -v[26:27]
	v_add_f64 v[4:5], v[4:5], v[6:7]
	v_add_f64 v[2:3], v[2:3], v[26:27]
.LBB125_863:
	s_or_b64 exec, exec, s[12:13]
.LBB125_864:
	s_or_b64 exec, exec, s[8:9]
	v_mov_b32_e32 v6, 0
	ds_read_b128 v[196:199], v6 offset:48
	s_waitcnt lgkmcnt(0)
	v_mul_f64 v[6:7], v[4:5], v[198:199]
	v_mul_f64 v[200:201], v[2:3], v[198:199]
	v_fma_f64 v[198:199], v[2:3], v[196:197], -v[6:7]
	v_fmac_f64_e32 v[200:201], v[4:5], v[196:197]
	scratch_store_dwordx4 off, v[198:201], off offset:48
.LBB125_865:
	s_or_b64 exec, exec, s[6:7]
	scratch_load_dwordx4 v[2:5], v191, off
	v_cmp_gt_u32_e32 vcc, 4, v0
	s_waitcnt vmcnt(0)
	ds_write_b128 v9, v[2:5]
	s_waitcnt lgkmcnt(0)
	; wave barrier
	s_waitcnt lgkmcnt(0)
	s_and_saveexec_b64 s[6:7], vcc
	s_cbranch_execz .LBB125_873
; %bb.866:
	ds_read_b128 v[2:5], v9
	s_and_b64 vcc, exec, s[0:1]
	s_cbranch_vccnz .LBB125_868
; %bb.867:
	scratch_load_dwordx4 v[196:199], v8, off
	s_waitcnt vmcnt(0) lgkmcnt(0)
	v_mul_f64 v[26:27], v[2:3], v[198:199]
	v_mul_f64 v[6:7], v[4:5], v[198:199]
	v_fmac_f64_e32 v[26:27], v[4:5], v[196:197]
	v_fma_f64 v[2:3], v[2:3], v[196:197], -v[6:7]
	v_mov_b64_e32 v[4:5], v[26:27]
.LBB125_868:
	v_cmp_ne_u32_e32 vcc, 3, v0
	s_and_saveexec_b64 s[8:9], vcc
	s_cbranch_execz .LBB125_872
; %bb.869:
	v_mov_b32_e32 v7, 0
	v_add_u32_e32 v6, 0x3f0, v108
	v_add3_u32 v7, v108, v7, 24
	s_mov_b64 s[12:13], 0
	v_mov_b32_e32 v195, v0
.LBB125_870:                            ; =>This Inner Loop Header: Depth=1
	v_add_u32_e32 v13, -8, v7
	scratch_load_dwordx4 v[196:199], v13, off
	ds_read_b128 v[200:203], v6
	v_add_u32_e32 v195, 1, v195
	v_cmp_lt_u32_e32 vcc, 2, v195
	v_add_u32_e32 v6, 16, v6
	v_add_u32_e32 v7, 16, v7
	s_or_b64 s[12:13], vcc, s[12:13]
	s_waitcnt vmcnt(0) lgkmcnt(0)
	v_mul_f64 v[26:27], v[202:203], v[198:199]
	v_mul_f64 v[28:29], v[200:201], v[198:199]
	v_fma_f64 v[26:27], v[200:201], v[196:197], -v[26:27]
	v_fmac_f64_e32 v[28:29], v[202:203], v[196:197]
	v_add_f64 v[2:3], v[2:3], v[26:27]
	v_add_f64 v[4:5], v[4:5], v[28:29]
	s_andn2_b64 exec, exec, s[12:13]
	s_cbranch_execnz .LBB125_870
; %bb.871:
	s_or_b64 exec, exec, s[12:13]
.LBB125_872:
	s_or_b64 exec, exec, s[8:9]
	v_mov_b32_e32 v6, 0
	ds_read_b128 v[196:199], v6 offset:64
	s_waitcnt lgkmcnt(0)
	v_mul_f64 v[6:7], v[4:5], v[198:199]
	v_mul_f64 v[200:201], v[2:3], v[198:199]
	v_fma_f64 v[198:199], v[2:3], v[196:197], -v[6:7]
	v_fmac_f64_e32 v[200:201], v[4:5], v[196:197]
	scratch_store_dwordx4 off, v[198:201], off offset:64
.LBB125_873:
	s_or_b64 exec, exec, s[6:7]
	scratch_load_dwordx4 v[2:5], v190, off
	v_cmp_gt_u32_e64 s[6:7], 5, v0
	s_waitcnt vmcnt(0)
	ds_write_b128 v9, v[2:5]
	s_waitcnt lgkmcnt(0)
	; wave barrier
	s_waitcnt lgkmcnt(0)
	s_and_saveexec_b64 s[8:9], s[6:7]
	s_cbranch_execz .LBB125_881
; %bb.874:
	ds_read_b128 v[2:5], v9
	s_and_b64 vcc, exec, s[0:1]
	s_cbranch_vccnz .LBB125_876
; %bb.875:
	scratch_load_dwordx4 v[196:199], v8, off
	s_waitcnt vmcnt(0) lgkmcnt(0)
	v_mul_f64 v[26:27], v[2:3], v[198:199]
	v_mul_f64 v[6:7], v[4:5], v[198:199]
	v_fmac_f64_e32 v[26:27], v[4:5], v[196:197]
	v_fma_f64 v[2:3], v[2:3], v[196:197], -v[6:7]
	v_mov_b64_e32 v[4:5], v[26:27]
.LBB125_876:
	v_cmp_ne_u32_e32 vcc, 4, v0
	s_and_saveexec_b64 s[12:13], vcc
	s_cbranch_execz .LBB125_880
; %bb.877:
	v_mov_b32_e32 v7, 0
	v_add_u32_e32 v6, 0x3f0, v108
	v_add3_u32 v7, v108, v7, 24
	s_mov_b64 s[14:15], 0
	v_mov_b32_e32 v195, v0
.LBB125_878:                            ; =>This Inner Loop Header: Depth=1
	v_add_u32_e32 v13, -8, v7
	scratch_load_dwordx4 v[196:199], v13, off
	ds_read_b128 v[200:203], v6
	v_add_u32_e32 v195, 1, v195
	v_cmp_lt_u32_e32 vcc, 3, v195
	v_add_u32_e32 v6, 16, v6
	v_add_u32_e32 v7, 16, v7
	s_or_b64 s[14:15], vcc, s[14:15]
	s_waitcnt vmcnt(0) lgkmcnt(0)
	v_mul_f64 v[26:27], v[202:203], v[198:199]
	v_mul_f64 v[28:29], v[200:201], v[198:199]
	v_fma_f64 v[26:27], v[200:201], v[196:197], -v[26:27]
	v_fmac_f64_e32 v[28:29], v[202:203], v[196:197]
	v_add_f64 v[2:3], v[2:3], v[26:27]
	v_add_f64 v[4:5], v[4:5], v[28:29]
	s_andn2_b64 exec, exec, s[14:15]
	s_cbranch_execnz .LBB125_878
; %bb.879:
	s_or_b64 exec, exec, s[14:15]
.LBB125_880:
	s_or_b64 exec, exec, s[12:13]
	v_mov_b32_e32 v6, 0
	ds_read_b128 v[196:199], v6 offset:80
	s_waitcnt lgkmcnt(0)
	v_mul_f64 v[6:7], v[4:5], v[198:199]
	v_mul_f64 v[200:201], v[2:3], v[198:199]
	v_fma_f64 v[198:199], v[2:3], v[196:197], -v[6:7]
	v_fmac_f64_e32 v[200:201], v[4:5], v[196:197]
	scratch_store_dwordx4 off, v[198:201], off offset:80
.LBB125_881:
	s_or_b64 exec, exec, s[8:9]
	scratch_load_dwordx4 v[2:5], v189, off
	v_cmp_gt_u32_e32 vcc, 6, v0
	s_waitcnt vmcnt(0)
	ds_write_b128 v9, v[2:5]
	s_waitcnt lgkmcnt(0)
	; wave barrier
	s_waitcnt lgkmcnt(0)
	s_and_saveexec_b64 s[8:9], vcc
	s_cbranch_execz .LBB125_889
; %bb.882:
	ds_read_b128 v[2:5], v9
	s_and_b64 vcc, exec, s[0:1]
	s_cbranch_vccnz .LBB125_884
; %bb.883:
	scratch_load_dwordx4 v[196:199], v8, off
	s_waitcnt vmcnt(0) lgkmcnt(0)
	v_mul_f64 v[26:27], v[2:3], v[198:199]
	v_mul_f64 v[6:7], v[4:5], v[198:199]
	v_fmac_f64_e32 v[26:27], v[4:5], v[196:197]
	v_fma_f64 v[2:3], v[2:3], v[196:197], -v[6:7]
	v_mov_b64_e32 v[4:5], v[26:27]
.LBB125_884:
	v_cmp_ne_u32_e32 vcc, 5, v0
	s_and_saveexec_b64 s[12:13], vcc
	s_cbranch_execz .LBB125_888
; %bb.885:
	v_mov_b32_e32 v7, 0
	v_add_u32_e32 v6, 0x3f0, v108
	v_add3_u32 v7, v108, v7, 24
	s_mov_b64 s[14:15], 0
	v_mov_b32_e32 v195, v0
.LBB125_886:                            ; =>This Inner Loop Header: Depth=1
	v_add_u32_e32 v13, -8, v7
	scratch_load_dwordx4 v[196:199], v13, off
	ds_read_b128 v[200:203], v6
	v_add_u32_e32 v195, 1, v195
	v_cmp_lt_u32_e32 vcc, 4, v195
	v_add_u32_e32 v6, 16, v6
	v_add_u32_e32 v7, 16, v7
	s_or_b64 s[14:15], vcc, s[14:15]
	s_waitcnt vmcnt(0) lgkmcnt(0)
	v_mul_f64 v[26:27], v[202:203], v[198:199]
	v_mul_f64 v[28:29], v[200:201], v[198:199]
	v_fma_f64 v[26:27], v[200:201], v[196:197], -v[26:27]
	v_fmac_f64_e32 v[28:29], v[202:203], v[196:197]
	v_add_f64 v[2:3], v[2:3], v[26:27]
	v_add_f64 v[4:5], v[4:5], v[28:29]
	s_andn2_b64 exec, exec, s[14:15]
	s_cbranch_execnz .LBB125_886
; %bb.887:
	s_or_b64 exec, exec, s[14:15]
.LBB125_888:
	s_or_b64 exec, exec, s[12:13]
	v_mov_b32_e32 v6, 0
	ds_read_b128 v[196:199], v6 offset:96
	s_waitcnt lgkmcnt(0)
	v_mul_f64 v[6:7], v[4:5], v[198:199]
	v_mul_f64 v[200:201], v[2:3], v[198:199]
	v_fma_f64 v[198:199], v[2:3], v[196:197], -v[6:7]
	v_fmac_f64_e32 v[200:201], v[4:5], v[196:197]
	scratch_store_dwordx4 off, v[198:201], off offset:96
.LBB125_889:
	s_or_b64 exec, exec, s[8:9]
	scratch_load_dwordx4 v[2:5], v188, off
	v_cmp_gt_u32_e64 s[8:9], 7, v0
	s_waitcnt vmcnt(0)
	ds_write_b128 v9, v[2:5]
	s_waitcnt lgkmcnt(0)
	; wave barrier
	s_waitcnt lgkmcnt(0)
	s_and_saveexec_b64 s[12:13], s[8:9]
	s_cbranch_execz .LBB125_897
; %bb.890:
	ds_read_b128 v[2:5], v9
	s_and_b64 vcc, exec, s[0:1]
	s_cbranch_vccnz .LBB125_892
; %bb.891:
	scratch_load_dwordx4 v[196:199], v8, off
	s_waitcnt vmcnt(0) lgkmcnt(0)
	v_mul_f64 v[26:27], v[2:3], v[198:199]
	v_mul_f64 v[6:7], v[4:5], v[198:199]
	v_fmac_f64_e32 v[26:27], v[4:5], v[196:197]
	v_fma_f64 v[2:3], v[2:3], v[196:197], -v[6:7]
	v_mov_b64_e32 v[4:5], v[26:27]
.LBB125_892:
	v_cmp_ne_u32_e32 vcc, 6, v0
	s_and_saveexec_b64 s[14:15], vcc
	s_cbranch_execz .LBB125_896
; %bb.893:
	v_mov_b32_e32 v7, 0
	v_add_u32_e32 v6, 0x3f0, v108
	v_add3_u32 v7, v108, v7, 24
	s_mov_b64 s[16:17], 0
	v_mov_b32_e32 v195, v0
.LBB125_894:                            ; =>This Inner Loop Header: Depth=1
	v_add_u32_e32 v13, -8, v7
	scratch_load_dwordx4 v[196:199], v13, off
	ds_read_b128 v[200:203], v6
	v_add_u32_e32 v195, 1, v195
	v_cmp_lt_u32_e32 vcc, 5, v195
	v_add_u32_e32 v6, 16, v6
	v_add_u32_e32 v7, 16, v7
	s_or_b64 s[16:17], vcc, s[16:17]
	s_waitcnt vmcnt(0) lgkmcnt(0)
	v_mul_f64 v[26:27], v[202:203], v[198:199]
	v_mul_f64 v[28:29], v[200:201], v[198:199]
	v_fma_f64 v[26:27], v[200:201], v[196:197], -v[26:27]
	v_fmac_f64_e32 v[28:29], v[202:203], v[196:197]
	v_add_f64 v[2:3], v[2:3], v[26:27]
	v_add_f64 v[4:5], v[4:5], v[28:29]
	s_andn2_b64 exec, exec, s[16:17]
	s_cbranch_execnz .LBB125_894
; %bb.895:
	s_or_b64 exec, exec, s[16:17]
.LBB125_896:
	s_or_b64 exec, exec, s[14:15]
	v_mov_b32_e32 v6, 0
	ds_read_b128 v[196:199], v6 offset:112
	s_waitcnt lgkmcnt(0)
	v_mul_f64 v[6:7], v[4:5], v[198:199]
	v_mul_f64 v[200:201], v[2:3], v[198:199]
	v_fma_f64 v[198:199], v[2:3], v[196:197], -v[6:7]
	v_fmac_f64_e32 v[200:201], v[4:5], v[196:197]
	scratch_store_dwordx4 off, v[198:201], off offset:112
.LBB125_897:
	s_or_b64 exec, exec, s[12:13]
	scratch_load_dwordx4 v[2:5], v187, off
	v_cmp_gt_u32_e32 vcc, 8, v0
	s_waitcnt vmcnt(0)
	ds_write_b128 v9, v[2:5]
	s_waitcnt lgkmcnt(0)
	; wave barrier
	s_waitcnt lgkmcnt(0)
	s_and_saveexec_b64 s[12:13], vcc
	s_cbranch_execz .LBB125_905
; %bb.898:
	ds_read_b128 v[2:5], v9
	s_and_b64 vcc, exec, s[0:1]
	s_cbranch_vccnz .LBB125_900
; %bb.899:
	scratch_load_dwordx4 v[196:199], v8, off
	s_waitcnt vmcnt(0) lgkmcnt(0)
	v_mul_f64 v[26:27], v[2:3], v[198:199]
	v_mul_f64 v[6:7], v[4:5], v[198:199]
	v_fmac_f64_e32 v[26:27], v[4:5], v[196:197]
	v_fma_f64 v[2:3], v[2:3], v[196:197], -v[6:7]
	v_mov_b64_e32 v[4:5], v[26:27]
.LBB125_900:
	v_cmp_ne_u32_e32 vcc, 7, v0
	s_and_saveexec_b64 s[14:15], vcc
	s_cbranch_execz .LBB125_904
; %bb.901:
	v_mov_b32_e32 v7, 0
	v_add_u32_e32 v6, 0x3f0, v108
	v_add3_u32 v7, v108, v7, 24
	s_mov_b64 s[16:17], 0
	v_mov_b32_e32 v195, v0
.LBB125_902:                            ; =>This Inner Loop Header: Depth=1
	v_add_u32_e32 v13, -8, v7
	scratch_load_dwordx4 v[196:199], v13, off
	ds_read_b128 v[200:203], v6
	v_add_u32_e32 v195, 1, v195
	v_cmp_lt_u32_e32 vcc, 6, v195
	v_add_u32_e32 v6, 16, v6
	v_add_u32_e32 v7, 16, v7
	s_or_b64 s[16:17], vcc, s[16:17]
	s_waitcnt vmcnt(0) lgkmcnt(0)
	v_mul_f64 v[26:27], v[202:203], v[198:199]
	v_mul_f64 v[28:29], v[200:201], v[198:199]
	v_fma_f64 v[26:27], v[200:201], v[196:197], -v[26:27]
	v_fmac_f64_e32 v[28:29], v[202:203], v[196:197]
	v_add_f64 v[2:3], v[2:3], v[26:27]
	v_add_f64 v[4:5], v[4:5], v[28:29]
	s_andn2_b64 exec, exec, s[16:17]
	s_cbranch_execnz .LBB125_902
; %bb.903:
	s_or_b64 exec, exec, s[16:17]
.LBB125_904:
	s_or_b64 exec, exec, s[14:15]
	v_mov_b32_e32 v6, 0
	ds_read_b128 v[196:199], v6 offset:128
	s_waitcnt lgkmcnt(0)
	v_mul_f64 v[6:7], v[4:5], v[198:199]
	v_mul_f64 v[200:201], v[2:3], v[198:199]
	v_fma_f64 v[198:199], v[2:3], v[196:197], -v[6:7]
	v_fmac_f64_e32 v[200:201], v[4:5], v[196:197]
	scratch_store_dwordx4 off, v[198:201], off offset:128
.LBB125_905:
	s_or_b64 exec, exec, s[12:13]
	scratch_load_dwordx4 v[2:5], v186, off
	v_cmp_gt_u32_e32 vcc, 9, v0
	s_waitcnt vmcnt(0)
	ds_write_b128 v9, v[2:5]
	s_waitcnt lgkmcnt(0)
	; wave barrier
	s_waitcnt lgkmcnt(0)
	s_and_saveexec_b64 s[12:13], vcc
	s_cbranch_execz .LBB125_925
; %bb.906:
	ds_read_b128 v[2:5], v9
	s_and_b64 vcc, exec, s[0:1]
	s_cbranch_vccnz .LBB125_908
; %bb.907:
	scratch_load_dwordx4 v[196:199], v8, off
	s_waitcnt vmcnt(0) lgkmcnt(0)
	v_mul_f64 v[26:27], v[2:3], v[198:199]
	v_mul_f64 v[6:7], v[4:5], v[198:199]
	v_fmac_f64_e32 v[26:27], v[4:5], v[196:197]
	v_fma_f64 v[2:3], v[2:3], v[196:197], -v[6:7]
	v_mov_b64_e32 v[4:5], v[26:27]
.LBB125_908:
	v_cmp_ne_u32_e32 vcc, 8, v0
	s_and_saveexec_b64 s[14:15], vcc
	s_cbranch_execz .LBB125_924
; %bb.909:
	scratch_load_dwordx4 v[196:199], v8, off offset:16
	ds_read_b128 v[200:203], v9 offset:16
	s_waitcnt vmcnt(0) lgkmcnt(0)
	v_mul_f64 v[6:7], v[202:203], v[198:199]
	v_mul_f64 v[26:27], v[200:201], v[198:199]
	v_fma_f64 v[6:7], v[200:201], v[196:197], -v[6:7]
	v_fmac_f64_e32 v[26:27], v[202:203], v[196:197]
	v_add_f64 v[2:3], v[2:3], v[6:7]
	v_add_f64 v[4:5], v[4:5], v[26:27]
	s_and_saveexec_b64 s[16:17], s[8:9]
	s_cbranch_execz .LBB125_923
; %bb.910:
	scratch_load_dwordx4 v[196:199], v8, off offset:32
	ds_read_b128 v[200:203], v9 offset:32
	v_cmp_ne_u32_e32 vcc, 6, v0
	s_waitcnt vmcnt(0) lgkmcnt(0)
	v_mul_f64 v[6:7], v[202:203], v[198:199]
	v_mul_f64 v[26:27], v[200:201], v[198:199]
	v_fma_f64 v[6:7], v[200:201], v[196:197], -v[6:7]
	v_fmac_f64_e32 v[26:27], v[202:203], v[196:197]
	v_add_f64 v[2:3], v[2:3], v[6:7]
	v_add_f64 v[4:5], v[4:5], v[26:27]
	s_and_saveexec_b64 s[8:9], vcc
	s_cbranch_execz .LBB125_922
; %bb.911:
	scratch_load_dwordx4 v[196:199], v8, off offset:48
	ds_read_b128 v[200:203], v9 offset:48
	s_waitcnt vmcnt(0) lgkmcnt(0)
	v_mul_f64 v[6:7], v[202:203], v[198:199]
	v_mul_f64 v[26:27], v[200:201], v[198:199]
	v_fma_f64 v[6:7], v[200:201], v[196:197], -v[6:7]
	v_fmac_f64_e32 v[26:27], v[202:203], v[196:197]
	v_add_f64 v[2:3], v[2:3], v[6:7]
	v_add_f64 v[4:5], v[4:5], v[26:27]
	s_and_saveexec_b64 s[18:19], s[6:7]
	s_cbranch_execz .LBB125_921
; %bb.912:
	scratch_load_dwordx4 v[196:199], v8, off offset:64
	ds_read_b128 v[200:203], v9 offset:64
	v_cmp_ne_u32_e32 vcc, 4, v0
	s_waitcnt vmcnt(0) lgkmcnt(0)
	v_mul_f64 v[6:7], v[202:203], v[198:199]
	v_mul_f64 v[26:27], v[200:201], v[198:199]
	v_fma_f64 v[6:7], v[200:201], v[196:197], -v[6:7]
	v_fmac_f64_e32 v[26:27], v[202:203], v[196:197]
	v_add_f64 v[2:3], v[2:3], v[6:7]
	v_add_f64 v[4:5], v[4:5], v[26:27]
	;; [unrolled: 25-line block ×3, first 2 shown]
	s_and_saveexec_b64 s[4:5], vcc
	s_cbranch_execz .LBB125_918
; %bb.915:
	scratch_load_dwordx4 v[196:199], v8, off offset:112
	ds_read_b128 v[200:203], v9 offset:112
	s_waitcnt vmcnt(0) lgkmcnt(0)
	v_mul_f64 v[6:7], v[202:203], v[198:199]
	v_mul_f64 v[26:27], v[200:201], v[198:199]
	v_fma_f64 v[6:7], v[200:201], v[196:197], -v[6:7]
	v_fmac_f64_e32 v[26:27], v[202:203], v[196:197]
	v_add_f64 v[2:3], v[2:3], v[6:7]
	v_add_f64 v[4:5], v[4:5], v[26:27]
	s_and_saveexec_b64 s[22:23], s[2:3]
	s_cbranch_execz .LBB125_917
; %bb.916:
	scratch_load_dwordx4 v[196:199], v8, off offset:128
	ds_read_b128 v[200:203], v9 offset:128
	s_waitcnt vmcnt(0) lgkmcnt(0)
	v_mul_f64 v[6:7], v[202:203], v[198:199]
	v_mul_f64 v[26:27], v[200:201], v[198:199]
	v_fma_f64 v[6:7], v[200:201], v[196:197], -v[6:7]
	v_fmac_f64_e32 v[26:27], v[202:203], v[196:197]
	v_add_f64 v[2:3], v[2:3], v[6:7]
	v_add_f64 v[4:5], v[4:5], v[26:27]
.LBB125_917:
	s_or_b64 exec, exec, s[22:23]
.LBB125_918:
	s_or_b64 exec, exec, s[4:5]
.LBB125_919:
	s_or_b64 exec, exec, s[20:21]
.LBB125_920:
	s_or_b64 exec, exec, s[6:7]
.LBB125_921:
	s_or_b64 exec, exec, s[18:19]
.LBB125_922:
	s_or_b64 exec, exec, s[8:9]
.LBB125_923:
	s_or_b64 exec, exec, s[16:17]
.LBB125_924:
	s_or_b64 exec, exec, s[14:15]
	v_mov_b32_e32 v6, 0
	ds_read_b128 v[196:199], v6 offset:144
	s_waitcnt lgkmcnt(0)
	v_mul_f64 v[6:7], v[4:5], v[198:199]
	v_mul_f64 v[200:201], v[2:3], v[198:199]
	v_fma_f64 v[198:199], v[2:3], v[196:197], -v[6:7]
	v_fmac_f64_e32 v[200:201], v[4:5], v[196:197]
	scratch_store_dwordx4 off, v[198:201], off offset:144
.LBB125_925:
	s_or_b64 exec, exec, s[12:13]
	scratch_load_dwordx4 v[2:5], v185, off
	v_cmp_gt_u32_e32 vcc, 10, v0
	s_waitcnt vmcnt(0)
	ds_write_b128 v9, v[2:5]
	s_waitcnt lgkmcnt(0)
	; wave barrier
	s_waitcnt lgkmcnt(0)
	s_and_saveexec_b64 s[2:3], vcc
	s_cbranch_execz .LBB125_933
; %bb.926:
	ds_read_b128 v[2:5], v9
	s_and_b64 vcc, exec, s[0:1]
	s_cbranch_vccnz .LBB125_928
; %bb.927:
	scratch_load_dwordx4 v[196:199], v8, off
	s_waitcnt vmcnt(0) lgkmcnt(0)
	v_mul_f64 v[26:27], v[2:3], v[198:199]
	v_mul_f64 v[6:7], v[4:5], v[198:199]
	v_fmac_f64_e32 v[26:27], v[4:5], v[196:197]
	v_fma_f64 v[2:3], v[2:3], v[196:197], -v[6:7]
	v_mov_b64_e32 v[4:5], v[26:27]
.LBB125_928:
	v_cmp_ne_u32_e32 vcc, 9, v0
	s_and_saveexec_b64 s[4:5], vcc
	s_cbranch_execz .LBB125_932
; %bb.929:
	v_mov_b32_e32 v7, 0
	v_add_u32_e32 v6, 0x3f0, v108
	v_add3_u32 v7, v108, v7, 24
	s_mov_b64 s[6:7], 0
	v_mov_b32_e32 v195, v0
.LBB125_930:                            ; =>This Inner Loop Header: Depth=1
	v_add_u32_e32 v13, -8, v7
	scratch_load_dwordx4 v[196:199], v13, off
	ds_read_b128 v[200:203], v6
	v_add_u32_e32 v195, 1, v195
	v_cmp_lt_u32_e32 vcc, 8, v195
	v_add_u32_e32 v6, 16, v6
	v_add_u32_e32 v7, 16, v7
	s_or_b64 s[6:7], vcc, s[6:7]
	s_waitcnt vmcnt(0) lgkmcnt(0)
	v_mul_f64 v[26:27], v[202:203], v[198:199]
	v_mul_f64 v[28:29], v[200:201], v[198:199]
	v_fma_f64 v[26:27], v[200:201], v[196:197], -v[26:27]
	v_fmac_f64_e32 v[28:29], v[202:203], v[196:197]
	v_add_f64 v[2:3], v[2:3], v[26:27]
	v_add_f64 v[4:5], v[4:5], v[28:29]
	s_andn2_b64 exec, exec, s[6:7]
	s_cbranch_execnz .LBB125_930
; %bb.931:
	s_or_b64 exec, exec, s[6:7]
.LBB125_932:
	s_or_b64 exec, exec, s[4:5]
	v_mov_b32_e32 v6, 0
	ds_read_b128 v[196:199], v6 offset:160
	s_waitcnt lgkmcnt(0)
	v_mul_f64 v[6:7], v[4:5], v[198:199]
	v_mul_f64 v[200:201], v[2:3], v[198:199]
	v_fma_f64 v[198:199], v[2:3], v[196:197], -v[6:7]
	v_fmac_f64_e32 v[200:201], v[4:5], v[196:197]
	scratch_store_dwordx4 off, v[198:201], off offset:160
.LBB125_933:
	s_or_b64 exec, exec, s[2:3]
	scratch_load_dwordx4 v[2:5], v184, off
	v_cmp_gt_u32_e32 vcc, 11, v0
	s_waitcnt vmcnt(0)
	ds_write_b128 v9, v[2:5]
	s_waitcnt lgkmcnt(0)
	; wave barrier
	s_waitcnt lgkmcnt(0)
	s_and_saveexec_b64 s[2:3], vcc
	s_cbranch_execz .LBB125_941
; %bb.934:
	ds_read_b128 v[2:5], v9
	s_and_b64 vcc, exec, s[0:1]
	s_cbranch_vccnz .LBB125_936
; %bb.935:
	scratch_load_dwordx4 v[196:199], v8, off
	s_waitcnt vmcnt(0) lgkmcnt(0)
	v_mul_f64 v[26:27], v[2:3], v[198:199]
	v_mul_f64 v[6:7], v[4:5], v[198:199]
	v_fmac_f64_e32 v[26:27], v[4:5], v[196:197]
	v_fma_f64 v[2:3], v[2:3], v[196:197], -v[6:7]
	v_mov_b64_e32 v[4:5], v[26:27]
.LBB125_936:
	v_cmp_ne_u32_e32 vcc, 10, v0
	s_and_saveexec_b64 s[4:5], vcc
	s_cbranch_execz .LBB125_940
; %bb.937:
	v_mov_b32_e32 v7, 0
	v_add_u32_e32 v6, 0x3f0, v108
	v_add3_u32 v7, v108, v7, 24
	s_mov_b64 s[6:7], 0
	v_mov_b32_e32 v195, v0
.LBB125_938:                            ; =>This Inner Loop Header: Depth=1
	v_add_u32_e32 v13, -8, v7
	scratch_load_dwordx4 v[196:199], v13, off
	ds_read_b128 v[200:203], v6
	v_add_u32_e32 v195, 1, v195
	v_cmp_lt_u32_e32 vcc, 9, v195
	v_add_u32_e32 v6, 16, v6
	v_add_u32_e32 v7, 16, v7
	s_or_b64 s[6:7], vcc, s[6:7]
	s_waitcnt vmcnt(0) lgkmcnt(0)
	v_mul_f64 v[26:27], v[202:203], v[198:199]
	v_mul_f64 v[28:29], v[200:201], v[198:199]
	v_fma_f64 v[26:27], v[200:201], v[196:197], -v[26:27]
	v_fmac_f64_e32 v[28:29], v[202:203], v[196:197]
	v_add_f64 v[2:3], v[2:3], v[26:27]
	v_add_f64 v[4:5], v[4:5], v[28:29]
	s_andn2_b64 exec, exec, s[6:7]
	s_cbranch_execnz .LBB125_938
; %bb.939:
	s_or_b64 exec, exec, s[6:7]
.LBB125_940:
	s_or_b64 exec, exec, s[4:5]
	v_mov_b32_e32 v6, 0
	ds_read_b128 v[196:199], v6 offset:176
	s_waitcnt lgkmcnt(0)
	v_mul_f64 v[6:7], v[4:5], v[198:199]
	v_mul_f64 v[200:201], v[2:3], v[198:199]
	v_fma_f64 v[198:199], v[2:3], v[196:197], -v[6:7]
	v_fmac_f64_e32 v[200:201], v[4:5], v[196:197]
	scratch_store_dwordx4 off, v[198:201], off offset:176
.LBB125_941:
	;; [unrolled: 63-line block ×9, first 2 shown]
	s_or_b64 exec, exec, s[2:3]
	scratch_load_dwordx4 v[2:5], v176, off
	v_cmp_gt_u32_e32 vcc, 19, v0
	s_waitcnt vmcnt(0)
	ds_write_b128 v9, v[2:5]
	s_waitcnt lgkmcnt(0)
	; wave barrier
	s_waitcnt lgkmcnt(0)
	s_and_saveexec_b64 s[2:3], vcc
	s_cbranch_execz .LBB125_1005
; %bb.998:
	ds_read_b128 v[2:5], v9
	s_and_b64 vcc, exec, s[0:1]
	s_cbranch_vccnz .LBB125_1000
; %bb.999:
	scratch_load_dwordx4 v[196:199], v8, off
	s_waitcnt vmcnt(0) lgkmcnt(0)
	v_mul_f64 v[26:27], v[2:3], v[198:199]
	v_mul_f64 v[6:7], v[4:5], v[198:199]
	v_fmac_f64_e32 v[26:27], v[4:5], v[196:197]
	v_fma_f64 v[2:3], v[2:3], v[196:197], -v[6:7]
	v_mov_b64_e32 v[4:5], v[26:27]
.LBB125_1000:
	v_cmp_ne_u32_e32 vcc, 18, v0
	s_and_saveexec_b64 s[4:5], vcc
	s_cbranch_execz .LBB125_1004
; %bb.1001:
	v_mov_b32_e32 v7, 0
	v_add_u32_e32 v6, 0x3f0, v108
	v_add3_u32 v7, v108, v7, 24
	s_mov_b64 s[6:7], 0
	v_mov_b32_e32 v195, v0
.LBB125_1002:                           ; =>This Inner Loop Header: Depth=1
	v_add_u32_e32 v13, -8, v7
	scratch_load_dwordx4 v[196:199], v13, off
	ds_read_b128 v[200:203], v6
	v_add_u32_e32 v195, 1, v195
	v_cmp_lt_u32_e32 vcc, 17, v195
	v_add_u32_e32 v6, 16, v6
	v_add_u32_e32 v7, 16, v7
	s_or_b64 s[6:7], vcc, s[6:7]
	s_waitcnt vmcnt(0) lgkmcnt(0)
	v_mul_f64 v[26:27], v[202:203], v[198:199]
	v_mul_f64 v[28:29], v[200:201], v[198:199]
	v_fma_f64 v[26:27], v[200:201], v[196:197], -v[26:27]
	v_fmac_f64_e32 v[28:29], v[202:203], v[196:197]
	v_add_f64 v[2:3], v[2:3], v[26:27]
	v_add_f64 v[4:5], v[4:5], v[28:29]
	s_andn2_b64 exec, exec, s[6:7]
	s_cbranch_execnz .LBB125_1002
; %bb.1003:
	s_or_b64 exec, exec, s[6:7]
.LBB125_1004:
	s_or_b64 exec, exec, s[4:5]
	v_mov_b32_e32 v6, 0
	ds_read_b128 v[196:199], v6 offset:304
	s_waitcnt lgkmcnt(0)
	v_mul_f64 v[6:7], v[4:5], v[198:199]
	v_mul_f64 v[200:201], v[2:3], v[198:199]
	v_fma_f64 v[198:199], v[2:3], v[196:197], -v[6:7]
	v_fmac_f64_e32 v[200:201], v[4:5], v[196:197]
	scratch_store_dwordx4 off, v[198:201], off offset:304
.LBB125_1005:
	s_or_b64 exec, exec, s[2:3]
	scratch_load_dwordx4 v[2:5], v175, off
	v_cmp_gt_u32_e32 vcc, 20, v0
	s_waitcnt vmcnt(0)
	ds_write_b128 v9, v[2:5]
	s_waitcnt lgkmcnt(0)
	; wave barrier
	s_waitcnt lgkmcnt(0)
	s_and_saveexec_b64 s[2:3], vcc
	s_cbranch_execz .LBB125_1013
; %bb.1006:
	ds_read_b128 v[2:5], v9
	s_and_b64 vcc, exec, s[0:1]
	s_cbranch_vccnz .LBB125_1008
; %bb.1007:
	scratch_load_dwordx4 v[196:199], v8, off
	s_waitcnt vmcnt(0) lgkmcnt(0)
	v_mul_f64 v[26:27], v[2:3], v[198:199]
	v_mul_f64 v[6:7], v[4:5], v[198:199]
	v_fmac_f64_e32 v[26:27], v[4:5], v[196:197]
	v_fma_f64 v[2:3], v[2:3], v[196:197], -v[6:7]
	v_mov_b64_e32 v[4:5], v[26:27]
.LBB125_1008:
	v_cmp_ne_u32_e32 vcc, 19, v0
	s_and_saveexec_b64 s[4:5], vcc
	s_cbranch_execz .LBB125_1012
; %bb.1009:
	v_mov_b32_e32 v7, 0
	v_add_u32_e32 v6, 0x3f0, v108
	v_add3_u32 v7, v108, v7, 24
	s_mov_b64 s[6:7], 0
	v_mov_b32_e32 v195, v0
.LBB125_1010:                           ; =>This Inner Loop Header: Depth=1
	v_add_u32_e32 v13, -8, v7
	scratch_load_dwordx4 v[196:199], v13, off
	ds_read_b128 v[200:203], v6
	v_add_u32_e32 v195, 1, v195
	v_cmp_lt_u32_e32 vcc, 18, v195
	v_add_u32_e32 v6, 16, v6
	v_add_u32_e32 v7, 16, v7
	s_or_b64 s[6:7], vcc, s[6:7]
	s_waitcnt vmcnt(0) lgkmcnt(0)
	v_mul_f64 v[26:27], v[202:203], v[198:199]
	v_mul_f64 v[28:29], v[200:201], v[198:199]
	v_fma_f64 v[26:27], v[200:201], v[196:197], -v[26:27]
	v_fmac_f64_e32 v[28:29], v[202:203], v[196:197]
	v_add_f64 v[2:3], v[2:3], v[26:27]
	v_add_f64 v[4:5], v[4:5], v[28:29]
	s_andn2_b64 exec, exec, s[6:7]
	s_cbranch_execnz .LBB125_1010
; %bb.1011:
	s_or_b64 exec, exec, s[6:7]
.LBB125_1012:
	s_or_b64 exec, exec, s[4:5]
	v_mov_b32_e32 v6, 0
	ds_read_b128 v[196:199], v6 offset:320
	s_waitcnt lgkmcnt(0)
	v_mul_f64 v[6:7], v[4:5], v[198:199]
	v_mul_f64 v[200:201], v[2:3], v[198:199]
	v_fma_f64 v[198:199], v[2:3], v[196:197], -v[6:7]
	v_fmac_f64_e32 v[200:201], v[4:5], v[196:197]
	scratch_store_dwordx4 off, v[198:201], off offset:320
.LBB125_1013:
	;; [unrolled: 63-line block ×41, first 2 shown]
	s_or_b64 exec, exec, s[2:3]
	scratch_load_dwordx4 v[2:5], v140, off
	v_cmp_gt_u32_e64 s[2:3], 60, v0
	s_waitcnt vmcnt(0)
	ds_write_b128 v9, v[2:5]
	s_waitcnt lgkmcnt(0)
	; wave barrier
	s_waitcnt lgkmcnt(0)
	s_and_saveexec_b64 s[4:5], s[2:3]
	s_cbranch_execz .LBB125_1333
; %bb.1326:
	ds_read_b128 v[2:5], v9
	s_and_b64 vcc, exec, s[0:1]
	s_cbranch_vccnz .LBB125_1328
; %bb.1327:
	scratch_load_dwordx4 v[196:199], v8, off
	s_waitcnt vmcnt(0) lgkmcnt(0)
	v_mul_f64 v[26:27], v[2:3], v[198:199]
	v_mul_f64 v[6:7], v[4:5], v[198:199]
	v_fmac_f64_e32 v[26:27], v[4:5], v[196:197]
	v_fma_f64 v[2:3], v[2:3], v[196:197], -v[6:7]
	v_mov_b64_e32 v[4:5], v[26:27]
.LBB125_1328:
	v_cmp_ne_u32_e32 vcc, 59, v0
	s_and_saveexec_b64 s[6:7], vcc
	s_cbranch_execz .LBB125_1332
; %bb.1329:
	v_mov_b32_e32 v7, 0
	v_add_u32_e32 v6, 0x3f0, v108
	v_add3_u32 v7, v108, v7, 24
	s_mov_b64 s[8:9], 0
	v_mov_b32_e32 v195, v0
.LBB125_1330:                           ; =>This Inner Loop Header: Depth=1
	v_add_u32_e32 v13, -8, v7
	scratch_load_dwordx4 v[196:199], v13, off
	ds_read_b128 v[200:203], v6
	v_add_u32_e32 v195, 1, v195
	v_cmp_lt_u32_e32 vcc, 58, v195
	v_add_u32_e32 v6, 16, v6
	v_add_u32_e32 v7, 16, v7
	s_or_b64 s[8:9], vcc, s[8:9]
	s_waitcnt vmcnt(0) lgkmcnt(0)
	v_mul_f64 v[26:27], v[202:203], v[198:199]
	v_mul_f64 v[28:29], v[200:201], v[198:199]
	v_fma_f64 v[26:27], v[200:201], v[196:197], -v[26:27]
	v_fmac_f64_e32 v[28:29], v[202:203], v[196:197]
	v_add_f64 v[2:3], v[2:3], v[26:27]
	v_add_f64 v[4:5], v[4:5], v[28:29]
	s_andn2_b64 exec, exec, s[8:9]
	s_cbranch_execnz .LBB125_1330
; %bb.1331:
	s_or_b64 exec, exec, s[8:9]
.LBB125_1332:
	s_or_b64 exec, exec, s[6:7]
	v_mov_b32_e32 v6, 0
	ds_read_b128 v[196:199], v6 offset:960
	s_waitcnt lgkmcnt(0)
	v_mul_f64 v[6:7], v[4:5], v[198:199]
	v_mul_f64 v[200:201], v[2:3], v[198:199]
	v_fma_f64 v[198:199], v[2:3], v[196:197], -v[6:7]
	v_fmac_f64_e32 v[200:201], v[4:5], v[196:197]
	scratch_store_dwordx4 off, v[198:201], off offset:960
.LBB125_1333:
	s_or_b64 exec, exec, s[4:5]
	scratch_load_dwordx4 v[2:5], v1, off
	v_cmp_ne_u32_e32 vcc, 61, v0
                                        ; implicit-def: $vgpr6_vgpr7
                                        ; implicit-def: $vgpr195
	s_waitcnt vmcnt(0)
	ds_write_b128 v9, v[2:5]
	s_waitcnt lgkmcnt(0)
	; wave barrier
	s_waitcnt lgkmcnt(0)
	s_and_saveexec_b64 s[4:5], vcc
	s_cbranch_execz .LBB125_1341
; %bb.1334:
	ds_read_b128 v[2:5], v9
	s_and_b64 vcc, exec, s[0:1]
	s_cbranch_vccnz .LBB125_1336
; %bb.1335:
	scratch_load_dwordx4 v[6:9], v8, off
	s_waitcnt vmcnt(0) lgkmcnt(0)
	v_mul_f64 v[26:27], v[4:5], v[8:9]
	v_mul_f64 v[8:9], v[2:3], v[8:9]
	v_fmac_f64_e32 v[8:9], v[4:5], v[6:7]
	v_fma_f64 v[2:3], v[2:3], v[6:7], -v[26:27]
	v_mov_b64_e32 v[4:5], v[8:9]
.LBB125_1336:
	s_and_saveexec_b64 s[0:1], s[2:3]
	s_cbranch_execz .LBB125_1340
; %bb.1337:
	v_mov_b32_e32 v7, 0
	v_add_u32_e32 v6, 0x3f0, v108
	v_add3_u32 v7, v108, v7, 24
	s_mov_b64 s[2:3], 0
.LBB125_1338:                           ; =>This Inner Loop Header: Depth=1
	v_add_u32_e32 v8, -8, v7
	scratch_load_dwordx4 v[196:199], v8, off
	ds_read_b128 v[200:203], v6
	v_add_u32_e32 v0, 1, v0
	v_cmp_lt_u32_e32 vcc, 59, v0
	v_add_u32_e32 v6, 16, v6
	v_add_u32_e32 v7, 16, v7
	s_or_b64 s[2:3], vcc, s[2:3]
	s_waitcnt vmcnt(0) lgkmcnt(0)
	v_mul_f64 v[8:9], v[202:203], v[198:199]
	v_mul_f64 v[26:27], v[200:201], v[198:199]
	v_fma_f64 v[8:9], v[200:201], v[196:197], -v[8:9]
	v_fmac_f64_e32 v[26:27], v[202:203], v[196:197]
	v_add_f64 v[2:3], v[2:3], v[8:9]
	v_add_f64 v[4:5], v[4:5], v[26:27]
	s_andn2_b64 exec, exec, s[2:3]
	s_cbranch_execnz .LBB125_1338
; %bb.1339:
	s_or_b64 exec, exec, s[2:3]
.LBB125_1340:
	s_or_b64 exec, exec, s[0:1]
	v_mov_b32_e32 v0, 0
	ds_read_b128 v[196:199], v0 offset:976
	v_mov_b32_e32 v0, 0
	v_add_u32_e32 v195, 0x3d8, v0
	s_or_b64 s[10:11], s[10:11], exec
	s_waitcnt lgkmcnt(0)
	v_mul_f64 v[8:9], v[4:5], v[198:199]
	v_mul_f64 v[6:7], v[2:3], v[198:199]
	v_fma_f64 v[2:3], v[2:3], v[196:197], -v[8:9]
	v_fmac_f64_e32 v[6:7], v[4:5], v[196:197]
	scratch_store_dwordx2 off, v[2:3], off offset:976
.LBB125_1341:
	s_or_b64 exec, exec, s[4:5]
.LBB125_1342:
	v_mov_b32_e32 v27, v216
	v_mov_b32_e32 v26, v145
	;; [unrolled: 1-line block ×4, first 2 shown]
	v_accvgpr_write_b32 a6, v142
	v_mov_b32_e32 v108, v141
	v_mov_b32_e32 v0, v140
	s_and_saveexec_b64 s[0:1], s[10:11]
	s_cbranch_execz .LBB125_1344
; %bb.1343:
	scratch_store_dwordx2 v195, v[6:7], off
.LBB125_1344:
	s_or_b64 exec, exec, s[0:1]
	scratch_load_dwordx4 v[2:5], off, off
	scratch_load_dwordx4 v[6:9], v194, off
	s_nop 0
	scratch_load_dwordx4 v[194:197], v193, off
	scratch_load_dwordx4 v[198:201], v192, off
	scratch_load_dwordx4 v[202:205], v191, off
	s_nop 0
	scratch_load_dwordx4 v[190:193], v190, off
	s_nop 0
	scratch_load_dwordx4 v[206:209], v189, off
	scratch_load_dwordx4 v[210:213], v188, off
	scratch_load_dwordx4 v[214:217], v187, off
	s_nop 0
	;; [unrolled: 6-line block ×5, first 2 shown]
	scratch_load_dwordx4 v[174:177], v174, off
	s_waitcnt vmcnt(21)
	global_store_dwordx4 v[22:23], v[2:5], off
	scratch_load_dwordx4 v[2:5], v173, off
	s_nop 0
	scratch_load_dwordx4 v[138:141], v172, off
	s_waitcnt vmcnt(23)
	global_store_dwordx4 v[18:19], v[6:9], off
	scratch_load_dwordx4 v[6:9], v171, off
	s_nop 0
	;; [unrolled: 5-line block ×6, first 2 shown]
	scratch_load_dwordx4 v[162:165], v162, off
	s_waitcnt vmcnt(33)
	global_store_dwordx4 v[60:61], v[206:209], off
	scratch_load_dwordx4 v[190:193], v161, off
	scratch_load_dwordx4 v[202:205], v160, off
	s_waitcnt vmcnt(35)
	global_store_dwordx4 v[62:63], v[210:213], off
	scratch_load_dwordx4 v[60:63], v159, off
	s_nop 0
	scratch_load_dwordx4 v[158:161], v158, off
	s_waitcnt vmcnt(37)
	global_store_dwordx4 v[54:55], v[214:217], off
	scratch_load_dwordx4 v[206:209], v157, off
	scratch_load_dwordx4 v[210:213], v156, off
	s_waitcnt vmcnt(39)
	global_store_dwordx4 v[58:59], v[186:189], off
	scratch_load_dwordx4 v[186:189], v155, off
	s_nop 0
	scratch_load_dwordx4 v[154:157], v154, off
	s_waitcnt vmcnt(41)
	global_store_dwordx4 v[48:49], v[218:221], off
	scratch_load_dwordx4 v[214:217], v153, off
	s_nop 0
	;; [unrolled: 5-line block ×9, first 2 shown]
	scratch_load_dwordx4 v[178:181], v36, off
	v_accvgpr_read_b32 v37, a5
	v_accvgpr_read_b32 v36, a4
	s_waitcnt vmcnt(57)
	global_store_dwordx4 v[36:37], v[242:245], off
	v_accvgpr_read_b32 v36, a6
	scratch_load_dwordx4 v[242:245], v36, off
	s_nop 0
	scratch_load_dwordx4 v[36:39], v108, off
	s_waitcnt vmcnt(59)
	global_store_dwordx4 v[40:41], v[246:249], off
	scratch_load_dwordx4 v[246:249], v0, off
	s_nop 0
	scratch_load_dwordx4 v[40:43], v1, off
	v_accvgpr_read_b32 v0, a2
	v_accvgpr_read_b32 v1, a3
	s_waitcnt vmcnt(61)
	global_store_dwordx4 v[0:1], v[250:253], off
	s_waitcnt vmcnt(61)
	global_store_dwordx4 v[254:255], v[174:177], off
	;; [unrolled: 2-line block ×41, first 2 shown]
	v_accvgpr_read_b32 v0, a0
	v_accvgpr_read_b32 v1, a1
	s_waitcnt vmcnt(41)
	global_store_dwordx4 v[0:1], v[40:43], off
.LBB125_1345:
	s_endpgm
	.section	.rodata,"a",@progbits
	.p2align	6, 0x0
	.amdhsa_kernel _ZN9rocsolver6v33100L18trti2_kernel_smallILi62E19rocblas_complex_numIdEPKPS3_EEv13rocblas_fill_17rocblas_diagonal_T1_iil
		.amdhsa_group_segment_fixed_size 1984
		.amdhsa_private_segment_fixed_size 1008
		.amdhsa_kernarg_size 32
		.amdhsa_user_sgpr_count 2
		.amdhsa_user_sgpr_dispatch_ptr 0
		.amdhsa_user_sgpr_queue_ptr 0
		.amdhsa_user_sgpr_kernarg_segment_ptr 1
		.amdhsa_user_sgpr_dispatch_id 0
		.amdhsa_user_sgpr_kernarg_preload_length 0
		.amdhsa_user_sgpr_kernarg_preload_offset 0
		.amdhsa_user_sgpr_private_segment_size 0
		.amdhsa_uses_dynamic_stack 0
		.amdhsa_enable_private_segment 1
		.amdhsa_system_sgpr_workgroup_id_x 1
		.amdhsa_system_sgpr_workgroup_id_y 0
		.amdhsa_system_sgpr_workgroup_id_z 0
		.amdhsa_system_sgpr_workgroup_info 0
		.amdhsa_system_vgpr_workitem_id 0
		.amdhsa_next_free_vgpr 263
		.amdhsa_next_free_sgpr 24
		.amdhsa_accum_offset 256
		.amdhsa_reserve_vcc 1
		.amdhsa_float_round_mode_32 0
		.amdhsa_float_round_mode_16_64 0
		.amdhsa_float_denorm_mode_32 3
		.amdhsa_float_denorm_mode_16_64 3
		.amdhsa_dx10_clamp 1
		.amdhsa_ieee_mode 1
		.amdhsa_fp16_overflow 0
		.amdhsa_tg_split 0
		.amdhsa_exception_fp_ieee_invalid_op 0
		.amdhsa_exception_fp_denorm_src 0
		.amdhsa_exception_fp_ieee_div_zero 0
		.amdhsa_exception_fp_ieee_overflow 0
		.amdhsa_exception_fp_ieee_underflow 0
		.amdhsa_exception_fp_ieee_inexact 0
		.amdhsa_exception_int_div_zero 0
	.end_amdhsa_kernel
	.section	.text._ZN9rocsolver6v33100L18trti2_kernel_smallILi62E19rocblas_complex_numIdEPKPS3_EEv13rocblas_fill_17rocblas_diagonal_T1_iil,"axG",@progbits,_ZN9rocsolver6v33100L18trti2_kernel_smallILi62E19rocblas_complex_numIdEPKPS3_EEv13rocblas_fill_17rocblas_diagonal_T1_iil,comdat
.Lfunc_end125:
	.size	_ZN9rocsolver6v33100L18trti2_kernel_smallILi62E19rocblas_complex_numIdEPKPS3_EEv13rocblas_fill_17rocblas_diagonal_T1_iil, .Lfunc_end125-_ZN9rocsolver6v33100L18trti2_kernel_smallILi62E19rocblas_complex_numIdEPKPS3_EEv13rocblas_fill_17rocblas_diagonal_T1_iil
                                        ; -- End function
	.section	.AMDGPU.csdata,"",@progbits
; Kernel info:
; codeLenInByte = 81612
; NumSgprs: 30
; NumVgprs: 256
; NumAgprs: 7
; TotalNumVgprs: 263
; ScratchSize: 1008
; MemoryBound: 0
; FloatMode: 240
; IeeeMode: 1
; LDSByteSize: 1984 bytes/workgroup (compile time only)
; SGPRBlocks: 3
; VGPRBlocks: 32
; NumSGPRsForWavesPerEU: 30
; NumVGPRsForWavesPerEU: 263
; AccumOffset: 256
; Occupancy: 1
; WaveLimiterHint : 1
; COMPUTE_PGM_RSRC2:SCRATCH_EN: 1
; COMPUTE_PGM_RSRC2:USER_SGPR: 2
; COMPUTE_PGM_RSRC2:TRAP_HANDLER: 0
; COMPUTE_PGM_RSRC2:TGID_X_EN: 1
; COMPUTE_PGM_RSRC2:TGID_Y_EN: 0
; COMPUTE_PGM_RSRC2:TGID_Z_EN: 0
; COMPUTE_PGM_RSRC2:TIDIG_COMP_CNT: 0
; COMPUTE_PGM_RSRC3_GFX90A:ACCUM_OFFSET: 63
; COMPUTE_PGM_RSRC3_GFX90A:TG_SPLIT: 0
	.section	.text._ZN9rocsolver6v33100L18trti2_kernel_smallILi63E19rocblas_complex_numIdEPKPS3_EEv13rocblas_fill_17rocblas_diagonal_T1_iil,"axG",@progbits,_ZN9rocsolver6v33100L18trti2_kernel_smallILi63E19rocblas_complex_numIdEPKPS3_EEv13rocblas_fill_17rocblas_diagonal_T1_iil,comdat
	.globl	_ZN9rocsolver6v33100L18trti2_kernel_smallILi63E19rocblas_complex_numIdEPKPS3_EEv13rocblas_fill_17rocblas_diagonal_T1_iil ; -- Begin function _ZN9rocsolver6v33100L18trti2_kernel_smallILi63E19rocblas_complex_numIdEPKPS3_EEv13rocblas_fill_17rocblas_diagonal_T1_iil
	.p2align	8
	.type	_ZN9rocsolver6v33100L18trti2_kernel_smallILi63E19rocblas_complex_numIdEPKPS3_EEv13rocblas_fill_17rocblas_diagonal_T1_iil,@function
_ZN9rocsolver6v33100L18trti2_kernel_smallILi63E19rocblas_complex_numIdEPKPS3_EEv13rocblas_fill_17rocblas_diagonal_T1_iil: ; @_ZN9rocsolver6v33100L18trti2_kernel_smallILi63E19rocblas_complex_numIdEPKPS3_EEv13rocblas_fill_17rocblas_diagonal_T1_iil
; %bb.0:
	v_cmp_gt_u32_e32 vcc, 63, v0
	s_and_saveexec_b64 s[4:5], vcc
	s_cbranch_execz .LBB126_1367
; %bb.1:
	s_load_dwordx2 s[8:9], s[0:1], 0x10
	s_load_dwordx4 s[4:7], s[0:1], 0x0
	s_ashr_i32 s3, s2, 31
	s_lshl_b64 s[0:1], s[2:3], 3
	v_lshlrev_b32_e32 v86, 4, v0
	s_waitcnt lgkmcnt(0)
	s_ashr_i32 s3, s8, 31
	s_add_u32 s0, s6, s0
	s_addc_u32 s1, s7, s1
	s_load_dwordx2 s[0:1], s[0:1], 0x0
	s_mov_b32 s2, s8
	s_lshl_b64 s[2:3], s[2:3], 4
	v_mov_b32_e32 v87, 0
	v_mov_b32_e32 v1, 0
	s_waitcnt lgkmcnt(0)
	s_add_u32 s0, s0, s2
	s_addc_u32 s1, s1, s3
	v_lshl_add_u64 v[22:23], s[0:1], 0, v[86:87]
	s_ashr_i32 s3, s9, 31
	s_mov_b32 s2, s9
	v_lshl_add_u64 v[24:25], s[2:3], 4, v[22:23]
	s_add_i32 s2, s9, s9
	v_add_u32_e32 v14, s2, v0
	v_ashrrev_i32_e32 v15, 31, v14
	v_lshl_add_u64 v[26:27], v[14:15], 4, s[0:1]
	v_add_u32_e32 v14, s9, v14
	v_add_u32_e32 v32, s9, v14
	;; [unrolled: 1-line block ×5, first 2 shown]
	v_ashrrev_i32_e32 v33, 31, v32
	v_ashrrev_i32_e32 v35, 31, v34
	;; [unrolled: 1-line block ×4, first 2 shown]
	v_lshl_add_u64 v[30:31], v[32:33], 4, s[0:1]
	v_lshl_add_u64 v[32:33], v[34:35], 4, s[0:1]
	;; [unrolled: 1-line block ×4, first 2 shown]
	v_add_u32_e32 v38, s9, v38
	v_add_u32_e32 v40, s9, v38
	;; [unrolled: 1-line block ×6, first 2 shown]
	v_ashrrev_i32_e32 v51, 31, v50
	v_lshl_add_u64 v[48:49], v[50:51], 4, s[0:1]
	v_add_u32_e32 v50, s9, v50
	v_add_u32_e32 v52, s9, v50
	;; [unrolled: 1-line block ×4, first 2 shown]
	v_ashrrev_i32_e32 v59, 31, v58
	v_lshl_add_u64 v[56:57], v[58:59], 4, s[0:1]
	v_add_u32_e32 v58, s9, v58
	v_add_u32_e32 v60, s9, v58
	;; [unrolled: 1-line block ×3, first 2 shown]
	v_ashrrev_i32_e32 v65, 31, v64
	v_lshl_add_u64 v[62:63], v[64:65], 4, s[0:1]
	v_add_u32_e32 v64, s9, v64
	v_ashrrev_i32_e32 v65, 31, v64
	v_lshl_add_u64 v[68:69], v[64:65], 4, s[0:1]
	v_add_u32_e32 v64, s9, v64
	v_ashrrev_i32_e32 v65, 31, v64
	v_ashrrev_i32_e32 v15, 31, v14
	;; [unrolled: 1-line block ×6, first 2 shown]
	v_lshl_add_u64 v[66:67], v[64:65], 4, s[0:1]
	v_add_u32_e32 v64, s9, v64
	v_lshl_add_u64 v[28:29], v[14:15], 4, s[0:1]
	v_ashrrev_i32_e32 v39, 31, v38
	v_lshl_add_u64 v[40:41], v[40:41], 4, s[0:1]
	v_ashrrev_i32_e32 v43, 31, v42
	;; [unrolled: 2-line block ×3, first 2 shown]
	v_ashrrev_i32_e32 v51, 31, v50
	v_lshl_add_u64 v[52:53], v[52:53], 4, s[0:1]
	v_ashrrev_i32_e32 v55, 31, v54
	v_ashrrev_i32_e32 v59, 31, v58
	v_lshl_add_u64 v[60:61], v[60:61], 4, s[0:1]
	v_accvgpr_write_b32 a0, v68
	v_ashrrev_i32_e32 v65, 31, v64
	global_load_dwordx4 v[2:5], v86, s[0:1]
	global_load_dwordx4 v[6:9], v[24:25], off
	global_load_dwordx4 v[10:13], v[26:27], off
	;; [unrolled: 1-line block ×6, first 2 shown]
	v_lshl_add_u64 v[38:39], v[38:39], 4, s[0:1]
	global_load_dwordx4 v[98:101], v[36:37], off
	global_load_dwordx4 v[102:105], v[38:39], off
	v_lshl_add_u64 v[42:43], v[42:43], 4, s[0:1]
	global_load_dwordx4 v[106:109], v[40:41], off
	global_load_dwordx4 v[110:113], v[42:43], off
	;; [unrolled: 3-line block ×6, first 2 shown]
	global_load_dwordx4 v[146:149], v[60:61], off
	global_load_dwordx4 v[150:153], v[62:63], off
	v_accvgpr_write_b32 a1, v69
	global_load_dwordx4 v[154:157], v[68:69], off
	global_load_dwordx4 v[158:161], v[66:67], off
	v_lshl_add_u64 v[68:69], v[64:65], 4, s[0:1]
	v_add_u32_e32 v64, s9, v64
	v_ashrrev_i32_e32 v65, 31, v64
	v_lshl_add_u64 v[70:71], v[64:65], 4, s[0:1]
	v_add_u32_e32 v64, s9, v64
	v_ashrrev_i32_e32 v65, 31, v64
	;; [unrolled: 3-line block ×9, first 2 shown]
	global_load_dwordx4 v[162:165], v[68:69], off
	global_load_dwordx4 v[166:169], v[70:71], off
	;; [unrolled: 1-line block ×8, first 2 shown]
	v_lshl_add_u64 v[88:89], v[64:65], 4, s[0:1]
	global_load_dwordx4 v[194:197], v[84:85], off
	global_load_dwordx4 v[198:201], v[88:89], off
	s_cmpk_lg_i32 s5, 0x84
	s_cselect_b64 s[6:7], -1, 0
	s_cmpk_eq_i32 s5, 0x84
	s_waitcnt vmcnt(32)
	scratch_store_dwordx4 off, v[2:5], off
	s_waitcnt vmcnt(32)
	scratch_store_dwordx4 off, v[6:9], off offset:16
	s_waitcnt vmcnt(32)
	scratch_store_dwordx4 off, v[10:13], off offset:32
	;; [unrolled: 2-line block ×32, first 2 shown]
	v_add_u32_e32 v2, s9, v64
	v_add_u32_e32 v10, s9, v2
	v_ashrrev_i32_e32 v11, 31, v10
	v_lshl_add_u64 v[14:15], v[10:11], 4, s[0:1]
	v_add_u32_e32 v10, s9, v10
	v_ashrrev_i32_e32 v11, 31, v10
	v_lshl_add_u64 v[16:17], v[10:11], 4, s[0:1]
	;; [unrolled: 3-line block ×27, first 2 shown]
	v_add_u32_e32 v10, s9, v10
	v_ashrrev_i32_e32 v11, 31, v10
	v_ashrrev_i32_e32 v3, 31, v2
	v_lshl_add_u64 v[136:137], v[10:11], 4, s[0:1]
	v_add_u32_e32 v10, s9, v10
	v_lshl_add_u64 v[12:13], v[2:3], 4, s[0:1]
	v_ashrrev_i32_e32 v11, 31, v10
	global_load_dwordx4 v[2:5], v[12:13], off
	global_load_dwordx4 v[6:9], v[14:15], off
	;; [unrolled: 1-line block ×28, first 2 shown]
	v_lshl_add_u64 v[138:139], v[10:11], 4, s[0:1]
	global_load_dwordx4 v[244:247], v[136:137], off
	global_load_dwordx4 v[248:251], v[138:139], off
	s_waitcnt vmcnt(29)
	scratch_store_dwordx4 off, v[2:5], off offset:528
	s_waitcnt vmcnt(29)
	scratch_store_dwordx4 off, v[6:9], off offset:544
	;; [unrolled: 2-line block ×30, first 2 shown]
	s_cbranch_scc1 .LBB126_7
; %bb.2:
	scratch_load_dwordx4 v[8:11], v86, off
                                        ; implicit-def: $vgpr6_vgpr7
	s_waitcnt vmcnt(0)
	v_xor_b32_e32 v3, 0x80000000, v9
	v_cmp_gt_f64_e32 vcc, 0, v[8:9]
	v_xor_b32_e32 v4, 0x80000000, v11
	v_mov_b32_e32 v2, v8
	v_cndmask_b32_e32 v3, v9, v3, vcc
	v_cmp_gt_f64_e32 vcc, 0, v[10:11]
	s_nop 1
	v_cndmask_b32_e32 v5, v11, v4, vcc
	v_mov_b32_e32 v4, v10
	v_cmp_ngt_f64_e32 vcc, v[2:3], v[4:5]
                                        ; implicit-def: $vgpr2_vgpr3
	s_and_saveexec_b64 s[0:1], vcc
	s_xor_b64 s[0:1], exec, s[0:1]
	s_cbranch_execz .LBB126_4
; %bb.3:
	v_div_scale_f64 v[2:3], s[2:3], v[10:11], v[10:11], v[8:9]
	v_rcp_f64_e32 v[4:5], v[2:3]
	v_div_scale_f64 v[6:7], vcc, v[8:9], v[10:11], v[8:9]
	v_fma_f64 v[64:65], -v[2:3], v[4:5], 1.0
	v_fmac_f64_e32 v[4:5], v[4:5], v[64:65]
	v_fma_f64 v[64:65], -v[2:3], v[4:5], 1.0
	v_fmac_f64_e32 v[4:5], v[4:5], v[64:65]
	v_mul_f64 v[64:65], v[6:7], v[4:5]
	v_fma_f64 v[2:3], -v[2:3], v[64:65], v[6:7]
	v_div_fmas_f64 v[2:3], v[2:3], v[4:5], v[64:65]
	v_div_fixup_f64 v[2:3], v[2:3], v[10:11], v[8:9]
	v_fmac_f64_e32 v[10:11], v[8:9], v[2:3]
	v_div_scale_f64 v[4:5], s[2:3], v[10:11], v[10:11], 1.0
	v_rcp_f64_e32 v[6:7], v[4:5]
	s_nop 0
	v_fma_f64 v[8:9], -v[4:5], v[6:7], 1.0
	v_fmac_f64_e32 v[6:7], v[6:7], v[8:9]
	v_fma_f64 v[8:9], -v[4:5], v[6:7], 1.0
	v_fmac_f64_e32 v[6:7], v[6:7], v[8:9]
	v_div_scale_f64 v[8:9], vcc, 1.0, v[10:11], 1.0
	v_mul_f64 v[64:65], v[8:9], v[6:7]
	v_fma_f64 v[4:5], -v[4:5], v[64:65], v[8:9]
                                        ; implicit-def: $vgpr8_vgpr9
	s_nop 1
	v_div_fmas_f64 v[4:5], v[4:5], v[6:7], v[64:65]
	v_div_fixup_f64 v[4:5], v[4:5], v[10:11], 1.0
	v_mul_f64 v[2:3], v[2:3], v[4:5]
	v_xor_b32_e32 v5, 0x80000000, v5
	v_xor_b32_e32 v7, 0x80000000, v3
	v_mov_b32_e32 v6, v2
.LBB126_4:
	s_or_saveexec_b64 s[0:1], s[0:1]
	v_add_u32_e32 v87, 0, v86
	s_xor_b64 exec, exec, s[0:1]
	s_cbranch_execz .LBB126_6
; %bb.5:
	v_div_scale_f64 v[2:3], s[2:3], v[8:9], v[8:9], v[10:11]
	v_rcp_f64_e32 v[4:5], v[2:3]
	v_div_scale_f64 v[6:7], vcc, v[10:11], v[8:9], v[10:11]
	v_fma_f64 v[64:65], -v[2:3], v[4:5], 1.0
	v_fmac_f64_e32 v[4:5], v[4:5], v[64:65]
	v_fma_f64 v[64:65], -v[2:3], v[4:5], 1.0
	v_fmac_f64_e32 v[4:5], v[4:5], v[64:65]
	v_mul_f64 v[64:65], v[6:7], v[4:5]
	v_fma_f64 v[2:3], -v[2:3], v[64:65], v[6:7]
	v_div_fmas_f64 v[2:3], v[2:3], v[4:5], v[64:65]
	v_div_fixup_f64 v[4:5], v[2:3], v[8:9], v[10:11]
	v_fmac_f64_e32 v[8:9], v[10:11], v[4:5]
	v_div_scale_f64 v[2:3], s[2:3], v[8:9], v[8:9], 1.0
	v_rcp_f64_e32 v[6:7], v[2:3]
	s_nop 0
	v_fma_f64 v[10:11], -v[2:3], v[6:7], 1.0
	v_fmac_f64_e32 v[6:7], v[6:7], v[10:11]
	v_fma_f64 v[10:11], -v[2:3], v[6:7], 1.0
	v_fmac_f64_e32 v[6:7], v[6:7], v[10:11]
	v_div_scale_f64 v[10:11], vcc, 1.0, v[8:9], 1.0
	v_mul_f64 v[64:65], v[10:11], v[6:7]
	v_fma_f64 v[2:3], -v[2:3], v[64:65], v[10:11]
	s_nop 1
	v_div_fmas_f64 v[2:3], v[2:3], v[6:7], v[64:65]
	v_div_fixup_f64 v[2:3], v[2:3], v[8:9], 1.0
	v_xor_b32_e32 v7, 0x80000000, v3
	v_mov_b32_e32 v6, v2
	v_mul_f64 v[4:5], v[4:5], -v[2:3]
.LBB126_6:
	s_or_b64 exec, exec, s[0:1]
	scratch_store_dwordx4 v87, v[2:5], off
	s_nop 1
	v_xor_b32_e32 v5, 0x80000000, v5
	s_branch .LBB126_8
.LBB126_7:
	v_mov_b64_e32 v[4:5], 0
	v_mov_b64_e32 v[6:7], -1.0
.LBB126_8:
	v_mov_b32_e32 v8, v4
	v_mov_b32_e32 v9, v5
	v_add_u32_e32 v197, 16, v1
	v_add_u32_e32 v196, 32, v1
	;; [unrolled: 1-line block ×62, first 2 shown]
	ds_write_b128 v86, v[6:9]
	s_cmpk_eq_i32 s4, 0x79
	v_add_u32_e32 v9, 0x3f0, v86
	v_add_u32_e32 v8, 0, v86
	s_cbranch_scc1 .LBB126_860
; %bb.9:
	scratch_load_dwordx4 v[2:5], v10, off
	v_cmp_eq_u32_e64 s[0:1], 62, v0
	s_waitcnt vmcnt(0)
	ds_write_b128 v9, v[2:5]
	s_waitcnt lgkmcnt(0)
	; wave barrier
	s_waitcnt lgkmcnt(0)
	s_and_saveexec_b64 s[2:3], s[0:1]
	s_cbranch_execz .LBB126_13
; %bb.10:
	ds_read_b128 v[2:5], v9
	s_andn2_b64 vcc, exec, s[6:7]
	s_cbranch_vccnz .LBB126_12
; %bb.11:
	scratch_load_dwordx4 v[198:201], v8, off
	s_waitcnt vmcnt(0) lgkmcnt(0)
	v_mul_f64 v[64:65], v[2:3], v[200:201]
	v_mul_f64 v[6:7], v[4:5], v[200:201]
	v_fmac_f64_e32 v[64:65], v[4:5], v[198:199]
	v_fma_f64 v[2:3], v[2:3], v[198:199], -v[6:7]
	v_mov_b64_e32 v[4:5], v[64:65]
.LBB126_12:
	v_mov_b32_e32 v6, 0
	ds_read_b128 v[198:201], v6 offset:976
	s_waitcnt lgkmcnt(0)
	v_mul_f64 v[6:7], v[4:5], v[200:201]
	v_mul_f64 v[202:203], v[2:3], v[200:201]
	v_fma_f64 v[200:201], v[2:3], v[198:199], -v[6:7]
	v_fmac_f64_e32 v[202:203], v[4:5], v[198:199]
	scratch_store_dwordx4 off, v[200:203], off offset:976
.LBB126_13:
	s_or_b64 exec, exec, s[2:3]
	scratch_load_dwordx4 v[2:5], v11, off
	v_cmp_lt_u32_e64 s[2:3], 60, v0
	s_waitcnt vmcnt(0)
	ds_write_b128 v9, v[2:5]
	s_waitcnt lgkmcnt(0)
	; wave barrier
	s_waitcnt lgkmcnt(0)
	s_and_saveexec_b64 s[4:5], s[2:3]
	s_cbranch_execz .LBB126_19
; %bb.14:
	ds_read_b128 v[2:5], v9
	s_andn2_b64 vcc, exec, s[6:7]
	s_cbranch_vccnz .LBB126_16
; %bb.15:
	scratch_load_dwordx4 v[198:201], v8, off
	s_waitcnt vmcnt(0) lgkmcnt(0)
	v_mul_f64 v[64:65], v[2:3], v[200:201]
	v_mul_f64 v[6:7], v[4:5], v[200:201]
	v_fmac_f64_e32 v[64:65], v[4:5], v[198:199]
	v_fma_f64 v[2:3], v[2:3], v[198:199], -v[6:7]
	v_mov_b64_e32 v[4:5], v[64:65]
.LBB126_16:
	s_and_saveexec_b64 s[8:9], s[0:1]
	s_cbranch_execz .LBB126_18
; %bb.17:
	scratch_load_dwordx4 v[198:201], off, off offset:976
	v_mov_b32_e32 v6, 0
	ds_read_b128 v[202:205], v6 offset:1984
	s_waitcnt vmcnt(0) lgkmcnt(0)
	v_mul_f64 v[6:7], v[202:203], v[200:201]
	v_mul_f64 v[64:65], v[204:205], v[200:201]
	v_fmac_f64_e32 v[6:7], v[204:205], v[198:199]
	v_fma_f64 v[64:65], v[202:203], v[198:199], -v[64:65]
	v_add_f64 v[4:5], v[4:5], v[6:7]
	v_add_f64 v[2:3], v[2:3], v[64:65]
.LBB126_18:
	s_or_b64 exec, exec, s[8:9]
	v_mov_b32_e32 v6, 0
	ds_read_b128 v[198:201], v6 offset:960
	s_waitcnt lgkmcnt(0)
	v_mul_f64 v[6:7], v[4:5], v[200:201]
	v_mul_f64 v[202:203], v[2:3], v[200:201]
	v_fma_f64 v[200:201], v[2:3], v[198:199], -v[6:7]
	v_fmac_f64_e32 v[202:203], v[4:5], v[198:199]
	scratch_store_dwordx4 off, v[200:203], off offset:960
.LBB126_19:
	s_or_b64 exec, exec, s[4:5]
	scratch_load_dwordx4 v[2:5], v87, off
	v_cmp_lt_u32_e64 s[0:1], 59, v0
	s_waitcnt vmcnt(0)
	ds_write_b128 v9, v[2:5]
	s_waitcnt lgkmcnt(0)
	; wave barrier
	s_waitcnt lgkmcnt(0)
	s_and_saveexec_b64 s[4:5], s[0:1]
	s_cbranch_execz .LBB126_33
; %bb.20:
	ds_read_b128 v[2:5], v9
	s_andn2_b64 vcc, exec, s[6:7]
	s_cbranch_vccnz .LBB126_22
; %bb.21:
	scratch_load_dwordx4 v[198:201], v8, off
	s_waitcnt vmcnt(0) lgkmcnt(0)
	v_mul_f64 v[64:65], v[2:3], v[200:201]
	v_mul_f64 v[6:7], v[4:5], v[200:201]
	v_fmac_f64_e32 v[64:65], v[4:5], v[198:199]
	v_fma_f64 v[2:3], v[2:3], v[198:199], -v[6:7]
	v_mov_b64_e32 v[4:5], v[64:65]
.LBB126_22:
	s_and_saveexec_b64 s[8:9], s[2:3]
	s_cbranch_execz .LBB126_32
; %bb.23:
	v_subrev_u32_e32 v7, 61, v0
	v_subrev_u32_e32 v6, 60, v0
	v_cmp_lt_u32_e32 vcc, 6, v7
	v_mov_b32_e32 v199, 60
	s_and_saveexec_b64 s[2:3], vcc
	s_cbranch_execz .LBB126_27
; %bb.24:
	v_and_b32_e32 v7, -8, v6
	s_mov_b32 s12, 0
	s_mov_b64 s[10:11], 0
	v_mov_b32_e32 v198, 0
	s_mov_b32 s13, 0
.LBB126_25:                             ; =>This Inner Loop Header: Depth=1
	v_readfirstlane_b32 s14, v198
	s_add_i32 s14, s14, s12
	s_add_i32 s15, s14, 0x3c0
	v_mov_b32_e32 v199, s12
	ds_read_b128 v[200:203], v199 offset:1968
	ds_read_b128 v[204:207], v199 offset:1984
	;; [unrolled: 1-line block ×4, first 2 shown]
	scratch_load_dwordx4 v[216:219], off, s15
	s_add_i32 s15, s14, 0x3d0
	s_addk_i32 s12, 0x80
	s_waitcnt vmcnt(0) lgkmcnt(3)
	v_mul_f64 v[64:65], v[202:203], v[218:219]
	v_fma_f64 v[64:65], v[200:201], v[216:217], -v[64:65]
	v_mul_f64 v[200:201], v[200:201], v[218:219]
	v_fmac_f64_e32 v[200:201], v[202:203], v[216:217]
	v_add_f64 v[64:65], v[2:3], v[64:65]
	v_add_f64 v[200:201], v[4:5], v[200:201]
	scratch_load_dwordx4 v[2:5], off, s15
	s_add_i32 s15, s14, 0x3e0
	s_waitcnt vmcnt(0) lgkmcnt(2)
	v_mul_f64 v[202:203], v[206:207], v[4:5]
	v_mul_f64 v[4:5], v[204:205], v[4:5]
	v_fmac_f64_e32 v[4:5], v[206:207], v[2:3]
	v_fma_f64 v[202:203], v[204:205], v[2:3], -v[202:203]
	v_add_f64 v[200:201], v[200:201], v[4:5]
	scratch_load_dwordx4 v[2:5], off, s15
	v_add_f64 v[64:65], v[64:65], v[202:203]
	s_add_i32 s15, s14, 0x3f0
	s_waitcnt vmcnt(0) lgkmcnt(1)
	v_mul_f64 v[202:203], v[210:211], v[4:5]
	v_mul_f64 v[4:5], v[208:209], v[4:5]
	v_fmac_f64_e32 v[4:5], v[210:211], v[2:3]
	v_fma_f64 v[202:203], v[208:209], v[2:3], -v[202:203]
	v_add_f64 v[200:201], v[200:201], v[4:5]
	scratch_load_dwordx4 v[2:5], off, s15
	v_add_f64 v[64:65], v[64:65], v[202:203]
	s_add_i32 s15, s14, 0x400
	s_waitcnt vmcnt(0) lgkmcnt(0)
	v_mul_f64 v[202:203], v[214:215], v[4:5]
	v_mul_f64 v[4:5], v[212:213], v[4:5]
	v_fma_f64 v[202:203], v[212:213], v[2:3], -v[202:203]
	v_fmac_f64_e32 v[4:5], v[214:215], v[2:3]
	v_add_f64 v[64:65], v[64:65], v[202:203]
	v_add_f64 v[204:205], v[200:201], v[4:5]
	scratch_load_dwordx4 v[200:203], off, s15
	ds_read_b128 v[2:5], v199 offset:2032
	s_add_i32 s15, s14, 0x410
	s_waitcnt vmcnt(0) lgkmcnt(0)
	v_mul_f64 v[206:207], v[4:5], v[202:203]
	v_fma_f64 v[206:207], v[2:3], v[200:201], -v[206:207]
	v_mul_f64 v[2:3], v[2:3], v[202:203]
	v_fmac_f64_e32 v[2:3], v[4:5], v[200:201]
	scratch_load_dwordx4 v[200:203], off, s15
	v_add_f64 v[204:205], v[204:205], v[2:3]
	ds_read_b128 v[2:5], v199 offset:2048
	v_add_f64 v[64:65], v[64:65], v[206:207]
	s_add_i32 s15, s14, 0x420
	s_addk_i32 s14, 0x430
	s_waitcnt vmcnt(0) lgkmcnt(0)
	v_mul_f64 v[206:207], v[4:5], v[202:203]
	v_fma_f64 v[206:207], v[2:3], v[200:201], -v[206:207]
	v_mul_f64 v[2:3], v[2:3], v[202:203]
	v_fmac_f64_e32 v[2:3], v[4:5], v[200:201]
	scratch_load_dwordx4 v[200:203], off, s15
	v_add_f64 v[204:205], v[204:205], v[2:3]
	ds_read_b128 v[2:5], v199 offset:2064
	v_add_f64 v[64:65], v[64:65], v[206:207]
	s_waitcnt vmcnt(0) lgkmcnt(0)
	v_mul_f64 v[206:207], v[4:5], v[202:203]
	v_fma_f64 v[206:207], v[2:3], v[200:201], -v[206:207]
	v_mul_f64 v[2:3], v[2:3], v[202:203]
	v_fmac_f64_e32 v[2:3], v[4:5], v[200:201]
	scratch_load_dwordx4 v[200:203], off, s14
	v_add_f64 v[204:205], v[204:205], v[2:3]
	ds_read_b128 v[2:5], v199 offset:2080
	v_add_f64 v[64:65], v[64:65], v[206:207]
	s_add_i32 s14, s13, 8
	v_cmp_eq_u32_e32 vcc, s14, v7
	s_addk_i32 s13, 0x44
	s_or_b64 s[10:11], vcc, s[10:11]
	v_mov_b32_e32 v199, s13
	s_mov_b32 s13, s14
	s_waitcnt vmcnt(0) lgkmcnt(0)
	v_mul_f64 v[206:207], v[4:5], v[202:203]
	v_mul_f64 v[202:203], v[2:3], v[202:203]
	v_fma_f64 v[206:207], v[2:3], v[200:201], -v[206:207]
	v_fmac_f64_e32 v[202:203], v[4:5], v[200:201]
	v_add_f64 v[2:3], v[64:65], v[206:207]
	v_add_f64 v[4:5], v[204:205], v[202:203]
	s_andn2_b64 exec, exec, s[10:11]
	s_cbranch_execnz .LBB126_25
; %bb.26:
	s_or_b64 exec, exec, s[10:11]
.LBB126_27:
	s_or_b64 exec, exec, s[2:3]
	v_and_b32_e32 v6, 7, v6
	v_cmp_ne_u32_e32 vcc, 0, v6
	s_and_saveexec_b64 s[2:3], vcc
	s_cbranch_execz .LBB126_31
; %bb.28:
	v_lshlrev_b32_e32 v64, 4, v199
	v_add_u32_e32 v7, 0x3f0, v64
	v_add_u32_e32 v198, 0, v64
	s_mov_b64 s[10:11], 0
.LBB126_29:                             ; =>This Inner Loop Header: Depth=1
	scratch_load_dwordx4 v[200:203], v198, off
	ds_read_b128 v[204:207], v7
	v_add_u32_e32 v6, -1, v6
	v_cmp_eq_u32_e32 vcc, 0, v6
	v_add_u32_e32 v7, 16, v7
	v_add_u32_e32 v198, 16, v198
	s_or_b64 s[10:11], vcc, s[10:11]
	s_waitcnt vmcnt(0) lgkmcnt(0)
	v_mul_f64 v[64:65], v[206:207], v[202:203]
	v_mul_f64 v[202:203], v[204:205], v[202:203]
	v_fma_f64 v[64:65], v[204:205], v[200:201], -v[64:65]
	v_fmac_f64_e32 v[202:203], v[206:207], v[200:201]
	v_add_f64 v[2:3], v[2:3], v[64:65]
	v_add_f64 v[4:5], v[4:5], v[202:203]
	s_andn2_b64 exec, exec, s[10:11]
	s_cbranch_execnz .LBB126_29
; %bb.30:
	s_or_b64 exec, exec, s[10:11]
.LBB126_31:
	s_or_b64 exec, exec, s[2:3]
.LBB126_32:
	s_or_b64 exec, exec, s[8:9]
	v_mov_b32_e32 v6, 0
	ds_read_b128 v[198:201], v6 offset:944
	s_waitcnt lgkmcnt(0)
	v_mul_f64 v[6:7], v[4:5], v[200:201]
	v_mul_f64 v[202:203], v[2:3], v[200:201]
	v_fma_f64 v[200:201], v[2:3], v[198:199], -v[6:7]
	v_fmac_f64_e32 v[202:203], v[4:5], v[198:199]
	scratch_store_dwordx4 off, v[200:203], off offset:944
.LBB126_33:
	s_or_b64 exec, exec, s[4:5]
	scratch_load_dwordx4 v[2:5], v140, off
	v_cmp_lt_u32_e64 s[2:3], 58, v0
	s_waitcnt vmcnt(0)
	ds_write_b128 v9, v[2:5]
	s_waitcnt lgkmcnt(0)
	; wave barrier
	s_waitcnt lgkmcnt(0)
	s_and_saveexec_b64 s[4:5], s[2:3]
	s_cbranch_execz .LBB126_47
; %bb.34:
	ds_read_b128 v[2:5], v9
	s_andn2_b64 vcc, exec, s[6:7]
	s_cbranch_vccnz .LBB126_36
; %bb.35:
	scratch_load_dwordx4 v[198:201], v8, off
	s_waitcnt vmcnt(0) lgkmcnt(0)
	v_mul_f64 v[64:65], v[2:3], v[200:201]
	v_mul_f64 v[6:7], v[4:5], v[200:201]
	v_fmac_f64_e32 v[64:65], v[4:5], v[198:199]
	v_fma_f64 v[2:3], v[2:3], v[198:199], -v[6:7]
	v_mov_b64_e32 v[4:5], v[64:65]
.LBB126_36:
	s_and_saveexec_b64 s[8:9], s[0:1]
	s_cbranch_execz .LBB126_46
; %bb.37:
	v_subrev_u32_e32 v7, 60, v0
	v_subrev_u32_e32 v6, 59, v0
	v_cmp_lt_u32_e32 vcc, 6, v7
	v_mov_b32_e32 v199, 59
	s_and_saveexec_b64 s[0:1], vcc
	s_cbranch_execz .LBB126_41
; %bb.38:
	v_and_b32_e32 v7, -8, v6
	s_mov_b32 s12, 0
	s_mov_b64 s[10:11], 0
	v_mov_b32_e32 v198, 0
	s_mov_b32 s13, 0
.LBB126_39:                             ; =>This Inner Loop Header: Depth=1
	v_readfirstlane_b32 s14, v198
	s_add_i32 s14, s14, s12
	s_add_i32 s15, s14, 0x3b0
	v_mov_b32_e32 v199, s12
	ds_read_b128 v[200:203], v199 offset:1952
	ds_read_b128 v[204:207], v199 offset:1968
	;; [unrolled: 1-line block ×4, first 2 shown]
	scratch_load_dwordx4 v[216:219], off, s15
	s_add_i32 s15, s14, 0x3c0
	s_addk_i32 s12, 0x80
	s_waitcnt vmcnt(0) lgkmcnt(3)
	v_mul_f64 v[64:65], v[202:203], v[218:219]
	v_fma_f64 v[64:65], v[200:201], v[216:217], -v[64:65]
	v_mul_f64 v[200:201], v[200:201], v[218:219]
	v_fmac_f64_e32 v[200:201], v[202:203], v[216:217]
	v_add_f64 v[64:65], v[2:3], v[64:65]
	v_add_f64 v[200:201], v[4:5], v[200:201]
	scratch_load_dwordx4 v[2:5], off, s15
	s_add_i32 s15, s14, 0x3d0
	s_waitcnt vmcnt(0) lgkmcnt(2)
	v_mul_f64 v[202:203], v[206:207], v[4:5]
	v_mul_f64 v[4:5], v[204:205], v[4:5]
	v_fmac_f64_e32 v[4:5], v[206:207], v[2:3]
	v_fma_f64 v[202:203], v[204:205], v[2:3], -v[202:203]
	v_add_f64 v[200:201], v[200:201], v[4:5]
	scratch_load_dwordx4 v[2:5], off, s15
	v_add_f64 v[64:65], v[64:65], v[202:203]
	s_add_i32 s15, s14, 0x3e0
	s_waitcnt vmcnt(0) lgkmcnt(1)
	v_mul_f64 v[202:203], v[210:211], v[4:5]
	v_mul_f64 v[4:5], v[208:209], v[4:5]
	v_fmac_f64_e32 v[4:5], v[210:211], v[2:3]
	v_fma_f64 v[202:203], v[208:209], v[2:3], -v[202:203]
	v_add_f64 v[200:201], v[200:201], v[4:5]
	scratch_load_dwordx4 v[2:5], off, s15
	v_add_f64 v[64:65], v[64:65], v[202:203]
	s_add_i32 s15, s14, 0x3f0
	s_waitcnt vmcnt(0) lgkmcnt(0)
	v_mul_f64 v[202:203], v[214:215], v[4:5]
	v_mul_f64 v[4:5], v[212:213], v[4:5]
	v_fma_f64 v[202:203], v[212:213], v[2:3], -v[202:203]
	v_fmac_f64_e32 v[4:5], v[214:215], v[2:3]
	v_add_f64 v[64:65], v[64:65], v[202:203]
	v_add_f64 v[204:205], v[200:201], v[4:5]
	scratch_load_dwordx4 v[200:203], off, s15
	ds_read_b128 v[2:5], v199 offset:2016
	s_add_i32 s15, s14, 0x400
	s_waitcnt vmcnt(0) lgkmcnt(0)
	v_mul_f64 v[206:207], v[4:5], v[202:203]
	v_fma_f64 v[206:207], v[2:3], v[200:201], -v[206:207]
	v_mul_f64 v[2:3], v[2:3], v[202:203]
	v_fmac_f64_e32 v[2:3], v[4:5], v[200:201]
	scratch_load_dwordx4 v[200:203], off, s15
	v_add_f64 v[204:205], v[204:205], v[2:3]
	ds_read_b128 v[2:5], v199 offset:2032
	v_add_f64 v[64:65], v[64:65], v[206:207]
	s_add_i32 s15, s14, 0x410
	s_addk_i32 s14, 0x420
	s_waitcnt vmcnt(0) lgkmcnt(0)
	v_mul_f64 v[206:207], v[4:5], v[202:203]
	v_fma_f64 v[206:207], v[2:3], v[200:201], -v[206:207]
	v_mul_f64 v[2:3], v[2:3], v[202:203]
	v_fmac_f64_e32 v[2:3], v[4:5], v[200:201]
	scratch_load_dwordx4 v[200:203], off, s15
	v_add_f64 v[204:205], v[204:205], v[2:3]
	ds_read_b128 v[2:5], v199 offset:2048
	v_add_f64 v[64:65], v[64:65], v[206:207]
	s_waitcnt vmcnt(0) lgkmcnt(0)
	v_mul_f64 v[206:207], v[4:5], v[202:203]
	v_fma_f64 v[206:207], v[2:3], v[200:201], -v[206:207]
	v_mul_f64 v[2:3], v[2:3], v[202:203]
	v_fmac_f64_e32 v[2:3], v[4:5], v[200:201]
	scratch_load_dwordx4 v[200:203], off, s14
	v_add_f64 v[204:205], v[204:205], v[2:3]
	ds_read_b128 v[2:5], v199 offset:2064
	v_add_f64 v[64:65], v[64:65], v[206:207]
	s_add_i32 s14, s13, 8
	v_cmp_eq_u32_e32 vcc, s14, v7
	s_addk_i32 s13, 0x43
	s_or_b64 s[10:11], vcc, s[10:11]
	v_mov_b32_e32 v199, s13
	s_mov_b32 s13, s14
	s_waitcnt vmcnt(0) lgkmcnt(0)
	v_mul_f64 v[206:207], v[4:5], v[202:203]
	v_mul_f64 v[202:203], v[2:3], v[202:203]
	v_fma_f64 v[206:207], v[2:3], v[200:201], -v[206:207]
	v_fmac_f64_e32 v[202:203], v[4:5], v[200:201]
	v_add_f64 v[2:3], v[64:65], v[206:207]
	v_add_f64 v[4:5], v[204:205], v[202:203]
	s_andn2_b64 exec, exec, s[10:11]
	s_cbranch_execnz .LBB126_39
; %bb.40:
	s_or_b64 exec, exec, s[10:11]
.LBB126_41:
	s_or_b64 exec, exec, s[0:1]
	v_and_b32_e32 v6, 7, v6
	v_cmp_ne_u32_e32 vcc, 0, v6
	s_and_saveexec_b64 s[0:1], vcc
	s_cbranch_execz .LBB126_45
; %bb.42:
	v_lshlrev_b32_e32 v64, 4, v199
	v_add_u32_e32 v7, 0x3f0, v64
	v_add_u32_e32 v198, 0, v64
	s_mov_b64 s[10:11], 0
.LBB126_43:                             ; =>This Inner Loop Header: Depth=1
	scratch_load_dwordx4 v[200:203], v198, off
	ds_read_b128 v[204:207], v7
	v_add_u32_e32 v6, -1, v6
	v_cmp_eq_u32_e32 vcc, 0, v6
	v_add_u32_e32 v7, 16, v7
	v_add_u32_e32 v198, 16, v198
	s_or_b64 s[10:11], vcc, s[10:11]
	s_waitcnt vmcnt(0) lgkmcnt(0)
	v_mul_f64 v[64:65], v[206:207], v[202:203]
	v_mul_f64 v[202:203], v[204:205], v[202:203]
	v_fma_f64 v[64:65], v[204:205], v[200:201], -v[64:65]
	v_fmac_f64_e32 v[202:203], v[206:207], v[200:201]
	v_add_f64 v[2:3], v[2:3], v[64:65]
	v_add_f64 v[4:5], v[4:5], v[202:203]
	s_andn2_b64 exec, exec, s[10:11]
	s_cbranch_execnz .LBB126_43
; %bb.44:
	s_or_b64 exec, exec, s[10:11]
.LBB126_45:
	s_or_b64 exec, exec, s[0:1]
.LBB126_46:
	s_or_b64 exec, exec, s[8:9]
	v_mov_b32_e32 v6, 0
	ds_read_b128 v[198:201], v6 offset:928
	s_waitcnt lgkmcnt(0)
	v_mul_f64 v[6:7], v[4:5], v[200:201]
	v_mul_f64 v[202:203], v[2:3], v[200:201]
	v_fma_f64 v[200:201], v[2:3], v[198:199], -v[6:7]
	v_fmac_f64_e32 v[202:203], v[4:5], v[198:199]
	scratch_store_dwordx4 off, v[200:203], off offset:928
.LBB126_47:
	s_or_b64 exec, exec, s[4:5]
	scratch_load_dwordx4 v[2:5], v141, off
	v_cmp_lt_u32_e64 s[0:1], 57, v0
	s_waitcnt vmcnt(0)
	ds_write_b128 v9, v[2:5]
	s_waitcnt lgkmcnt(0)
	; wave barrier
	s_waitcnt lgkmcnt(0)
	s_and_saveexec_b64 s[4:5], s[0:1]
	s_cbranch_execz .LBB126_61
; %bb.48:
	ds_read_b128 v[2:5], v9
	s_andn2_b64 vcc, exec, s[6:7]
	s_cbranch_vccnz .LBB126_50
; %bb.49:
	scratch_load_dwordx4 v[198:201], v8, off
	s_waitcnt vmcnt(0) lgkmcnt(0)
	v_mul_f64 v[64:65], v[2:3], v[200:201]
	v_mul_f64 v[6:7], v[4:5], v[200:201]
	v_fmac_f64_e32 v[64:65], v[4:5], v[198:199]
	v_fma_f64 v[2:3], v[2:3], v[198:199], -v[6:7]
	v_mov_b64_e32 v[4:5], v[64:65]
.LBB126_50:
	s_and_saveexec_b64 s[8:9], s[2:3]
	s_cbranch_execz .LBB126_60
; %bb.51:
	v_subrev_u32_e32 v7, 59, v0
	v_subrev_u32_e32 v6, 58, v0
	v_cmp_lt_u32_e32 vcc, 6, v7
	v_mov_b32_e32 v199, 58
	s_and_saveexec_b64 s[2:3], vcc
	s_cbranch_execz .LBB126_55
; %bb.52:
	v_and_b32_e32 v7, -8, v6
	s_mov_b32 s12, 0
	s_mov_b64 s[10:11], 0
	v_mov_b32_e32 v198, 0
	s_mov_b32 s13, 0
.LBB126_53:                             ; =>This Inner Loop Header: Depth=1
	v_readfirstlane_b32 s14, v198
	s_add_i32 s14, s14, s12
	s_add_i32 s15, s14, 0x3a0
	v_mov_b32_e32 v199, s12
	ds_read_b128 v[200:203], v199 offset:1936
	ds_read_b128 v[204:207], v199 offset:1952
	;; [unrolled: 1-line block ×4, first 2 shown]
	scratch_load_dwordx4 v[216:219], off, s15
	s_add_i32 s15, s14, 0x3b0
	s_addk_i32 s12, 0x80
	s_waitcnt vmcnt(0) lgkmcnt(3)
	v_mul_f64 v[64:65], v[202:203], v[218:219]
	v_fma_f64 v[64:65], v[200:201], v[216:217], -v[64:65]
	v_mul_f64 v[200:201], v[200:201], v[218:219]
	v_fmac_f64_e32 v[200:201], v[202:203], v[216:217]
	v_add_f64 v[64:65], v[2:3], v[64:65]
	v_add_f64 v[200:201], v[4:5], v[200:201]
	scratch_load_dwordx4 v[2:5], off, s15
	s_add_i32 s15, s14, 0x3c0
	s_waitcnt vmcnt(0) lgkmcnt(2)
	v_mul_f64 v[202:203], v[206:207], v[4:5]
	v_mul_f64 v[4:5], v[204:205], v[4:5]
	v_fmac_f64_e32 v[4:5], v[206:207], v[2:3]
	v_fma_f64 v[202:203], v[204:205], v[2:3], -v[202:203]
	v_add_f64 v[200:201], v[200:201], v[4:5]
	scratch_load_dwordx4 v[2:5], off, s15
	v_add_f64 v[64:65], v[64:65], v[202:203]
	s_add_i32 s15, s14, 0x3d0
	s_waitcnt vmcnt(0) lgkmcnt(1)
	v_mul_f64 v[202:203], v[210:211], v[4:5]
	v_mul_f64 v[4:5], v[208:209], v[4:5]
	v_fmac_f64_e32 v[4:5], v[210:211], v[2:3]
	v_fma_f64 v[202:203], v[208:209], v[2:3], -v[202:203]
	v_add_f64 v[200:201], v[200:201], v[4:5]
	scratch_load_dwordx4 v[2:5], off, s15
	v_add_f64 v[64:65], v[64:65], v[202:203]
	s_add_i32 s15, s14, 0x3e0
	s_waitcnt vmcnt(0) lgkmcnt(0)
	v_mul_f64 v[202:203], v[214:215], v[4:5]
	v_mul_f64 v[4:5], v[212:213], v[4:5]
	v_fma_f64 v[202:203], v[212:213], v[2:3], -v[202:203]
	v_fmac_f64_e32 v[4:5], v[214:215], v[2:3]
	v_add_f64 v[64:65], v[64:65], v[202:203]
	v_add_f64 v[204:205], v[200:201], v[4:5]
	scratch_load_dwordx4 v[200:203], off, s15
	ds_read_b128 v[2:5], v199 offset:2000
	s_add_i32 s15, s14, 0x3f0
	s_waitcnt vmcnt(0) lgkmcnt(0)
	v_mul_f64 v[206:207], v[4:5], v[202:203]
	v_fma_f64 v[206:207], v[2:3], v[200:201], -v[206:207]
	v_mul_f64 v[2:3], v[2:3], v[202:203]
	v_fmac_f64_e32 v[2:3], v[4:5], v[200:201]
	scratch_load_dwordx4 v[200:203], off, s15
	v_add_f64 v[204:205], v[204:205], v[2:3]
	ds_read_b128 v[2:5], v199 offset:2016
	v_add_f64 v[64:65], v[64:65], v[206:207]
	s_add_i32 s15, s14, 0x400
	s_addk_i32 s14, 0x410
	s_waitcnt vmcnt(0) lgkmcnt(0)
	v_mul_f64 v[206:207], v[4:5], v[202:203]
	v_fma_f64 v[206:207], v[2:3], v[200:201], -v[206:207]
	v_mul_f64 v[2:3], v[2:3], v[202:203]
	v_fmac_f64_e32 v[2:3], v[4:5], v[200:201]
	scratch_load_dwordx4 v[200:203], off, s15
	v_add_f64 v[204:205], v[204:205], v[2:3]
	ds_read_b128 v[2:5], v199 offset:2032
	v_add_f64 v[64:65], v[64:65], v[206:207]
	s_waitcnt vmcnt(0) lgkmcnt(0)
	v_mul_f64 v[206:207], v[4:5], v[202:203]
	v_fma_f64 v[206:207], v[2:3], v[200:201], -v[206:207]
	v_mul_f64 v[2:3], v[2:3], v[202:203]
	v_fmac_f64_e32 v[2:3], v[4:5], v[200:201]
	scratch_load_dwordx4 v[200:203], off, s14
	v_add_f64 v[204:205], v[204:205], v[2:3]
	ds_read_b128 v[2:5], v199 offset:2048
	v_add_f64 v[64:65], v[64:65], v[206:207]
	s_add_i32 s14, s13, 8
	v_cmp_eq_u32_e32 vcc, s14, v7
	s_addk_i32 s13, 0x42
	s_or_b64 s[10:11], vcc, s[10:11]
	v_mov_b32_e32 v199, s13
	s_mov_b32 s13, s14
	s_waitcnt vmcnt(0) lgkmcnt(0)
	v_mul_f64 v[206:207], v[4:5], v[202:203]
	v_mul_f64 v[202:203], v[2:3], v[202:203]
	v_fma_f64 v[206:207], v[2:3], v[200:201], -v[206:207]
	v_fmac_f64_e32 v[202:203], v[4:5], v[200:201]
	v_add_f64 v[2:3], v[64:65], v[206:207]
	v_add_f64 v[4:5], v[204:205], v[202:203]
	s_andn2_b64 exec, exec, s[10:11]
	s_cbranch_execnz .LBB126_53
; %bb.54:
	s_or_b64 exec, exec, s[10:11]
.LBB126_55:
	s_or_b64 exec, exec, s[2:3]
	v_and_b32_e32 v6, 7, v6
	v_cmp_ne_u32_e32 vcc, 0, v6
	s_and_saveexec_b64 s[2:3], vcc
	s_cbranch_execz .LBB126_59
; %bb.56:
	v_lshlrev_b32_e32 v64, 4, v199
	v_add_u32_e32 v7, 0x3f0, v64
	v_add_u32_e32 v198, 0, v64
	s_mov_b64 s[10:11], 0
.LBB126_57:                             ; =>This Inner Loop Header: Depth=1
	scratch_load_dwordx4 v[200:203], v198, off
	ds_read_b128 v[204:207], v7
	v_add_u32_e32 v6, -1, v6
	v_cmp_eq_u32_e32 vcc, 0, v6
	v_add_u32_e32 v7, 16, v7
	v_add_u32_e32 v198, 16, v198
	s_or_b64 s[10:11], vcc, s[10:11]
	s_waitcnt vmcnt(0) lgkmcnt(0)
	v_mul_f64 v[64:65], v[206:207], v[202:203]
	v_mul_f64 v[202:203], v[204:205], v[202:203]
	v_fma_f64 v[64:65], v[204:205], v[200:201], -v[64:65]
	v_fmac_f64_e32 v[202:203], v[206:207], v[200:201]
	v_add_f64 v[2:3], v[2:3], v[64:65]
	v_add_f64 v[4:5], v[4:5], v[202:203]
	s_andn2_b64 exec, exec, s[10:11]
	s_cbranch_execnz .LBB126_57
; %bb.58:
	s_or_b64 exec, exec, s[10:11]
.LBB126_59:
	s_or_b64 exec, exec, s[2:3]
.LBB126_60:
	s_or_b64 exec, exec, s[8:9]
	v_mov_b32_e32 v6, 0
	ds_read_b128 v[198:201], v6 offset:912
	s_waitcnt lgkmcnt(0)
	v_mul_f64 v[6:7], v[4:5], v[200:201]
	v_mul_f64 v[202:203], v[2:3], v[200:201]
	v_fma_f64 v[200:201], v[2:3], v[198:199], -v[6:7]
	v_fmac_f64_e32 v[202:203], v[4:5], v[198:199]
	scratch_store_dwordx4 off, v[200:203], off offset:912
.LBB126_61:
	s_or_b64 exec, exec, s[4:5]
	scratch_load_dwordx4 v[2:5], v142, off
	v_cmp_lt_u32_e64 s[2:3], 56, v0
	s_waitcnt vmcnt(0)
	ds_write_b128 v9, v[2:5]
	s_waitcnt lgkmcnt(0)
	; wave barrier
	s_waitcnt lgkmcnt(0)
	s_and_saveexec_b64 s[4:5], s[2:3]
	s_cbranch_execz .LBB126_75
; %bb.62:
	ds_read_b128 v[2:5], v9
	s_andn2_b64 vcc, exec, s[6:7]
	s_cbranch_vccnz .LBB126_64
; %bb.63:
	scratch_load_dwordx4 v[198:201], v8, off
	s_waitcnt vmcnt(0) lgkmcnt(0)
	v_mul_f64 v[64:65], v[2:3], v[200:201]
	v_mul_f64 v[6:7], v[4:5], v[200:201]
	v_fmac_f64_e32 v[64:65], v[4:5], v[198:199]
	v_fma_f64 v[2:3], v[2:3], v[198:199], -v[6:7]
	v_mov_b64_e32 v[4:5], v[64:65]
.LBB126_64:
	s_and_saveexec_b64 s[8:9], s[0:1]
	s_cbranch_execz .LBB126_74
; %bb.65:
	v_subrev_u32_e32 v7, 58, v0
	v_subrev_u32_e32 v6, 57, v0
	v_cmp_lt_u32_e32 vcc, 6, v7
	v_mov_b32_e32 v199, 57
	s_and_saveexec_b64 s[0:1], vcc
	s_cbranch_execz .LBB126_69
; %bb.66:
	v_and_b32_e32 v7, -8, v6
	s_mov_b32 s12, 0
	s_mov_b64 s[10:11], 0
	v_mov_b32_e32 v198, 0
	s_mov_b32 s13, 0
.LBB126_67:                             ; =>This Inner Loop Header: Depth=1
	v_readfirstlane_b32 s14, v198
	s_add_i32 s14, s14, s12
	s_add_i32 s15, s14, 0x390
	v_mov_b32_e32 v199, s12
	ds_read_b128 v[200:203], v199 offset:1920
	ds_read_b128 v[204:207], v199 offset:1936
	;; [unrolled: 1-line block ×4, first 2 shown]
	scratch_load_dwordx4 v[216:219], off, s15
	s_add_i32 s15, s14, 0x3a0
	s_addk_i32 s12, 0x80
	s_waitcnt vmcnt(0) lgkmcnt(3)
	v_mul_f64 v[64:65], v[202:203], v[218:219]
	v_fma_f64 v[64:65], v[200:201], v[216:217], -v[64:65]
	v_mul_f64 v[200:201], v[200:201], v[218:219]
	v_fmac_f64_e32 v[200:201], v[202:203], v[216:217]
	v_add_f64 v[64:65], v[2:3], v[64:65]
	v_add_f64 v[200:201], v[4:5], v[200:201]
	scratch_load_dwordx4 v[2:5], off, s15
	s_add_i32 s15, s14, 0x3b0
	s_waitcnt vmcnt(0) lgkmcnt(2)
	v_mul_f64 v[202:203], v[206:207], v[4:5]
	v_mul_f64 v[4:5], v[204:205], v[4:5]
	v_fmac_f64_e32 v[4:5], v[206:207], v[2:3]
	v_fma_f64 v[202:203], v[204:205], v[2:3], -v[202:203]
	v_add_f64 v[200:201], v[200:201], v[4:5]
	scratch_load_dwordx4 v[2:5], off, s15
	v_add_f64 v[64:65], v[64:65], v[202:203]
	s_add_i32 s15, s14, 0x3c0
	s_waitcnt vmcnt(0) lgkmcnt(1)
	v_mul_f64 v[202:203], v[210:211], v[4:5]
	v_mul_f64 v[4:5], v[208:209], v[4:5]
	v_fmac_f64_e32 v[4:5], v[210:211], v[2:3]
	v_fma_f64 v[202:203], v[208:209], v[2:3], -v[202:203]
	v_add_f64 v[200:201], v[200:201], v[4:5]
	scratch_load_dwordx4 v[2:5], off, s15
	v_add_f64 v[64:65], v[64:65], v[202:203]
	s_add_i32 s15, s14, 0x3d0
	s_waitcnt vmcnt(0) lgkmcnt(0)
	v_mul_f64 v[202:203], v[214:215], v[4:5]
	v_mul_f64 v[4:5], v[212:213], v[4:5]
	v_fma_f64 v[202:203], v[212:213], v[2:3], -v[202:203]
	v_fmac_f64_e32 v[4:5], v[214:215], v[2:3]
	v_add_f64 v[64:65], v[64:65], v[202:203]
	v_add_f64 v[204:205], v[200:201], v[4:5]
	scratch_load_dwordx4 v[200:203], off, s15
	ds_read_b128 v[2:5], v199 offset:1984
	s_add_i32 s15, s14, 0x3e0
	s_waitcnt vmcnt(0) lgkmcnt(0)
	v_mul_f64 v[206:207], v[4:5], v[202:203]
	v_fma_f64 v[206:207], v[2:3], v[200:201], -v[206:207]
	v_mul_f64 v[2:3], v[2:3], v[202:203]
	v_fmac_f64_e32 v[2:3], v[4:5], v[200:201]
	scratch_load_dwordx4 v[200:203], off, s15
	v_add_f64 v[204:205], v[204:205], v[2:3]
	ds_read_b128 v[2:5], v199 offset:2000
	v_add_f64 v[64:65], v[64:65], v[206:207]
	s_add_i32 s15, s14, 0x3f0
	s_addk_i32 s14, 0x400
	s_waitcnt vmcnt(0) lgkmcnt(0)
	v_mul_f64 v[206:207], v[4:5], v[202:203]
	v_fma_f64 v[206:207], v[2:3], v[200:201], -v[206:207]
	v_mul_f64 v[2:3], v[2:3], v[202:203]
	v_fmac_f64_e32 v[2:3], v[4:5], v[200:201]
	scratch_load_dwordx4 v[200:203], off, s15
	v_add_f64 v[204:205], v[204:205], v[2:3]
	ds_read_b128 v[2:5], v199 offset:2016
	v_add_f64 v[64:65], v[64:65], v[206:207]
	s_waitcnt vmcnt(0) lgkmcnt(0)
	v_mul_f64 v[206:207], v[4:5], v[202:203]
	v_fma_f64 v[206:207], v[2:3], v[200:201], -v[206:207]
	v_mul_f64 v[2:3], v[2:3], v[202:203]
	v_fmac_f64_e32 v[2:3], v[4:5], v[200:201]
	scratch_load_dwordx4 v[200:203], off, s14
	v_add_f64 v[204:205], v[204:205], v[2:3]
	ds_read_b128 v[2:5], v199 offset:2032
	v_add_f64 v[64:65], v[64:65], v[206:207]
	s_add_i32 s14, s13, 8
	v_cmp_eq_u32_e32 vcc, s14, v7
	s_addk_i32 s13, 0x41
	s_or_b64 s[10:11], vcc, s[10:11]
	v_mov_b32_e32 v199, s13
	s_mov_b32 s13, s14
	s_waitcnt vmcnt(0) lgkmcnt(0)
	v_mul_f64 v[206:207], v[4:5], v[202:203]
	v_mul_f64 v[202:203], v[2:3], v[202:203]
	v_fma_f64 v[206:207], v[2:3], v[200:201], -v[206:207]
	v_fmac_f64_e32 v[202:203], v[4:5], v[200:201]
	v_add_f64 v[2:3], v[64:65], v[206:207]
	v_add_f64 v[4:5], v[204:205], v[202:203]
	s_andn2_b64 exec, exec, s[10:11]
	s_cbranch_execnz .LBB126_67
; %bb.68:
	s_or_b64 exec, exec, s[10:11]
.LBB126_69:
	s_or_b64 exec, exec, s[0:1]
	v_and_b32_e32 v6, 7, v6
	v_cmp_ne_u32_e32 vcc, 0, v6
	s_and_saveexec_b64 s[0:1], vcc
	s_cbranch_execz .LBB126_73
; %bb.70:
	v_lshlrev_b32_e32 v64, 4, v199
	v_add_u32_e32 v7, 0x3f0, v64
	v_add_u32_e32 v198, 0, v64
	s_mov_b64 s[10:11], 0
.LBB126_71:                             ; =>This Inner Loop Header: Depth=1
	scratch_load_dwordx4 v[200:203], v198, off
	ds_read_b128 v[204:207], v7
	v_add_u32_e32 v6, -1, v6
	v_cmp_eq_u32_e32 vcc, 0, v6
	v_add_u32_e32 v7, 16, v7
	v_add_u32_e32 v198, 16, v198
	s_or_b64 s[10:11], vcc, s[10:11]
	s_waitcnt vmcnt(0) lgkmcnt(0)
	v_mul_f64 v[64:65], v[206:207], v[202:203]
	v_mul_f64 v[202:203], v[204:205], v[202:203]
	v_fma_f64 v[64:65], v[204:205], v[200:201], -v[64:65]
	v_fmac_f64_e32 v[202:203], v[206:207], v[200:201]
	v_add_f64 v[2:3], v[2:3], v[64:65]
	v_add_f64 v[4:5], v[4:5], v[202:203]
	s_andn2_b64 exec, exec, s[10:11]
	s_cbranch_execnz .LBB126_71
; %bb.72:
	s_or_b64 exec, exec, s[10:11]
.LBB126_73:
	s_or_b64 exec, exec, s[0:1]
.LBB126_74:
	s_or_b64 exec, exec, s[8:9]
	v_mov_b32_e32 v6, 0
	ds_read_b128 v[198:201], v6 offset:896
	s_waitcnt lgkmcnt(0)
	v_mul_f64 v[6:7], v[4:5], v[200:201]
	v_mul_f64 v[202:203], v[2:3], v[200:201]
	v_fma_f64 v[200:201], v[2:3], v[198:199], -v[6:7]
	v_fmac_f64_e32 v[202:203], v[4:5], v[198:199]
	scratch_store_dwordx4 off, v[200:203], off offset:896
.LBB126_75:
	s_or_b64 exec, exec, s[4:5]
	scratch_load_dwordx4 v[2:5], v143, off
	v_cmp_lt_u32_e64 s[4:5], 55, v0
	s_waitcnt vmcnt(0)
	ds_write_b128 v9, v[2:5]
	s_waitcnt lgkmcnt(0)
	; wave barrier
	s_waitcnt lgkmcnt(0)
	s_and_saveexec_b64 s[0:1], s[4:5]
	s_cbranch_execz .LBB126_89
; %bb.76:
	ds_read_b128 v[2:5], v9
	s_andn2_b64 vcc, exec, s[6:7]
	s_cbranch_vccnz .LBB126_78
; %bb.77:
	scratch_load_dwordx4 v[198:201], v8, off
	s_waitcnt vmcnt(0) lgkmcnt(0)
	v_mul_f64 v[64:65], v[2:3], v[200:201]
	v_mul_f64 v[6:7], v[4:5], v[200:201]
	v_fmac_f64_e32 v[64:65], v[4:5], v[198:199]
	v_fma_f64 v[2:3], v[2:3], v[198:199], -v[6:7]
	v_mov_b64_e32 v[4:5], v[64:65]
.LBB126_78:
	s_and_saveexec_b64 s[8:9], s[2:3]
	s_cbranch_execz .LBB126_88
; %bb.79:
	v_subrev_u32_e32 v6, 57, v0
	v_cmp_lt_u32_e32 vcc, 6, v6
	v_mov_b32_e32 v6, 56
	s_and_saveexec_b64 s[2:3], vcc
	s_cbranch_execz .LBB126_83
; %bb.80:
	s_mov_b32 s12, 56
	v_and_b32_e32 v6, 56, v0
	s_mov_b32 s13, 0
	s_mov_b64 s[10:11], 0
	v_mov_b32_e32 v7, 0
.LBB126_81:                             ; =>This Inner Loop Header: Depth=1
	s_nop 0
	v_readfirstlane_b32 s14, v7
	s_add_i32 s14, s14, s13
	s_add_i32 s15, s14, 0x380
	v_mov_b32_e32 v218, s13
	ds_read_b128 v[198:201], v218 offset:1904
	ds_read_b128 v[202:205], v218 offset:1920
	;; [unrolled: 1-line block ×4, first 2 shown]
	scratch_load_dwordx4 v[214:217], off, s15
	s_add_i32 s15, s14, 0x390
	s_add_i32 s12, s12, 8
	s_addk_i32 s13, 0x80
	v_cmp_eq_u32_e32 vcc, s12, v6
	s_waitcnt vmcnt(0) lgkmcnt(3)
	v_mul_f64 v[64:65], v[200:201], v[216:217]
	v_fma_f64 v[64:65], v[198:199], v[214:215], -v[64:65]
	v_mul_f64 v[198:199], v[198:199], v[216:217]
	v_fmac_f64_e32 v[198:199], v[200:201], v[214:215]
	v_add_f64 v[64:65], v[2:3], v[64:65]
	v_add_f64 v[198:199], v[4:5], v[198:199]
	scratch_load_dwordx4 v[2:5], off, s15
	s_add_i32 s15, s14, 0x3a0
	s_waitcnt vmcnt(0) lgkmcnt(2)
	v_mul_f64 v[200:201], v[204:205], v[4:5]
	v_mul_f64 v[4:5], v[202:203], v[4:5]
	v_fmac_f64_e32 v[4:5], v[204:205], v[2:3]
	v_fma_f64 v[200:201], v[202:203], v[2:3], -v[200:201]
	v_add_f64 v[198:199], v[198:199], v[4:5]
	scratch_load_dwordx4 v[2:5], off, s15
	v_add_f64 v[64:65], v[64:65], v[200:201]
	s_add_i32 s15, s14, 0x3b0
	s_waitcnt vmcnt(0) lgkmcnt(1)
	v_mul_f64 v[200:201], v[208:209], v[4:5]
	v_mul_f64 v[4:5], v[206:207], v[4:5]
	v_fmac_f64_e32 v[4:5], v[208:209], v[2:3]
	v_fma_f64 v[200:201], v[206:207], v[2:3], -v[200:201]
	v_add_f64 v[198:199], v[198:199], v[4:5]
	scratch_load_dwordx4 v[2:5], off, s15
	v_add_f64 v[64:65], v[64:65], v[200:201]
	s_add_i32 s15, s14, 0x3c0
	s_waitcnt vmcnt(0) lgkmcnt(0)
	v_mul_f64 v[200:201], v[212:213], v[4:5]
	v_mul_f64 v[4:5], v[210:211], v[4:5]
	v_fma_f64 v[200:201], v[210:211], v[2:3], -v[200:201]
	v_fmac_f64_e32 v[4:5], v[212:213], v[2:3]
	v_add_f64 v[64:65], v[64:65], v[200:201]
	v_add_f64 v[202:203], v[198:199], v[4:5]
	scratch_load_dwordx4 v[198:201], off, s15
	ds_read_b128 v[2:5], v218 offset:1968
	s_add_i32 s15, s14, 0x3d0
	s_waitcnt vmcnt(0) lgkmcnt(0)
	v_mul_f64 v[204:205], v[4:5], v[200:201]
	v_fma_f64 v[204:205], v[2:3], v[198:199], -v[204:205]
	v_mul_f64 v[2:3], v[2:3], v[200:201]
	v_fmac_f64_e32 v[2:3], v[4:5], v[198:199]
	scratch_load_dwordx4 v[198:201], off, s15
	v_add_f64 v[202:203], v[202:203], v[2:3]
	ds_read_b128 v[2:5], v218 offset:1984
	v_add_f64 v[64:65], v[64:65], v[204:205]
	s_add_i32 s15, s14, 0x3e0
	s_addk_i32 s14, 0x3f0
	s_or_b64 s[10:11], vcc, s[10:11]
	s_waitcnt vmcnt(0) lgkmcnt(0)
	v_mul_f64 v[204:205], v[4:5], v[200:201]
	v_fma_f64 v[204:205], v[2:3], v[198:199], -v[204:205]
	v_mul_f64 v[2:3], v[2:3], v[200:201]
	v_fmac_f64_e32 v[2:3], v[4:5], v[198:199]
	scratch_load_dwordx4 v[198:201], off, s15
	v_add_f64 v[202:203], v[202:203], v[2:3]
	ds_read_b128 v[2:5], v218 offset:2000
	v_add_f64 v[64:65], v[64:65], v[204:205]
	s_waitcnt vmcnt(0) lgkmcnt(0)
	v_mul_f64 v[204:205], v[4:5], v[200:201]
	v_fma_f64 v[204:205], v[2:3], v[198:199], -v[204:205]
	v_mul_f64 v[2:3], v[2:3], v[200:201]
	v_fmac_f64_e32 v[2:3], v[4:5], v[198:199]
	scratch_load_dwordx4 v[198:201], off, s14
	v_add_f64 v[202:203], v[202:203], v[2:3]
	ds_read_b128 v[2:5], v218 offset:2016
	v_add_f64 v[64:65], v[64:65], v[204:205]
	s_waitcnt vmcnt(0) lgkmcnt(0)
	v_mul_f64 v[204:205], v[4:5], v[200:201]
	v_mul_f64 v[200:201], v[2:3], v[200:201]
	v_fma_f64 v[204:205], v[2:3], v[198:199], -v[204:205]
	v_fmac_f64_e32 v[200:201], v[4:5], v[198:199]
	v_add_f64 v[2:3], v[64:65], v[204:205]
	v_add_f64 v[4:5], v[202:203], v[200:201]
	s_andn2_b64 exec, exec, s[10:11]
	s_cbranch_execnz .LBB126_81
; %bb.82:
	s_or_b64 exec, exec, s[10:11]
.LBB126_83:
	s_or_b64 exec, exec, s[2:3]
	v_and_b32_e32 v7, 7, v0
	v_cmp_ne_u32_e32 vcc, 0, v7
	s_and_saveexec_b64 s[2:3], vcc
	s_cbranch_execz .LBB126_87
; %bb.84:
	v_lshlrev_b32_e32 v64, 4, v6
	v_add_u32_e32 v6, 0x3f0, v64
	v_add_u32_e32 v198, 0, v64
	s_mov_b64 s[10:11], 0
.LBB126_85:                             ; =>This Inner Loop Header: Depth=1
	scratch_load_dwordx4 v[200:203], v198, off
	ds_read_b128 v[204:207], v6
	v_add_u32_e32 v7, -1, v7
	v_cmp_eq_u32_e32 vcc, 0, v7
	v_add_u32_e32 v6, 16, v6
	v_add_u32_e32 v198, 16, v198
	s_or_b64 s[10:11], vcc, s[10:11]
	s_waitcnt vmcnt(0) lgkmcnt(0)
	v_mul_f64 v[64:65], v[206:207], v[202:203]
	v_mul_f64 v[202:203], v[204:205], v[202:203]
	v_fma_f64 v[64:65], v[204:205], v[200:201], -v[64:65]
	v_fmac_f64_e32 v[202:203], v[206:207], v[200:201]
	v_add_f64 v[2:3], v[2:3], v[64:65]
	v_add_f64 v[4:5], v[4:5], v[202:203]
	s_andn2_b64 exec, exec, s[10:11]
	s_cbranch_execnz .LBB126_85
; %bb.86:
	s_or_b64 exec, exec, s[10:11]
.LBB126_87:
	s_or_b64 exec, exec, s[2:3]
.LBB126_88:
	s_or_b64 exec, exec, s[8:9]
	v_mov_b32_e32 v6, 0
	ds_read_b128 v[198:201], v6 offset:880
	s_waitcnt lgkmcnt(0)
	v_mul_f64 v[6:7], v[4:5], v[200:201]
	v_mul_f64 v[202:203], v[2:3], v[200:201]
	v_fma_f64 v[200:201], v[2:3], v[198:199], -v[6:7]
	v_fmac_f64_e32 v[202:203], v[4:5], v[198:199]
	scratch_store_dwordx4 off, v[200:203], off offset:880
.LBB126_89:
	s_or_b64 exec, exec, s[0:1]
	scratch_load_dwordx4 v[2:5], v144, off
	v_cmp_lt_u32_e64 s[0:1], 54, v0
	s_waitcnt vmcnt(0)
	ds_write_b128 v9, v[2:5]
	s_waitcnt lgkmcnt(0)
	; wave barrier
	s_waitcnt lgkmcnt(0)
	s_and_saveexec_b64 s[2:3], s[0:1]
	s_cbranch_execz .LBB126_103
; %bb.90:
	ds_read_b128 v[2:5], v9
	s_andn2_b64 vcc, exec, s[6:7]
	s_cbranch_vccnz .LBB126_92
; %bb.91:
	scratch_load_dwordx4 v[198:201], v8, off
	s_waitcnt vmcnt(0) lgkmcnt(0)
	v_mul_f64 v[64:65], v[2:3], v[200:201]
	v_mul_f64 v[6:7], v[4:5], v[200:201]
	v_fmac_f64_e32 v[64:65], v[4:5], v[198:199]
	v_fma_f64 v[2:3], v[2:3], v[198:199], -v[6:7]
	v_mov_b64_e32 v[4:5], v[64:65]
.LBB126_92:
	s_and_saveexec_b64 s[8:9], s[4:5]
	s_cbranch_execz .LBB126_102
; %bb.93:
	v_subrev_u32_e32 v7, 56, v0
	v_subrev_u32_e32 v6, 55, v0
	v_cmp_lt_u32_e32 vcc, 6, v7
	v_mov_b32_e32 v199, 55
	s_and_saveexec_b64 s[4:5], vcc
	s_cbranch_execz .LBB126_97
; %bb.94:
	v_and_b32_e32 v7, -8, v6
	s_mov_b32 s12, 0
	s_mov_b64 s[10:11], 0
	v_mov_b32_e32 v198, 0
	s_mov_b32 s13, 0
.LBB126_95:                             ; =>This Inner Loop Header: Depth=1
	v_readfirstlane_b32 s14, v198
	s_add_i32 s14, s14, s12
	s_add_i32 s15, s14, 0x370
	v_mov_b32_e32 v199, s12
	ds_read_b128 v[200:203], v199 offset:1888
	ds_read_b128 v[204:207], v199 offset:1904
	ds_read_b128 v[208:211], v199 offset:1920
	ds_read_b128 v[212:215], v199 offset:1936
	scratch_load_dwordx4 v[216:219], off, s15
	s_add_i32 s15, s14, 0x380
	s_addk_i32 s12, 0x80
	s_waitcnt vmcnt(0) lgkmcnt(3)
	v_mul_f64 v[64:65], v[202:203], v[218:219]
	v_fma_f64 v[64:65], v[200:201], v[216:217], -v[64:65]
	v_mul_f64 v[200:201], v[200:201], v[218:219]
	v_fmac_f64_e32 v[200:201], v[202:203], v[216:217]
	v_add_f64 v[64:65], v[2:3], v[64:65]
	v_add_f64 v[200:201], v[4:5], v[200:201]
	scratch_load_dwordx4 v[2:5], off, s15
	s_add_i32 s15, s14, 0x390
	s_waitcnt vmcnt(0) lgkmcnt(2)
	v_mul_f64 v[202:203], v[206:207], v[4:5]
	v_mul_f64 v[4:5], v[204:205], v[4:5]
	v_fmac_f64_e32 v[4:5], v[206:207], v[2:3]
	v_fma_f64 v[202:203], v[204:205], v[2:3], -v[202:203]
	v_add_f64 v[200:201], v[200:201], v[4:5]
	scratch_load_dwordx4 v[2:5], off, s15
	v_add_f64 v[64:65], v[64:65], v[202:203]
	s_add_i32 s15, s14, 0x3a0
	s_waitcnt vmcnt(0) lgkmcnt(1)
	v_mul_f64 v[202:203], v[210:211], v[4:5]
	v_mul_f64 v[4:5], v[208:209], v[4:5]
	v_fmac_f64_e32 v[4:5], v[210:211], v[2:3]
	v_fma_f64 v[202:203], v[208:209], v[2:3], -v[202:203]
	v_add_f64 v[200:201], v[200:201], v[4:5]
	scratch_load_dwordx4 v[2:5], off, s15
	v_add_f64 v[64:65], v[64:65], v[202:203]
	s_add_i32 s15, s14, 0x3b0
	s_waitcnt vmcnt(0) lgkmcnt(0)
	v_mul_f64 v[202:203], v[214:215], v[4:5]
	v_mul_f64 v[4:5], v[212:213], v[4:5]
	v_fma_f64 v[202:203], v[212:213], v[2:3], -v[202:203]
	v_fmac_f64_e32 v[4:5], v[214:215], v[2:3]
	v_add_f64 v[64:65], v[64:65], v[202:203]
	v_add_f64 v[204:205], v[200:201], v[4:5]
	scratch_load_dwordx4 v[200:203], off, s15
	ds_read_b128 v[2:5], v199 offset:1952
	s_add_i32 s15, s14, 0x3c0
	s_waitcnt vmcnt(0) lgkmcnt(0)
	v_mul_f64 v[206:207], v[4:5], v[202:203]
	v_fma_f64 v[206:207], v[2:3], v[200:201], -v[206:207]
	v_mul_f64 v[2:3], v[2:3], v[202:203]
	v_fmac_f64_e32 v[2:3], v[4:5], v[200:201]
	scratch_load_dwordx4 v[200:203], off, s15
	v_add_f64 v[204:205], v[204:205], v[2:3]
	ds_read_b128 v[2:5], v199 offset:1968
	v_add_f64 v[64:65], v[64:65], v[206:207]
	s_add_i32 s15, s14, 0x3d0
	s_addk_i32 s14, 0x3e0
	s_waitcnt vmcnt(0) lgkmcnt(0)
	v_mul_f64 v[206:207], v[4:5], v[202:203]
	v_fma_f64 v[206:207], v[2:3], v[200:201], -v[206:207]
	v_mul_f64 v[2:3], v[2:3], v[202:203]
	v_fmac_f64_e32 v[2:3], v[4:5], v[200:201]
	scratch_load_dwordx4 v[200:203], off, s15
	v_add_f64 v[204:205], v[204:205], v[2:3]
	ds_read_b128 v[2:5], v199 offset:1984
	v_add_f64 v[64:65], v[64:65], v[206:207]
	s_waitcnt vmcnt(0) lgkmcnt(0)
	v_mul_f64 v[206:207], v[4:5], v[202:203]
	v_fma_f64 v[206:207], v[2:3], v[200:201], -v[206:207]
	v_mul_f64 v[2:3], v[2:3], v[202:203]
	v_fmac_f64_e32 v[2:3], v[4:5], v[200:201]
	scratch_load_dwordx4 v[200:203], off, s14
	v_add_f64 v[204:205], v[204:205], v[2:3]
	ds_read_b128 v[2:5], v199 offset:2000
	v_add_f64 v[64:65], v[64:65], v[206:207]
	s_add_i32 s14, s13, 8
	v_cmp_eq_u32_e32 vcc, s14, v7
	s_add_i32 s13, s13, 63
	s_or_b64 s[10:11], vcc, s[10:11]
	v_mov_b32_e32 v199, s13
	s_mov_b32 s13, s14
	s_waitcnt vmcnt(0) lgkmcnt(0)
	v_mul_f64 v[206:207], v[4:5], v[202:203]
	v_mul_f64 v[202:203], v[2:3], v[202:203]
	v_fma_f64 v[206:207], v[2:3], v[200:201], -v[206:207]
	v_fmac_f64_e32 v[202:203], v[4:5], v[200:201]
	v_add_f64 v[2:3], v[64:65], v[206:207]
	v_add_f64 v[4:5], v[204:205], v[202:203]
	s_andn2_b64 exec, exec, s[10:11]
	s_cbranch_execnz .LBB126_95
; %bb.96:
	s_or_b64 exec, exec, s[10:11]
.LBB126_97:
	s_or_b64 exec, exec, s[4:5]
	v_and_b32_e32 v6, 7, v6
	v_cmp_ne_u32_e32 vcc, 0, v6
	s_and_saveexec_b64 s[4:5], vcc
	s_cbranch_execz .LBB126_101
; %bb.98:
	v_lshlrev_b32_e32 v64, 4, v199
	v_add_u32_e32 v7, 0x3f0, v64
	v_add_u32_e32 v198, 0, v64
	s_mov_b64 s[10:11], 0
.LBB126_99:                             ; =>This Inner Loop Header: Depth=1
	scratch_load_dwordx4 v[200:203], v198, off
	ds_read_b128 v[204:207], v7
	v_add_u32_e32 v6, -1, v6
	v_cmp_eq_u32_e32 vcc, 0, v6
	v_add_u32_e32 v7, 16, v7
	v_add_u32_e32 v198, 16, v198
	s_or_b64 s[10:11], vcc, s[10:11]
	s_waitcnt vmcnt(0) lgkmcnt(0)
	v_mul_f64 v[64:65], v[206:207], v[202:203]
	v_mul_f64 v[202:203], v[204:205], v[202:203]
	v_fma_f64 v[64:65], v[204:205], v[200:201], -v[64:65]
	v_fmac_f64_e32 v[202:203], v[206:207], v[200:201]
	v_add_f64 v[2:3], v[2:3], v[64:65]
	v_add_f64 v[4:5], v[4:5], v[202:203]
	s_andn2_b64 exec, exec, s[10:11]
	s_cbranch_execnz .LBB126_99
; %bb.100:
	s_or_b64 exec, exec, s[10:11]
.LBB126_101:
	s_or_b64 exec, exec, s[4:5]
.LBB126_102:
	s_or_b64 exec, exec, s[8:9]
	v_mov_b32_e32 v6, 0
	ds_read_b128 v[198:201], v6 offset:864
	s_waitcnt lgkmcnt(0)
	v_mul_f64 v[6:7], v[4:5], v[200:201]
	v_mul_f64 v[202:203], v[2:3], v[200:201]
	v_fma_f64 v[200:201], v[2:3], v[198:199], -v[6:7]
	v_fmac_f64_e32 v[202:203], v[4:5], v[198:199]
	scratch_store_dwordx4 off, v[200:203], off offset:864
.LBB126_103:
	s_or_b64 exec, exec, s[2:3]
	scratch_load_dwordx4 v[2:5], v145, off
	v_cmp_lt_u32_e64 s[2:3], 53, v0
	s_waitcnt vmcnt(0)
	ds_write_b128 v9, v[2:5]
	s_waitcnt lgkmcnt(0)
	; wave barrier
	s_waitcnt lgkmcnt(0)
	s_and_saveexec_b64 s[4:5], s[2:3]
	s_cbranch_execz .LBB126_117
; %bb.104:
	ds_read_b128 v[2:5], v9
	s_andn2_b64 vcc, exec, s[6:7]
	s_cbranch_vccnz .LBB126_106
; %bb.105:
	scratch_load_dwordx4 v[198:201], v8, off
	s_waitcnt vmcnt(0) lgkmcnt(0)
	v_mul_f64 v[64:65], v[2:3], v[200:201]
	v_mul_f64 v[6:7], v[4:5], v[200:201]
	v_fmac_f64_e32 v[64:65], v[4:5], v[198:199]
	v_fma_f64 v[2:3], v[2:3], v[198:199], -v[6:7]
	v_mov_b64_e32 v[4:5], v[64:65]
.LBB126_106:
	s_and_saveexec_b64 s[8:9], s[0:1]
	s_cbranch_execz .LBB126_116
; %bb.107:
	v_subrev_u32_e32 v7, 55, v0
	v_subrev_u32_e32 v6, 54, v0
	v_cmp_lt_u32_e32 vcc, 6, v7
	v_mov_b32_e32 v199, 54
	s_and_saveexec_b64 s[0:1], vcc
	s_cbranch_execz .LBB126_111
; %bb.108:
	v_and_b32_e32 v7, -8, v6
	s_mov_b32 s12, 0
	s_mov_b64 s[10:11], 0
	v_mov_b32_e32 v198, 0
	s_mov_b32 s13, 0
.LBB126_109:                            ; =>This Inner Loop Header: Depth=1
	v_readfirstlane_b32 s14, v198
	s_add_i32 s14, s14, s12
	s_add_i32 s15, s14, 0x360
	v_mov_b32_e32 v199, s12
	ds_read_b128 v[200:203], v199 offset:1872
	ds_read_b128 v[204:207], v199 offset:1888
	;; [unrolled: 1-line block ×4, first 2 shown]
	scratch_load_dwordx4 v[216:219], off, s15
	s_add_i32 s15, s14, 0x370
	s_addk_i32 s12, 0x80
	s_waitcnt vmcnt(0) lgkmcnt(3)
	v_mul_f64 v[64:65], v[202:203], v[218:219]
	v_fma_f64 v[64:65], v[200:201], v[216:217], -v[64:65]
	v_mul_f64 v[200:201], v[200:201], v[218:219]
	v_fmac_f64_e32 v[200:201], v[202:203], v[216:217]
	v_add_f64 v[64:65], v[2:3], v[64:65]
	v_add_f64 v[200:201], v[4:5], v[200:201]
	scratch_load_dwordx4 v[2:5], off, s15
	s_add_i32 s15, s14, 0x380
	s_waitcnt vmcnt(0) lgkmcnt(2)
	v_mul_f64 v[202:203], v[206:207], v[4:5]
	v_mul_f64 v[4:5], v[204:205], v[4:5]
	v_fmac_f64_e32 v[4:5], v[206:207], v[2:3]
	v_fma_f64 v[202:203], v[204:205], v[2:3], -v[202:203]
	v_add_f64 v[200:201], v[200:201], v[4:5]
	scratch_load_dwordx4 v[2:5], off, s15
	v_add_f64 v[64:65], v[64:65], v[202:203]
	s_add_i32 s15, s14, 0x390
	s_waitcnt vmcnt(0) lgkmcnt(1)
	v_mul_f64 v[202:203], v[210:211], v[4:5]
	v_mul_f64 v[4:5], v[208:209], v[4:5]
	v_fmac_f64_e32 v[4:5], v[210:211], v[2:3]
	v_fma_f64 v[202:203], v[208:209], v[2:3], -v[202:203]
	v_add_f64 v[200:201], v[200:201], v[4:5]
	scratch_load_dwordx4 v[2:5], off, s15
	v_add_f64 v[64:65], v[64:65], v[202:203]
	s_add_i32 s15, s14, 0x3a0
	s_waitcnt vmcnt(0) lgkmcnt(0)
	v_mul_f64 v[202:203], v[214:215], v[4:5]
	v_mul_f64 v[4:5], v[212:213], v[4:5]
	v_fma_f64 v[202:203], v[212:213], v[2:3], -v[202:203]
	v_fmac_f64_e32 v[4:5], v[214:215], v[2:3]
	v_add_f64 v[64:65], v[64:65], v[202:203]
	v_add_f64 v[204:205], v[200:201], v[4:5]
	scratch_load_dwordx4 v[200:203], off, s15
	ds_read_b128 v[2:5], v199 offset:1936
	s_add_i32 s15, s14, 0x3b0
	s_waitcnt vmcnt(0) lgkmcnt(0)
	v_mul_f64 v[206:207], v[4:5], v[202:203]
	v_fma_f64 v[206:207], v[2:3], v[200:201], -v[206:207]
	v_mul_f64 v[2:3], v[2:3], v[202:203]
	v_fmac_f64_e32 v[2:3], v[4:5], v[200:201]
	scratch_load_dwordx4 v[200:203], off, s15
	v_add_f64 v[204:205], v[204:205], v[2:3]
	ds_read_b128 v[2:5], v199 offset:1952
	v_add_f64 v[64:65], v[64:65], v[206:207]
	s_add_i32 s15, s14, 0x3c0
	s_addk_i32 s14, 0x3d0
	s_waitcnt vmcnt(0) lgkmcnt(0)
	v_mul_f64 v[206:207], v[4:5], v[202:203]
	v_fma_f64 v[206:207], v[2:3], v[200:201], -v[206:207]
	v_mul_f64 v[2:3], v[2:3], v[202:203]
	v_fmac_f64_e32 v[2:3], v[4:5], v[200:201]
	scratch_load_dwordx4 v[200:203], off, s15
	v_add_f64 v[204:205], v[204:205], v[2:3]
	ds_read_b128 v[2:5], v199 offset:1968
	v_add_f64 v[64:65], v[64:65], v[206:207]
	s_waitcnt vmcnt(0) lgkmcnt(0)
	v_mul_f64 v[206:207], v[4:5], v[202:203]
	v_fma_f64 v[206:207], v[2:3], v[200:201], -v[206:207]
	v_mul_f64 v[2:3], v[2:3], v[202:203]
	v_fmac_f64_e32 v[2:3], v[4:5], v[200:201]
	scratch_load_dwordx4 v[200:203], off, s14
	v_add_f64 v[204:205], v[204:205], v[2:3]
	ds_read_b128 v[2:5], v199 offset:1984
	v_add_f64 v[64:65], v[64:65], v[206:207]
	s_add_i32 s14, s13, 8
	v_cmp_eq_u32_e32 vcc, s14, v7
	s_add_i32 s13, s13, 62
	s_or_b64 s[10:11], vcc, s[10:11]
	v_mov_b32_e32 v199, s13
	s_mov_b32 s13, s14
	s_waitcnt vmcnt(0) lgkmcnt(0)
	v_mul_f64 v[206:207], v[4:5], v[202:203]
	v_mul_f64 v[202:203], v[2:3], v[202:203]
	v_fma_f64 v[206:207], v[2:3], v[200:201], -v[206:207]
	v_fmac_f64_e32 v[202:203], v[4:5], v[200:201]
	v_add_f64 v[2:3], v[64:65], v[206:207]
	v_add_f64 v[4:5], v[204:205], v[202:203]
	s_andn2_b64 exec, exec, s[10:11]
	s_cbranch_execnz .LBB126_109
; %bb.110:
	s_or_b64 exec, exec, s[10:11]
.LBB126_111:
	s_or_b64 exec, exec, s[0:1]
	v_and_b32_e32 v6, 7, v6
	v_cmp_ne_u32_e32 vcc, 0, v6
	s_and_saveexec_b64 s[0:1], vcc
	s_cbranch_execz .LBB126_115
; %bb.112:
	v_lshlrev_b32_e32 v64, 4, v199
	v_add_u32_e32 v7, 0x3f0, v64
	v_add_u32_e32 v198, 0, v64
	s_mov_b64 s[10:11], 0
.LBB126_113:                            ; =>This Inner Loop Header: Depth=1
	scratch_load_dwordx4 v[200:203], v198, off
	ds_read_b128 v[204:207], v7
	v_add_u32_e32 v6, -1, v6
	v_cmp_eq_u32_e32 vcc, 0, v6
	v_add_u32_e32 v7, 16, v7
	v_add_u32_e32 v198, 16, v198
	s_or_b64 s[10:11], vcc, s[10:11]
	s_waitcnt vmcnt(0) lgkmcnt(0)
	v_mul_f64 v[64:65], v[206:207], v[202:203]
	v_mul_f64 v[202:203], v[204:205], v[202:203]
	v_fma_f64 v[64:65], v[204:205], v[200:201], -v[64:65]
	v_fmac_f64_e32 v[202:203], v[206:207], v[200:201]
	v_add_f64 v[2:3], v[2:3], v[64:65]
	v_add_f64 v[4:5], v[4:5], v[202:203]
	s_andn2_b64 exec, exec, s[10:11]
	s_cbranch_execnz .LBB126_113
; %bb.114:
	s_or_b64 exec, exec, s[10:11]
.LBB126_115:
	s_or_b64 exec, exec, s[0:1]
.LBB126_116:
	s_or_b64 exec, exec, s[8:9]
	v_mov_b32_e32 v6, 0
	ds_read_b128 v[198:201], v6 offset:848
	s_waitcnt lgkmcnt(0)
	v_mul_f64 v[6:7], v[4:5], v[200:201]
	v_mul_f64 v[202:203], v[2:3], v[200:201]
	v_fma_f64 v[200:201], v[2:3], v[198:199], -v[6:7]
	v_fmac_f64_e32 v[202:203], v[4:5], v[198:199]
	scratch_store_dwordx4 off, v[200:203], off offset:848
.LBB126_117:
	s_or_b64 exec, exec, s[4:5]
	scratch_load_dwordx4 v[2:5], v146, off
	v_cmp_lt_u32_e64 s[0:1], 52, v0
	s_waitcnt vmcnt(0)
	ds_write_b128 v9, v[2:5]
	s_waitcnt lgkmcnt(0)
	; wave barrier
	s_waitcnt lgkmcnt(0)
	s_and_saveexec_b64 s[4:5], s[0:1]
	s_cbranch_execz .LBB126_131
; %bb.118:
	ds_read_b128 v[2:5], v9
	s_andn2_b64 vcc, exec, s[6:7]
	s_cbranch_vccnz .LBB126_120
; %bb.119:
	scratch_load_dwordx4 v[198:201], v8, off
	s_waitcnt vmcnt(0) lgkmcnt(0)
	v_mul_f64 v[64:65], v[2:3], v[200:201]
	v_mul_f64 v[6:7], v[4:5], v[200:201]
	v_fmac_f64_e32 v[64:65], v[4:5], v[198:199]
	v_fma_f64 v[2:3], v[2:3], v[198:199], -v[6:7]
	v_mov_b64_e32 v[4:5], v[64:65]
.LBB126_120:
	s_and_saveexec_b64 s[8:9], s[2:3]
	s_cbranch_execz .LBB126_130
; %bb.121:
	v_subrev_u32_e32 v7, 54, v0
	v_subrev_u32_e32 v6, 53, v0
	v_cmp_lt_u32_e32 vcc, 6, v7
	v_mov_b32_e32 v199, 53
	s_and_saveexec_b64 s[2:3], vcc
	s_cbranch_execz .LBB126_125
; %bb.122:
	v_and_b32_e32 v7, -8, v6
	s_mov_b32 s12, 0
	s_mov_b64 s[10:11], 0
	v_mov_b32_e32 v198, 0
	s_mov_b32 s13, 0
.LBB126_123:                            ; =>This Inner Loop Header: Depth=1
	v_readfirstlane_b32 s14, v198
	s_add_i32 s14, s14, s12
	s_add_i32 s15, s14, 0x350
	v_mov_b32_e32 v199, s12
	ds_read_b128 v[200:203], v199 offset:1856
	ds_read_b128 v[204:207], v199 offset:1872
	;; [unrolled: 1-line block ×4, first 2 shown]
	scratch_load_dwordx4 v[216:219], off, s15
	s_add_i32 s15, s14, 0x360
	s_addk_i32 s12, 0x80
	s_waitcnt vmcnt(0) lgkmcnt(3)
	v_mul_f64 v[64:65], v[202:203], v[218:219]
	v_fma_f64 v[64:65], v[200:201], v[216:217], -v[64:65]
	v_mul_f64 v[200:201], v[200:201], v[218:219]
	v_fmac_f64_e32 v[200:201], v[202:203], v[216:217]
	v_add_f64 v[64:65], v[2:3], v[64:65]
	v_add_f64 v[200:201], v[4:5], v[200:201]
	scratch_load_dwordx4 v[2:5], off, s15
	s_add_i32 s15, s14, 0x370
	s_waitcnt vmcnt(0) lgkmcnt(2)
	v_mul_f64 v[202:203], v[206:207], v[4:5]
	v_mul_f64 v[4:5], v[204:205], v[4:5]
	v_fmac_f64_e32 v[4:5], v[206:207], v[2:3]
	v_fma_f64 v[202:203], v[204:205], v[2:3], -v[202:203]
	v_add_f64 v[200:201], v[200:201], v[4:5]
	scratch_load_dwordx4 v[2:5], off, s15
	v_add_f64 v[64:65], v[64:65], v[202:203]
	s_add_i32 s15, s14, 0x380
	s_waitcnt vmcnt(0) lgkmcnt(1)
	v_mul_f64 v[202:203], v[210:211], v[4:5]
	v_mul_f64 v[4:5], v[208:209], v[4:5]
	v_fmac_f64_e32 v[4:5], v[210:211], v[2:3]
	v_fma_f64 v[202:203], v[208:209], v[2:3], -v[202:203]
	v_add_f64 v[200:201], v[200:201], v[4:5]
	scratch_load_dwordx4 v[2:5], off, s15
	v_add_f64 v[64:65], v[64:65], v[202:203]
	s_add_i32 s15, s14, 0x390
	s_waitcnt vmcnt(0) lgkmcnt(0)
	v_mul_f64 v[202:203], v[214:215], v[4:5]
	v_mul_f64 v[4:5], v[212:213], v[4:5]
	v_fma_f64 v[202:203], v[212:213], v[2:3], -v[202:203]
	v_fmac_f64_e32 v[4:5], v[214:215], v[2:3]
	v_add_f64 v[64:65], v[64:65], v[202:203]
	v_add_f64 v[204:205], v[200:201], v[4:5]
	scratch_load_dwordx4 v[200:203], off, s15
	ds_read_b128 v[2:5], v199 offset:1920
	s_add_i32 s15, s14, 0x3a0
	s_waitcnt vmcnt(0) lgkmcnt(0)
	v_mul_f64 v[206:207], v[4:5], v[202:203]
	v_fma_f64 v[206:207], v[2:3], v[200:201], -v[206:207]
	v_mul_f64 v[2:3], v[2:3], v[202:203]
	v_fmac_f64_e32 v[2:3], v[4:5], v[200:201]
	scratch_load_dwordx4 v[200:203], off, s15
	v_add_f64 v[204:205], v[204:205], v[2:3]
	ds_read_b128 v[2:5], v199 offset:1936
	v_add_f64 v[64:65], v[64:65], v[206:207]
	s_add_i32 s15, s14, 0x3b0
	s_addk_i32 s14, 0x3c0
	s_waitcnt vmcnt(0) lgkmcnt(0)
	v_mul_f64 v[206:207], v[4:5], v[202:203]
	v_fma_f64 v[206:207], v[2:3], v[200:201], -v[206:207]
	v_mul_f64 v[2:3], v[2:3], v[202:203]
	v_fmac_f64_e32 v[2:3], v[4:5], v[200:201]
	scratch_load_dwordx4 v[200:203], off, s15
	v_add_f64 v[204:205], v[204:205], v[2:3]
	ds_read_b128 v[2:5], v199 offset:1952
	v_add_f64 v[64:65], v[64:65], v[206:207]
	s_waitcnt vmcnt(0) lgkmcnt(0)
	v_mul_f64 v[206:207], v[4:5], v[202:203]
	v_fma_f64 v[206:207], v[2:3], v[200:201], -v[206:207]
	v_mul_f64 v[2:3], v[2:3], v[202:203]
	v_fmac_f64_e32 v[2:3], v[4:5], v[200:201]
	scratch_load_dwordx4 v[200:203], off, s14
	v_add_f64 v[204:205], v[204:205], v[2:3]
	ds_read_b128 v[2:5], v199 offset:1968
	v_add_f64 v[64:65], v[64:65], v[206:207]
	s_add_i32 s14, s13, 8
	v_cmp_eq_u32_e32 vcc, s14, v7
	s_add_i32 s13, s13, 61
	s_or_b64 s[10:11], vcc, s[10:11]
	v_mov_b32_e32 v199, s13
	s_mov_b32 s13, s14
	s_waitcnt vmcnt(0) lgkmcnt(0)
	v_mul_f64 v[206:207], v[4:5], v[202:203]
	v_mul_f64 v[202:203], v[2:3], v[202:203]
	v_fma_f64 v[206:207], v[2:3], v[200:201], -v[206:207]
	v_fmac_f64_e32 v[202:203], v[4:5], v[200:201]
	v_add_f64 v[2:3], v[64:65], v[206:207]
	v_add_f64 v[4:5], v[204:205], v[202:203]
	s_andn2_b64 exec, exec, s[10:11]
	s_cbranch_execnz .LBB126_123
; %bb.124:
	s_or_b64 exec, exec, s[10:11]
.LBB126_125:
	s_or_b64 exec, exec, s[2:3]
	v_and_b32_e32 v6, 7, v6
	v_cmp_ne_u32_e32 vcc, 0, v6
	s_and_saveexec_b64 s[2:3], vcc
	s_cbranch_execz .LBB126_129
; %bb.126:
	v_lshlrev_b32_e32 v64, 4, v199
	v_add_u32_e32 v7, 0x3f0, v64
	v_add_u32_e32 v198, 0, v64
	s_mov_b64 s[10:11], 0
.LBB126_127:                            ; =>This Inner Loop Header: Depth=1
	scratch_load_dwordx4 v[200:203], v198, off
	ds_read_b128 v[204:207], v7
	v_add_u32_e32 v6, -1, v6
	v_cmp_eq_u32_e32 vcc, 0, v6
	v_add_u32_e32 v7, 16, v7
	v_add_u32_e32 v198, 16, v198
	s_or_b64 s[10:11], vcc, s[10:11]
	s_waitcnt vmcnt(0) lgkmcnt(0)
	v_mul_f64 v[64:65], v[206:207], v[202:203]
	v_mul_f64 v[202:203], v[204:205], v[202:203]
	v_fma_f64 v[64:65], v[204:205], v[200:201], -v[64:65]
	v_fmac_f64_e32 v[202:203], v[206:207], v[200:201]
	v_add_f64 v[2:3], v[2:3], v[64:65]
	v_add_f64 v[4:5], v[4:5], v[202:203]
	s_andn2_b64 exec, exec, s[10:11]
	s_cbranch_execnz .LBB126_127
; %bb.128:
	s_or_b64 exec, exec, s[10:11]
.LBB126_129:
	s_or_b64 exec, exec, s[2:3]
.LBB126_130:
	s_or_b64 exec, exec, s[8:9]
	v_mov_b32_e32 v6, 0
	ds_read_b128 v[198:201], v6 offset:832
	s_waitcnt lgkmcnt(0)
	v_mul_f64 v[6:7], v[4:5], v[200:201]
	v_mul_f64 v[202:203], v[2:3], v[200:201]
	v_fma_f64 v[200:201], v[2:3], v[198:199], -v[6:7]
	v_fmac_f64_e32 v[202:203], v[4:5], v[198:199]
	scratch_store_dwordx4 off, v[200:203], off offset:832
.LBB126_131:
	s_or_b64 exec, exec, s[4:5]
	scratch_load_dwordx4 v[2:5], v147, off
	v_cmp_lt_u32_e64 s[2:3], 51, v0
	s_waitcnt vmcnt(0)
	ds_write_b128 v9, v[2:5]
	s_waitcnt lgkmcnt(0)
	; wave barrier
	s_waitcnt lgkmcnt(0)
	s_and_saveexec_b64 s[4:5], s[2:3]
	s_cbranch_execz .LBB126_145
; %bb.132:
	ds_read_b128 v[2:5], v9
	s_andn2_b64 vcc, exec, s[6:7]
	s_cbranch_vccnz .LBB126_134
; %bb.133:
	scratch_load_dwordx4 v[198:201], v8, off
	s_waitcnt vmcnt(0) lgkmcnt(0)
	v_mul_f64 v[64:65], v[2:3], v[200:201]
	v_mul_f64 v[6:7], v[4:5], v[200:201]
	v_fmac_f64_e32 v[64:65], v[4:5], v[198:199]
	v_fma_f64 v[2:3], v[2:3], v[198:199], -v[6:7]
	v_mov_b64_e32 v[4:5], v[64:65]
.LBB126_134:
	s_and_saveexec_b64 s[8:9], s[0:1]
	s_cbranch_execz .LBB126_144
; %bb.135:
	v_subrev_u32_e32 v7, 53, v0
	v_subrev_u32_e32 v6, 52, v0
	v_cmp_lt_u32_e32 vcc, 6, v7
	v_mov_b32_e32 v199, 52
	s_and_saveexec_b64 s[0:1], vcc
	s_cbranch_execz .LBB126_139
; %bb.136:
	v_and_b32_e32 v7, -8, v6
	s_mov_b32 s12, 0
	s_mov_b64 s[10:11], 0
	v_mov_b32_e32 v198, 0
	s_mov_b32 s13, 0
.LBB126_137:                            ; =>This Inner Loop Header: Depth=1
	v_readfirstlane_b32 s14, v198
	s_add_i32 s14, s14, s12
	s_add_i32 s15, s14, 0x340
	v_mov_b32_e32 v199, s12
	ds_read_b128 v[200:203], v199 offset:1840
	ds_read_b128 v[204:207], v199 offset:1856
	ds_read_b128 v[208:211], v199 offset:1872
	ds_read_b128 v[212:215], v199 offset:1888
	scratch_load_dwordx4 v[216:219], off, s15
	s_add_i32 s15, s14, 0x350
	s_addk_i32 s12, 0x80
	s_waitcnt vmcnt(0) lgkmcnt(3)
	v_mul_f64 v[64:65], v[202:203], v[218:219]
	v_fma_f64 v[64:65], v[200:201], v[216:217], -v[64:65]
	v_mul_f64 v[200:201], v[200:201], v[218:219]
	v_fmac_f64_e32 v[200:201], v[202:203], v[216:217]
	v_add_f64 v[64:65], v[2:3], v[64:65]
	v_add_f64 v[200:201], v[4:5], v[200:201]
	scratch_load_dwordx4 v[2:5], off, s15
	s_add_i32 s15, s14, 0x360
	s_waitcnt vmcnt(0) lgkmcnt(2)
	v_mul_f64 v[202:203], v[206:207], v[4:5]
	v_mul_f64 v[4:5], v[204:205], v[4:5]
	v_fmac_f64_e32 v[4:5], v[206:207], v[2:3]
	v_fma_f64 v[202:203], v[204:205], v[2:3], -v[202:203]
	v_add_f64 v[200:201], v[200:201], v[4:5]
	scratch_load_dwordx4 v[2:5], off, s15
	v_add_f64 v[64:65], v[64:65], v[202:203]
	s_add_i32 s15, s14, 0x370
	s_waitcnt vmcnt(0) lgkmcnt(1)
	v_mul_f64 v[202:203], v[210:211], v[4:5]
	v_mul_f64 v[4:5], v[208:209], v[4:5]
	v_fmac_f64_e32 v[4:5], v[210:211], v[2:3]
	v_fma_f64 v[202:203], v[208:209], v[2:3], -v[202:203]
	v_add_f64 v[200:201], v[200:201], v[4:5]
	scratch_load_dwordx4 v[2:5], off, s15
	v_add_f64 v[64:65], v[64:65], v[202:203]
	s_add_i32 s15, s14, 0x380
	s_waitcnt vmcnt(0) lgkmcnt(0)
	v_mul_f64 v[202:203], v[214:215], v[4:5]
	v_mul_f64 v[4:5], v[212:213], v[4:5]
	v_fma_f64 v[202:203], v[212:213], v[2:3], -v[202:203]
	v_fmac_f64_e32 v[4:5], v[214:215], v[2:3]
	v_add_f64 v[64:65], v[64:65], v[202:203]
	v_add_f64 v[204:205], v[200:201], v[4:5]
	scratch_load_dwordx4 v[200:203], off, s15
	ds_read_b128 v[2:5], v199 offset:1904
	s_add_i32 s15, s14, 0x390
	s_waitcnt vmcnt(0) lgkmcnt(0)
	v_mul_f64 v[206:207], v[4:5], v[202:203]
	v_fma_f64 v[206:207], v[2:3], v[200:201], -v[206:207]
	v_mul_f64 v[2:3], v[2:3], v[202:203]
	v_fmac_f64_e32 v[2:3], v[4:5], v[200:201]
	scratch_load_dwordx4 v[200:203], off, s15
	v_add_f64 v[204:205], v[204:205], v[2:3]
	ds_read_b128 v[2:5], v199 offset:1920
	v_add_f64 v[64:65], v[64:65], v[206:207]
	s_add_i32 s15, s14, 0x3a0
	s_addk_i32 s14, 0x3b0
	s_waitcnt vmcnt(0) lgkmcnt(0)
	v_mul_f64 v[206:207], v[4:5], v[202:203]
	v_fma_f64 v[206:207], v[2:3], v[200:201], -v[206:207]
	v_mul_f64 v[2:3], v[2:3], v[202:203]
	v_fmac_f64_e32 v[2:3], v[4:5], v[200:201]
	scratch_load_dwordx4 v[200:203], off, s15
	v_add_f64 v[204:205], v[204:205], v[2:3]
	ds_read_b128 v[2:5], v199 offset:1936
	v_add_f64 v[64:65], v[64:65], v[206:207]
	s_waitcnt vmcnt(0) lgkmcnt(0)
	v_mul_f64 v[206:207], v[4:5], v[202:203]
	v_fma_f64 v[206:207], v[2:3], v[200:201], -v[206:207]
	v_mul_f64 v[2:3], v[2:3], v[202:203]
	v_fmac_f64_e32 v[2:3], v[4:5], v[200:201]
	scratch_load_dwordx4 v[200:203], off, s14
	v_add_f64 v[204:205], v[204:205], v[2:3]
	ds_read_b128 v[2:5], v199 offset:1952
	v_add_f64 v[64:65], v[64:65], v[206:207]
	s_add_i32 s14, s13, 8
	v_cmp_eq_u32_e32 vcc, s14, v7
	s_add_i32 s13, s13, 60
	s_or_b64 s[10:11], vcc, s[10:11]
	v_mov_b32_e32 v199, s13
	s_mov_b32 s13, s14
	s_waitcnt vmcnt(0) lgkmcnt(0)
	v_mul_f64 v[206:207], v[4:5], v[202:203]
	v_mul_f64 v[202:203], v[2:3], v[202:203]
	v_fma_f64 v[206:207], v[2:3], v[200:201], -v[206:207]
	v_fmac_f64_e32 v[202:203], v[4:5], v[200:201]
	v_add_f64 v[2:3], v[64:65], v[206:207]
	v_add_f64 v[4:5], v[204:205], v[202:203]
	s_andn2_b64 exec, exec, s[10:11]
	s_cbranch_execnz .LBB126_137
; %bb.138:
	s_or_b64 exec, exec, s[10:11]
.LBB126_139:
	s_or_b64 exec, exec, s[0:1]
	v_and_b32_e32 v6, 7, v6
	v_cmp_ne_u32_e32 vcc, 0, v6
	s_and_saveexec_b64 s[0:1], vcc
	s_cbranch_execz .LBB126_143
; %bb.140:
	v_lshlrev_b32_e32 v64, 4, v199
	v_add_u32_e32 v7, 0x3f0, v64
	v_add_u32_e32 v198, 0, v64
	s_mov_b64 s[10:11], 0
.LBB126_141:                            ; =>This Inner Loop Header: Depth=1
	scratch_load_dwordx4 v[200:203], v198, off
	ds_read_b128 v[204:207], v7
	v_add_u32_e32 v6, -1, v6
	v_cmp_eq_u32_e32 vcc, 0, v6
	v_add_u32_e32 v7, 16, v7
	v_add_u32_e32 v198, 16, v198
	s_or_b64 s[10:11], vcc, s[10:11]
	s_waitcnt vmcnt(0) lgkmcnt(0)
	v_mul_f64 v[64:65], v[206:207], v[202:203]
	v_mul_f64 v[202:203], v[204:205], v[202:203]
	v_fma_f64 v[64:65], v[204:205], v[200:201], -v[64:65]
	v_fmac_f64_e32 v[202:203], v[206:207], v[200:201]
	v_add_f64 v[2:3], v[2:3], v[64:65]
	v_add_f64 v[4:5], v[4:5], v[202:203]
	s_andn2_b64 exec, exec, s[10:11]
	s_cbranch_execnz .LBB126_141
; %bb.142:
	s_or_b64 exec, exec, s[10:11]
.LBB126_143:
	s_or_b64 exec, exec, s[0:1]
.LBB126_144:
	s_or_b64 exec, exec, s[8:9]
	v_mov_b32_e32 v6, 0
	ds_read_b128 v[198:201], v6 offset:816
	s_waitcnt lgkmcnt(0)
	v_mul_f64 v[6:7], v[4:5], v[200:201]
	v_mul_f64 v[202:203], v[2:3], v[200:201]
	v_fma_f64 v[200:201], v[2:3], v[198:199], -v[6:7]
	v_fmac_f64_e32 v[202:203], v[4:5], v[198:199]
	scratch_store_dwordx4 off, v[200:203], off offset:816
.LBB126_145:
	s_or_b64 exec, exec, s[4:5]
	scratch_load_dwordx4 v[2:5], v148, off
	v_cmp_lt_u32_e64 s[0:1], 50, v0
	s_waitcnt vmcnt(0)
	ds_write_b128 v9, v[2:5]
	s_waitcnt lgkmcnt(0)
	; wave barrier
	s_waitcnt lgkmcnt(0)
	s_and_saveexec_b64 s[4:5], s[0:1]
	s_cbranch_execz .LBB126_159
; %bb.146:
	ds_read_b128 v[2:5], v9
	s_andn2_b64 vcc, exec, s[6:7]
	s_cbranch_vccnz .LBB126_148
; %bb.147:
	scratch_load_dwordx4 v[198:201], v8, off
	s_waitcnt vmcnt(0) lgkmcnt(0)
	v_mul_f64 v[64:65], v[2:3], v[200:201]
	v_mul_f64 v[6:7], v[4:5], v[200:201]
	v_fmac_f64_e32 v[64:65], v[4:5], v[198:199]
	v_fma_f64 v[2:3], v[2:3], v[198:199], -v[6:7]
	v_mov_b64_e32 v[4:5], v[64:65]
.LBB126_148:
	s_and_saveexec_b64 s[8:9], s[2:3]
	s_cbranch_execz .LBB126_158
; %bb.149:
	v_subrev_u32_e32 v7, 52, v0
	v_subrev_u32_e32 v6, 51, v0
	v_cmp_lt_u32_e32 vcc, 6, v7
	v_mov_b32_e32 v199, 51
	s_and_saveexec_b64 s[2:3], vcc
	s_cbranch_execz .LBB126_153
; %bb.150:
	v_and_b32_e32 v7, -8, v6
	s_mov_b32 s12, 0
	s_mov_b64 s[10:11], 0
	v_mov_b32_e32 v198, 0
	s_mov_b32 s13, 0
.LBB126_151:                            ; =>This Inner Loop Header: Depth=1
	v_readfirstlane_b32 s14, v198
	s_add_i32 s14, s14, s12
	s_add_i32 s15, s14, 0x330
	v_mov_b32_e32 v199, s12
	ds_read_b128 v[200:203], v199 offset:1824
	ds_read_b128 v[204:207], v199 offset:1840
	;; [unrolled: 1-line block ×4, first 2 shown]
	scratch_load_dwordx4 v[216:219], off, s15
	s_add_i32 s15, s14, 0x340
	s_addk_i32 s12, 0x80
	s_waitcnt vmcnt(0) lgkmcnt(3)
	v_mul_f64 v[64:65], v[202:203], v[218:219]
	v_fma_f64 v[64:65], v[200:201], v[216:217], -v[64:65]
	v_mul_f64 v[200:201], v[200:201], v[218:219]
	v_fmac_f64_e32 v[200:201], v[202:203], v[216:217]
	v_add_f64 v[64:65], v[2:3], v[64:65]
	v_add_f64 v[200:201], v[4:5], v[200:201]
	scratch_load_dwordx4 v[2:5], off, s15
	s_add_i32 s15, s14, 0x350
	s_waitcnt vmcnt(0) lgkmcnt(2)
	v_mul_f64 v[202:203], v[206:207], v[4:5]
	v_mul_f64 v[4:5], v[204:205], v[4:5]
	v_fmac_f64_e32 v[4:5], v[206:207], v[2:3]
	v_fma_f64 v[202:203], v[204:205], v[2:3], -v[202:203]
	v_add_f64 v[200:201], v[200:201], v[4:5]
	scratch_load_dwordx4 v[2:5], off, s15
	v_add_f64 v[64:65], v[64:65], v[202:203]
	s_add_i32 s15, s14, 0x360
	s_waitcnt vmcnt(0) lgkmcnt(1)
	v_mul_f64 v[202:203], v[210:211], v[4:5]
	v_mul_f64 v[4:5], v[208:209], v[4:5]
	v_fmac_f64_e32 v[4:5], v[210:211], v[2:3]
	v_fma_f64 v[202:203], v[208:209], v[2:3], -v[202:203]
	v_add_f64 v[200:201], v[200:201], v[4:5]
	scratch_load_dwordx4 v[2:5], off, s15
	v_add_f64 v[64:65], v[64:65], v[202:203]
	s_add_i32 s15, s14, 0x370
	s_waitcnt vmcnt(0) lgkmcnt(0)
	v_mul_f64 v[202:203], v[214:215], v[4:5]
	v_mul_f64 v[4:5], v[212:213], v[4:5]
	v_fma_f64 v[202:203], v[212:213], v[2:3], -v[202:203]
	v_fmac_f64_e32 v[4:5], v[214:215], v[2:3]
	v_add_f64 v[64:65], v[64:65], v[202:203]
	v_add_f64 v[204:205], v[200:201], v[4:5]
	scratch_load_dwordx4 v[200:203], off, s15
	ds_read_b128 v[2:5], v199 offset:1888
	s_add_i32 s15, s14, 0x380
	s_waitcnt vmcnt(0) lgkmcnt(0)
	v_mul_f64 v[206:207], v[4:5], v[202:203]
	v_fma_f64 v[206:207], v[2:3], v[200:201], -v[206:207]
	v_mul_f64 v[2:3], v[2:3], v[202:203]
	v_fmac_f64_e32 v[2:3], v[4:5], v[200:201]
	scratch_load_dwordx4 v[200:203], off, s15
	v_add_f64 v[204:205], v[204:205], v[2:3]
	ds_read_b128 v[2:5], v199 offset:1904
	v_add_f64 v[64:65], v[64:65], v[206:207]
	s_add_i32 s15, s14, 0x390
	s_addk_i32 s14, 0x3a0
	s_waitcnt vmcnt(0) lgkmcnt(0)
	v_mul_f64 v[206:207], v[4:5], v[202:203]
	v_fma_f64 v[206:207], v[2:3], v[200:201], -v[206:207]
	v_mul_f64 v[2:3], v[2:3], v[202:203]
	v_fmac_f64_e32 v[2:3], v[4:5], v[200:201]
	scratch_load_dwordx4 v[200:203], off, s15
	v_add_f64 v[204:205], v[204:205], v[2:3]
	ds_read_b128 v[2:5], v199 offset:1920
	v_add_f64 v[64:65], v[64:65], v[206:207]
	s_waitcnt vmcnt(0) lgkmcnt(0)
	v_mul_f64 v[206:207], v[4:5], v[202:203]
	v_fma_f64 v[206:207], v[2:3], v[200:201], -v[206:207]
	v_mul_f64 v[2:3], v[2:3], v[202:203]
	v_fmac_f64_e32 v[2:3], v[4:5], v[200:201]
	scratch_load_dwordx4 v[200:203], off, s14
	v_add_f64 v[204:205], v[204:205], v[2:3]
	ds_read_b128 v[2:5], v199 offset:1936
	v_add_f64 v[64:65], v[64:65], v[206:207]
	s_add_i32 s14, s13, 8
	v_cmp_eq_u32_e32 vcc, s14, v7
	s_add_i32 s13, s13, 59
	s_or_b64 s[10:11], vcc, s[10:11]
	v_mov_b32_e32 v199, s13
	s_mov_b32 s13, s14
	s_waitcnt vmcnt(0) lgkmcnt(0)
	v_mul_f64 v[206:207], v[4:5], v[202:203]
	v_mul_f64 v[202:203], v[2:3], v[202:203]
	v_fma_f64 v[206:207], v[2:3], v[200:201], -v[206:207]
	v_fmac_f64_e32 v[202:203], v[4:5], v[200:201]
	v_add_f64 v[2:3], v[64:65], v[206:207]
	v_add_f64 v[4:5], v[204:205], v[202:203]
	s_andn2_b64 exec, exec, s[10:11]
	s_cbranch_execnz .LBB126_151
; %bb.152:
	s_or_b64 exec, exec, s[10:11]
.LBB126_153:
	s_or_b64 exec, exec, s[2:3]
	v_and_b32_e32 v6, 7, v6
	v_cmp_ne_u32_e32 vcc, 0, v6
	s_and_saveexec_b64 s[2:3], vcc
	s_cbranch_execz .LBB126_157
; %bb.154:
	v_lshlrev_b32_e32 v64, 4, v199
	v_add_u32_e32 v7, 0x3f0, v64
	v_add_u32_e32 v198, 0, v64
	s_mov_b64 s[10:11], 0
.LBB126_155:                            ; =>This Inner Loop Header: Depth=1
	scratch_load_dwordx4 v[200:203], v198, off
	ds_read_b128 v[204:207], v7
	v_add_u32_e32 v6, -1, v6
	v_cmp_eq_u32_e32 vcc, 0, v6
	v_add_u32_e32 v7, 16, v7
	v_add_u32_e32 v198, 16, v198
	s_or_b64 s[10:11], vcc, s[10:11]
	s_waitcnt vmcnt(0) lgkmcnt(0)
	v_mul_f64 v[64:65], v[206:207], v[202:203]
	v_mul_f64 v[202:203], v[204:205], v[202:203]
	v_fma_f64 v[64:65], v[204:205], v[200:201], -v[64:65]
	v_fmac_f64_e32 v[202:203], v[206:207], v[200:201]
	v_add_f64 v[2:3], v[2:3], v[64:65]
	v_add_f64 v[4:5], v[4:5], v[202:203]
	s_andn2_b64 exec, exec, s[10:11]
	s_cbranch_execnz .LBB126_155
; %bb.156:
	s_or_b64 exec, exec, s[10:11]
.LBB126_157:
	s_or_b64 exec, exec, s[2:3]
.LBB126_158:
	s_or_b64 exec, exec, s[8:9]
	v_mov_b32_e32 v6, 0
	ds_read_b128 v[198:201], v6 offset:800
	s_waitcnt lgkmcnt(0)
	v_mul_f64 v[6:7], v[4:5], v[200:201]
	v_mul_f64 v[202:203], v[2:3], v[200:201]
	v_fma_f64 v[200:201], v[2:3], v[198:199], -v[6:7]
	v_fmac_f64_e32 v[202:203], v[4:5], v[198:199]
	scratch_store_dwordx4 off, v[200:203], off offset:800
.LBB126_159:
	s_or_b64 exec, exec, s[4:5]
	scratch_load_dwordx4 v[2:5], v149, off
	v_cmp_lt_u32_e64 s[2:3], 49, v0
	s_waitcnt vmcnt(0)
	ds_write_b128 v9, v[2:5]
	s_waitcnt lgkmcnt(0)
	; wave barrier
	s_waitcnt lgkmcnt(0)
	s_and_saveexec_b64 s[4:5], s[2:3]
	s_cbranch_execz .LBB126_173
; %bb.160:
	ds_read_b128 v[2:5], v9
	s_andn2_b64 vcc, exec, s[6:7]
	s_cbranch_vccnz .LBB126_162
; %bb.161:
	scratch_load_dwordx4 v[198:201], v8, off
	s_waitcnt vmcnt(0) lgkmcnt(0)
	v_mul_f64 v[64:65], v[2:3], v[200:201]
	v_mul_f64 v[6:7], v[4:5], v[200:201]
	v_fmac_f64_e32 v[64:65], v[4:5], v[198:199]
	v_fma_f64 v[2:3], v[2:3], v[198:199], -v[6:7]
	v_mov_b64_e32 v[4:5], v[64:65]
.LBB126_162:
	s_and_saveexec_b64 s[8:9], s[0:1]
	s_cbranch_execz .LBB126_172
; %bb.163:
	v_subrev_u32_e32 v7, 51, v0
	v_subrev_u32_e32 v6, 50, v0
	v_cmp_lt_u32_e32 vcc, 6, v7
	v_mov_b32_e32 v199, 50
	s_and_saveexec_b64 s[0:1], vcc
	s_cbranch_execz .LBB126_167
; %bb.164:
	v_and_b32_e32 v7, -8, v6
	s_mov_b32 s12, 0
	s_mov_b64 s[10:11], 0
	v_mov_b32_e32 v198, 0
	s_mov_b32 s13, 0
.LBB126_165:                            ; =>This Inner Loop Header: Depth=1
	v_readfirstlane_b32 s14, v198
	s_add_i32 s14, s14, s12
	s_add_i32 s15, s14, 0x320
	v_mov_b32_e32 v199, s12
	ds_read_b128 v[200:203], v199 offset:1808
	ds_read_b128 v[204:207], v199 offset:1824
	;; [unrolled: 1-line block ×4, first 2 shown]
	scratch_load_dwordx4 v[216:219], off, s15
	s_add_i32 s15, s14, 0x330
	s_addk_i32 s12, 0x80
	s_waitcnt vmcnt(0) lgkmcnt(3)
	v_mul_f64 v[64:65], v[202:203], v[218:219]
	v_fma_f64 v[64:65], v[200:201], v[216:217], -v[64:65]
	v_mul_f64 v[200:201], v[200:201], v[218:219]
	v_fmac_f64_e32 v[200:201], v[202:203], v[216:217]
	v_add_f64 v[64:65], v[2:3], v[64:65]
	v_add_f64 v[200:201], v[4:5], v[200:201]
	scratch_load_dwordx4 v[2:5], off, s15
	s_add_i32 s15, s14, 0x340
	s_waitcnt vmcnt(0) lgkmcnt(2)
	v_mul_f64 v[202:203], v[206:207], v[4:5]
	v_mul_f64 v[4:5], v[204:205], v[4:5]
	v_fmac_f64_e32 v[4:5], v[206:207], v[2:3]
	v_fma_f64 v[202:203], v[204:205], v[2:3], -v[202:203]
	v_add_f64 v[200:201], v[200:201], v[4:5]
	scratch_load_dwordx4 v[2:5], off, s15
	v_add_f64 v[64:65], v[64:65], v[202:203]
	s_add_i32 s15, s14, 0x350
	s_waitcnt vmcnt(0) lgkmcnt(1)
	v_mul_f64 v[202:203], v[210:211], v[4:5]
	v_mul_f64 v[4:5], v[208:209], v[4:5]
	v_fmac_f64_e32 v[4:5], v[210:211], v[2:3]
	v_fma_f64 v[202:203], v[208:209], v[2:3], -v[202:203]
	v_add_f64 v[200:201], v[200:201], v[4:5]
	scratch_load_dwordx4 v[2:5], off, s15
	v_add_f64 v[64:65], v[64:65], v[202:203]
	s_add_i32 s15, s14, 0x360
	s_waitcnt vmcnt(0) lgkmcnt(0)
	v_mul_f64 v[202:203], v[214:215], v[4:5]
	v_mul_f64 v[4:5], v[212:213], v[4:5]
	v_fma_f64 v[202:203], v[212:213], v[2:3], -v[202:203]
	v_fmac_f64_e32 v[4:5], v[214:215], v[2:3]
	v_add_f64 v[64:65], v[64:65], v[202:203]
	v_add_f64 v[204:205], v[200:201], v[4:5]
	scratch_load_dwordx4 v[200:203], off, s15
	ds_read_b128 v[2:5], v199 offset:1872
	s_add_i32 s15, s14, 0x370
	s_waitcnt vmcnt(0) lgkmcnt(0)
	v_mul_f64 v[206:207], v[4:5], v[202:203]
	v_fma_f64 v[206:207], v[2:3], v[200:201], -v[206:207]
	v_mul_f64 v[2:3], v[2:3], v[202:203]
	v_fmac_f64_e32 v[2:3], v[4:5], v[200:201]
	scratch_load_dwordx4 v[200:203], off, s15
	v_add_f64 v[204:205], v[204:205], v[2:3]
	ds_read_b128 v[2:5], v199 offset:1888
	v_add_f64 v[64:65], v[64:65], v[206:207]
	s_add_i32 s15, s14, 0x380
	s_addk_i32 s14, 0x390
	s_waitcnt vmcnt(0) lgkmcnt(0)
	v_mul_f64 v[206:207], v[4:5], v[202:203]
	v_fma_f64 v[206:207], v[2:3], v[200:201], -v[206:207]
	v_mul_f64 v[2:3], v[2:3], v[202:203]
	v_fmac_f64_e32 v[2:3], v[4:5], v[200:201]
	scratch_load_dwordx4 v[200:203], off, s15
	v_add_f64 v[204:205], v[204:205], v[2:3]
	ds_read_b128 v[2:5], v199 offset:1904
	v_add_f64 v[64:65], v[64:65], v[206:207]
	s_waitcnt vmcnt(0) lgkmcnt(0)
	v_mul_f64 v[206:207], v[4:5], v[202:203]
	v_fma_f64 v[206:207], v[2:3], v[200:201], -v[206:207]
	v_mul_f64 v[2:3], v[2:3], v[202:203]
	v_fmac_f64_e32 v[2:3], v[4:5], v[200:201]
	scratch_load_dwordx4 v[200:203], off, s14
	v_add_f64 v[204:205], v[204:205], v[2:3]
	ds_read_b128 v[2:5], v199 offset:1920
	v_add_f64 v[64:65], v[64:65], v[206:207]
	s_add_i32 s14, s13, 8
	v_cmp_eq_u32_e32 vcc, s14, v7
	s_add_i32 s13, s13, 58
	s_or_b64 s[10:11], vcc, s[10:11]
	v_mov_b32_e32 v199, s13
	s_mov_b32 s13, s14
	s_waitcnt vmcnt(0) lgkmcnt(0)
	v_mul_f64 v[206:207], v[4:5], v[202:203]
	v_mul_f64 v[202:203], v[2:3], v[202:203]
	v_fma_f64 v[206:207], v[2:3], v[200:201], -v[206:207]
	v_fmac_f64_e32 v[202:203], v[4:5], v[200:201]
	v_add_f64 v[2:3], v[64:65], v[206:207]
	v_add_f64 v[4:5], v[204:205], v[202:203]
	s_andn2_b64 exec, exec, s[10:11]
	s_cbranch_execnz .LBB126_165
; %bb.166:
	s_or_b64 exec, exec, s[10:11]
.LBB126_167:
	s_or_b64 exec, exec, s[0:1]
	v_and_b32_e32 v6, 7, v6
	v_cmp_ne_u32_e32 vcc, 0, v6
	s_and_saveexec_b64 s[0:1], vcc
	s_cbranch_execz .LBB126_171
; %bb.168:
	v_lshlrev_b32_e32 v64, 4, v199
	v_add_u32_e32 v7, 0x3f0, v64
	v_add_u32_e32 v198, 0, v64
	s_mov_b64 s[10:11], 0
.LBB126_169:                            ; =>This Inner Loop Header: Depth=1
	scratch_load_dwordx4 v[200:203], v198, off
	ds_read_b128 v[204:207], v7
	v_add_u32_e32 v6, -1, v6
	v_cmp_eq_u32_e32 vcc, 0, v6
	v_add_u32_e32 v7, 16, v7
	v_add_u32_e32 v198, 16, v198
	s_or_b64 s[10:11], vcc, s[10:11]
	s_waitcnt vmcnt(0) lgkmcnt(0)
	v_mul_f64 v[64:65], v[206:207], v[202:203]
	v_mul_f64 v[202:203], v[204:205], v[202:203]
	v_fma_f64 v[64:65], v[204:205], v[200:201], -v[64:65]
	v_fmac_f64_e32 v[202:203], v[206:207], v[200:201]
	v_add_f64 v[2:3], v[2:3], v[64:65]
	v_add_f64 v[4:5], v[4:5], v[202:203]
	s_andn2_b64 exec, exec, s[10:11]
	s_cbranch_execnz .LBB126_169
; %bb.170:
	s_or_b64 exec, exec, s[10:11]
.LBB126_171:
	s_or_b64 exec, exec, s[0:1]
.LBB126_172:
	s_or_b64 exec, exec, s[8:9]
	v_mov_b32_e32 v6, 0
	ds_read_b128 v[198:201], v6 offset:784
	s_waitcnt lgkmcnt(0)
	v_mul_f64 v[6:7], v[4:5], v[200:201]
	v_mul_f64 v[202:203], v[2:3], v[200:201]
	v_fma_f64 v[200:201], v[2:3], v[198:199], -v[6:7]
	v_fmac_f64_e32 v[202:203], v[4:5], v[198:199]
	scratch_store_dwordx4 off, v[200:203], off offset:784
.LBB126_173:
	s_or_b64 exec, exec, s[4:5]
	scratch_load_dwordx4 v[2:5], v150, off
	v_cmp_lt_u32_e64 s[0:1], 48, v0
	s_waitcnt vmcnt(0)
	ds_write_b128 v9, v[2:5]
	s_waitcnt lgkmcnt(0)
	; wave barrier
	s_waitcnt lgkmcnt(0)
	s_and_saveexec_b64 s[4:5], s[0:1]
	s_cbranch_execz .LBB126_187
; %bb.174:
	ds_read_b128 v[2:5], v9
	s_andn2_b64 vcc, exec, s[6:7]
	s_cbranch_vccnz .LBB126_176
; %bb.175:
	scratch_load_dwordx4 v[198:201], v8, off
	s_waitcnt vmcnt(0) lgkmcnt(0)
	v_mul_f64 v[64:65], v[2:3], v[200:201]
	v_mul_f64 v[6:7], v[4:5], v[200:201]
	v_fmac_f64_e32 v[64:65], v[4:5], v[198:199]
	v_fma_f64 v[2:3], v[2:3], v[198:199], -v[6:7]
	v_mov_b64_e32 v[4:5], v[64:65]
.LBB126_176:
	s_and_saveexec_b64 s[8:9], s[2:3]
	s_cbranch_execz .LBB126_186
; %bb.177:
	v_subrev_u32_e32 v7, 50, v0
	v_subrev_u32_e32 v6, 49, v0
	v_cmp_lt_u32_e32 vcc, 6, v7
	v_mov_b32_e32 v199, 49
	s_and_saveexec_b64 s[2:3], vcc
	s_cbranch_execz .LBB126_181
; %bb.178:
	v_and_b32_e32 v7, -8, v6
	s_mov_b32 s12, 0
	s_mov_b64 s[10:11], 0
	v_mov_b32_e32 v198, 0
	s_mov_b32 s13, 0
.LBB126_179:                            ; =>This Inner Loop Header: Depth=1
	v_readfirstlane_b32 s14, v198
	s_add_i32 s14, s14, s12
	s_add_i32 s15, s14, 0x310
	v_mov_b32_e32 v199, s12
	ds_read_b128 v[200:203], v199 offset:1792
	ds_read_b128 v[204:207], v199 offset:1808
	;; [unrolled: 1-line block ×4, first 2 shown]
	scratch_load_dwordx4 v[216:219], off, s15
	s_add_i32 s15, s14, 0x320
	s_addk_i32 s12, 0x80
	s_waitcnt vmcnt(0) lgkmcnt(3)
	v_mul_f64 v[64:65], v[202:203], v[218:219]
	v_fma_f64 v[64:65], v[200:201], v[216:217], -v[64:65]
	v_mul_f64 v[200:201], v[200:201], v[218:219]
	v_fmac_f64_e32 v[200:201], v[202:203], v[216:217]
	v_add_f64 v[64:65], v[2:3], v[64:65]
	v_add_f64 v[200:201], v[4:5], v[200:201]
	scratch_load_dwordx4 v[2:5], off, s15
	s_add_i32 s15, s14, 0x330
	s_waitcnt vmcnt(0) lgkmcnt(2)
	v_mul_f64 v[202:203], v[206:207], v[4:5]
	v_mul_f64 v[4:5], v[204:205], v[4:5]
	v_fmac_f64_e32 v[4:5], v[206:207], v[2:3]
	v_fma_f64 v[202:203], v[204:205], v[2:3], -v[202:203]
	v_add_f64 v[200:201], v[200:201], v[4:5]
	scratch_load_dwordx4 v[2:5], off, s15
	v_add_f64 v[64:65], v[64:65], v[202:203]
	s_add_i32 s15, s14, 0x340
	s_waitcnt vmcnt(0) lgkmcnt(1)
	v_mul_f64 v[202:203], v[210:211], v[4:5]
	v_mul_f64 v[4:5], v[208:209], v[4:5]
	v_fmac_f64_e32 v[4:5], v[210:211], v[2:3]
	v_fma_f64 v[202:203], v[208:209], v[2:3], -v[202:203]
	v_add_f64 v[200:201], v[200:201], v[4:5]
	scratch_load_dwordx4 v[2:5], off, s15
	v_add_f64 v[64:65], v[64:65], v[202:203]
	s_add_i32 s15, s14, 0x350
	s_waitcnt vmcnt(0) lgkmcnt(0)
	v_mul_f64 v[202:203], v[214:215], v[4:5]
	v_mul_f64 v[4:5], v[212:213], v[4:5]
	v_fma_f64 v[202:203], v[212:213], v[2:3], -v[202:203]
	v_fmac_f64_e32 v[4:5], v[214:215], v[2:3]
	v_add_f64 v[64:65], v[64:65], v[202:203]
	v_add_f64 v[204:205], v[200:201], v[4:5]
	scratch_load_dwordx4 v[200:203], off, s15
	ds_read_b128 v[2:5], v199 offset:1856
	s_add_i32 s15, s14, 0x360
	s_waitcnt vmcnt(0) lgkmcnt(0)
	v_mul_f64 v[206:207], v[4:5], v[202:203]
	v_fma_f64 v[206:207], v[2:3], v[200:201], -v[206:207]
	v_mul_f64 v[2:3], v[2:3], v[202:203]
	v_fmac_f64_e32 v[2:3], v[4:5], v[200:201]
	scratch_load_dwordx4 v[200:203], off, s15
	v_add_f64 v[204:205], v[204:205], v[2:3]
	ds_read_b128 v[2:5], v199 offset:1872
	v_add_f64 v[64:65], v[64:65], v[206:207]
	s_add_i32 s15, s14, 0x370
	s_addk_i32 s14, 0x380
	s_waitcnt vmcnt(0) lgkmcnt(0)
	v_mul_f64 v[206:207], v[4:5], v[202:203]
	v_fma_f64 v[206:207], v[2:3], v[200:201], -v[206:207]
	v_mul_f64 v[2:3], v[2:3], v[202:203]
	v_fmac_f64_e32 v[2:3], v[4:5], v[200:201]
	scratch_load_dwordx4 v[200:203], off, s15
	v_add_f64 v[204:205], v[204:205], v[2:3]
	ds_read_b128 v[2:5], v199 offset:1888
	v_add_f64 v[64:65], v[64:65], v[206:207]
	s_waitcnt vmcnt(0) lgkmcnt(0)
	v_mul_f64 v[206:207], v[4:5], v[202:203]
	v_fma_f64 v[206:207], v[2:3], v[200:201], -v[206:207]
	v_mul_f64 v[2:3], v[2:3], v[202:203]
	v_fmac_f64_e32 v[2:3], v[4:5], v[200:201]
	scratch_load_dwordx4 v[200:203], off, s14
	v_add_f64 v[204:205], v[204:205], v[2:3]
	ds_read_b128 v[2:5], v199 offset:1904
	v_add_f64 v[64:65], v[64:65], v[206:207]
	s_add_i32 s14, s13, 8
	v_cmp_eq_u32_e32 vcc, s14, v7
	s_add_i32 s13, s13, 57
	s_or_b64 s[10:11], vcc, s[10:11]
	v_mov_b32_e32 v199, s13
	s_mov_b32 s13, s14
	s_waitcnt vmcnt(0) lgkmcnt(0)
	v_mul_f64 v[206:207], v[4:5], v[202:203]
	v_mul_f64 v[202:203], v[2:3], v[202:203]
	v_fma_f64 v[206:207], v[2:3], v[200:201], -v[206:207]
	v_fmac_f64_e32 v[202:203], v[4:5], v[200:201]
	v_add_f64 v[2:3], v[64:65], v[206:207]
	v_add_f64 v[4:5], v[204:205], v[202:203]
	s_andn2_b64 exec, exec, s[10:11]
	s_cbranch_execnz .LBB126_179
; %bb.180:
	s_or_b64 exec, exec, s[10:11]
.LBB126_181:
	s_or_b64 exec, exec, s[2:3]
	v_and_b32_e32 v6, 7, v6
	v_cmp_ne_u32_e32 vcc, 0, v6
	s_and_saveexec_b64 s[2:3], vcc
	s_cbranch_execz .LBB126_185
; %bb.182:
	v_lshlrev_b32_e32 v64, 4, v199
	v_add_u32_e32 v7, 0x3f0, v64
	v_add_u32_e32 v198, 0, v64
	s_mov_b64 s[10:11], 0
.LBB126_183:                            ; =>This Inner Loop Header: Depth=1
	scratch_load_dwordx4 v[200:203], v198, off
	ds_read_b128 v[204:207], v7
	v_add_u32_e32 v6, -1, v6
	v_cmp_eq_u32_e32 vcc, 0, v6
	v_add_u32_e32 v7, 16, v7
	v_add_u32_e32 v198, 16, v198
	s_or_b64 s[10:11], vcc, s[10:11]
	s_waitcnt vmcnt(0) lgkmcnt(0)
	v_mul_f64 v[64:65], v[206:207], v[202:203]
	v_mul_f64 v[202:203], v[204:205], v[202:203]
	v_fma_f64 v[64:65], v[204:205], v[200:201], -v[64:65]
	v_fmac_f64_e32 v[202:203], v[206:207], v[200:201]
	v_add_f64 v[2:3], v[2:3], v[64:65]
	v_add_f64 v[4:5], v[4:5], v[202:203]
	s_andn2_b64 exec, exec, s[10:11]
	s_cbranch_execnz .LBB126_183
; %bb.184:
	s_or_b64 exec, exec, s[10:11]
.LBB126_185:
	s_or_b64 exec, exec, s[2:3]
.LBB126_186:
	s_or_b64 exec, exec, s[8:9]
	v_mov_b32_e32 v6, 0
	ds_read_b128 v[198:201], v6 offset:768
	s_waitcnt lgkmcnt(0)
	v_mul_f64 v[6:7], v[4:5], v[200:201]
	v_mul_f64 v[202:203], v[2:3], v[200:201]
	v_fma_f64 v[200:201], v[2:3], v[198:199], -v[6:7]
	v_fmac_f64_e32 v[202:203], v[4:5], v[198:199]
	scratch_store_dwordx4 off, v[200:203], off offset:768
.LBB126_187:
	s_or_b64 exec, exec, s[4:5]
	scratch_load_dwordx4 v[2:5], v151, off
	v_cmp_lt_u32_e64 s[2:3], 47, v0
	s_waitcnt vmcnt(0)
	ds_write_b128 v9, v[2:5]
	s_waitcnt lgkmcnt(0)
	; wave barrier
	s_waitcnt lgkmcnt(0)
	s_and_saveexec_b64 s[4:5], s[2:3]
	s_cbranch_execz .LBB126_201
; %bb.188:
	ds_read_b128 v[2:5], v9
	s_andn2_b64 vcc, exec, s[6:7]
	s_cbranch_vccnz .LBB126_190
; %bb.189:
	scratch_load_dwordx4 v[198:201], v8, off
	s_waitcnt vmcnt(0) lgkmcnt(0)
	v_mul_f64 v[64:65], v[2:3], v[200:201]
	v_mul_f64 v[6:7], v[4:5], v[200:201]
	v_fmac_f64_e32 v[64:65], v[4:5], v[198:199]
	v_fma_f64 v[2:3], v[2:3], v[198:199], -v[6:7]
	v_mov_b64_e32 v[4:5], v[64:65]
.LBB126_190:
	s_and_saveexec_b64 s[8:9], s[0:1]
	s_cbranch_execz .LBB126_200
; %bb.191:
	v_subrev_u32_e32 v6, 49, v0
	v_cmp_lt_u32_e32 vcc, 6, v6
	v_mov_b32_e32 v6, 48
	s_and_saveexec_b64 s[0:1], vcc
	s_cbranch_execz .LBB126_195
; %bb.192:
	v_and_b32_e32 v6, 56, v0
	s_mov_b32 s12, 48
	s_mov_b32 s13, 0
	s_mov_b64 s[10:11], 0
	v_mov_b32_e32 v7, 0
.LBB126_193:                            ; =>This Inner Loop Header: Depth=1
	s_nop 0
	v_readfirstlane_b32 s14, v7
	s_add_i32 s14, s14, s13
	s_add_i32 s15, s14, 0x300
	v_mov_b32_e32 v218, s13
	ds_read_b128 v[198:201], v218 offset:1776
	ds_read_b128 v[202:205], v218 offset:1792
	;; [unrolled: 1-line block ×4, first 2 shown]
	scratch_load_dwordx4 v[214:217], off, s15
	s_add_i32 s15, s14, 0x310
	s_add_i32 s12, s12, 8
	s_addk_i32 s13, 0x80
	v_cmp_eq_u32_e32 vcc, s12, v6
	s_waitcnt vmcnt(0) lgkmcnt(3)
	v_mul_f64 v[64:65], v[200:201], v[216:217]
	v_fma_f64 v[64:65], v[198:199], v[214:215], -v[64:65]
	v_mul_f64 v[198:199], v[198:199], v[216:217]
	v_fmac_f64_e32 v[198:199], v[200:201], v[214:215]
	v_add_f64 v[64:65], v[2:3], v[64:65]
	v_add_f64 v[198:199], v[4:5], v[198:199]
	scratch_load_dwordx4 v[2:5], off, s15
	s_add_i32 s15, s14, 0x320
	s_waitcnt vmcnt(0) lgkmcnt(2)
	v_mul_f64 v[200:201], v[204:205], v[4:5]
	v_mul_f64 v[4:5], v[202:203], v[4:5]
	v_fmac_f64_e32 v[4:5], v[204:205], v[2:3]
	v_fma_f64 v[200:201], v[202:203], v[2:3], -v[200:201]
	v_add_f64 v[198:199], v[198:199], v[4:5]
	scratch_load_dwordx4 v[2:5], off, s15
	v_add_f64 v[64:65], v[64:65], v[200:201]
	s_add_i32 s15, s14, 0x330
	s_waitcnt vmcnt(0) lgkmcnt(1)
	v_mul_f64 v[200:201], v[208:209], v[4:5]
	v_mul_f64 v[4:5], v[206:207], v[4:5]
	v_fmac_f64_e32 v[4:5], v[208:209], v[2:3]
	v_fma_f64 v[200:201], v[206:207], v[2:3], -v[200:201]
	v_add_f64 v[198:199], v[198:199], v[4:5]
	scratch_load_dwordx4 v[2:5], off, s15
	v_add_f64 v[64:65], v[64:65], v[200:201]
	s_add_i32 s15, s14, 0x340
	s_waitcnt vmcnt(0) lgkmcnt(0)
	v_mul_f64 v[200:201], v[212:213], v[4:5]
	v_mul_f64 v[4:5], v[210:211], v[4:5]
	v_fma_f64 v[200:201], v[210:211], v[2:3], -v[200:201]
	v_fmac_f64_e32 v[4:5], v[212:213], v[2:3]
	v_add_f64 v[64:65], v[64:65], v[200:201]
	v_add_f64 v[202:203], v[198:199], v[4:5]
	scratch_load_dwordx4 v[198:201], off, s15
	ds_read_b128 v[2:5], v218 offset:1840
	s_add_i32 s15, s14, 0x350
	s_waitcnt vmcnt(0) lgkmcnt(0)
	v_mul_f64 v[204:205], v[4:5], v[200:201]
	v_fma_f64 v[204:205], v[2:3], v[198:199], -v[204:205]
	v_mul_f64 v[2:3], v[2:3], v[200:201]
	v_fmac_f64_e32 v[2:3], v[4:5], v[198:199]
	scratch_load_dwordx4 v[198:201], off, s15
	v_add_f64 v[202:203], v[202:203], v[2:3]
	ds_read_b128 v[2:5], v218 offset:1856
	v_add_f64 v[64:65], v[64:65], v[204:205]
	s_add_i32 s15, s14, 0x360
	s_addk_i32 s14, 0x370
	s_or_b64 s[10:11], vcc, s[10:11]
	s_waitcnt vmcnt(0) lgkmcnt(0)
	v_mul_f64 v[204:205], v[4:5], v[200:201]
	v_fma_f64 v[204:205], v[2:3], v[198:199], -v[204:205]
	v_mul_f64 v[2:3], v[2:3], v[200:201]
	v_fmac_f64_e32 v[2:3], v[4:5], v[198:199]
	scratch_load_dwordx4 v[198:201], off, s15
	v_add_f64 v[202:203], v[202:203], v[2:3]
	ds_read_b128 v[2:5], v218 offset:1872
	v_add_f64 v[64:65], v[64:65], v[204:205]
	s_waitcnt vmcnt(0) lgkmcnt(0)
	v_mul_f64 v[204:205], v[4:5], v[200:201]
	v_fma_f64 v[204:205], v[2:3], v[198:199], -v[204:205]
	v_mul_f64 v[2:3], v[2:3], v[200:201]
	v_fmac_f64_e32 v[2:3], v[4:5], v[198:199]
	scratch_load_dwordx4 v[198:201], off, s14
	v_add_f64 v[202:203], v[202:203], v[2:3]
	ds_read_b128 v[2:5], v218 offset:1888
	v_add_f64 v[64:65], v[64:65], v[204:205]
	s_waitcnt vmcnt(0) lgkmcnt(0)
	v_mul_f64 v[204:205], v[4:5], v[200:201]
	v_mul_f64 v[200:201], v[2:3], v[200:201]
	v_fma_f64 v[204:205], v[2:3], v[198:199], -v[204:205]
	v_fmac_f64_e32 v[200:201], v[4:5], v[198:199]
	v_add_f64 v[2:3], v[64:65], v[204:205]
	v_add_f64 v[4:5], v[202:203], v[200:201]
	s_andn2_b64 exec, exec, s[10:11]
	s_cbranch_execnz .LBB126_193
; %bb.194:
	s_or_b64 exec, exec, s[10:11]
.LBB126_195:
	s_or_b64 exec, exec, s[0:1]
	v_and_b32_e32 v7, 7, v0
	v_cmp_ne_u32_e32 vcc, 0, v7
	s_and_saveexec_b64 s[0:1], vcc
	s_cbranch_execz .LBB126_199
; %bb.196:
	v_lshlrev_b32_e32 v64, 4, v6
	v_add_u32_e32 v6, 0x3f0, v64
	v_add_u32_e32 v198, 0, v64
	s_mov_b64 s[10:11], 0
.LBB126_197:                            ; =>This Inner Loop Header: Depth=1
	scratch_load_dwordx4 v[200:203], v198, off
	ds_read_b128 v[204:207], v6
	v_add_u32_e32 v7, -1, v7
	v_cmp_eq_u32_e32 vcc, 0, v7
	v_add_u32_e32 v6, 16, v6
	v_add_u32_e32 v198, 16, v198
	s_or_b64 s[10:11], vcc, s[10:11]
	s_waitcnt vmcnt(0) lgkmcnt(0)
	v_mul_f64 v[64:65], v[206:207], v[202:203]
	v_mul_f64 v[202:203], v[204:205], v[202:203]
	v_fma_f64 v[64:65], v[204:205], v[200:201], -v[64:65]
	v_fmac_f64_e32 v[202:203], v[206:207], v[200:201]
	v_add_f64 v[2:3], v[2:3], v[64:65]
	v_add_f64 v[4:5], v[4:5], v[202:203]
	s_andn2_b64 exec, exec, s[10:11]
	s_cbranch_execnz .LBB126_197
; %bb.198:
	s_or_b64 exec, exec, s[10:11]
.LBB126_199:
	s_or_b64 exec, exec, s[0:1]
.LBB126_200:
	s_or_b64 exec, exec, s[8:9]
	v_mov_b32_e32 v6, 0
	ds_read_b128 v[198:201], v6 offset:752
	s_waitcnt lgkmcnt(0)
	v_mul_f64 v[6:7], v[4:5], v[200:201]
	v_mul_f64 v[202:203], v[2:3], v[200:201]
	v_fma_f64 v[200:201], v[2:3], v[198:199], -v[6:7]
	v_fmac_f64_e32 v[202:203], v[4:5], v[198:199]
	scratch_store_dwordx4 off, v[200:203], off offset:752
.LBB126_201:
	s_or_b64 exec, exec, s[4:5]
	scratch_load_dwordx4 v[2:5], v152, off
	v_cmp_lt_u32_e64 s[0:1], 46, v0
	s_waitcnt vmcnt(0)
	ds_write_b128 v9, v[2:5]
	s_waitcnt lgkmcnt(0)
	; wave barrier
	s_waitcnt lgkmcnt(0)
	s_and_saveexec_b64 s[4:5], s[0:1]
	s_cbranch_execz .LBB126_215
; %bb.202:
	ds_read_b128 v[2:5], v9
	s_andn2_b64 vcc, exec, s[6:7]
	s_cbranch_vccnz .LBB126_204
; %bb.203:
	scratch_load_dwordx4 v[198:201], v8, off
	s_waitcnt vmcnt(0) lgkmcnt(0)
	v_mul_f64 v[64:65], v[2:3], v[200:201]
	v_mul_f64 v[6:7], v[4:5], v[200:201]
	v_fmac_f64_e32 v[64:65], v[4:5], v[198:199]
	v_fma_f64 v[2:3], v[2:3], v[198:199], -v[6:7]
	v_mov_b64_e32 v[4:5], v[64:65]
.LBB126_204:
	s_and_saveexec_b64 s[8:9], s[2:3]
	s_cbranch_execz .LBB126_214
; %bb.205:
	v_subrev_u32_e32 v7, 48, v0
	v_subrev_u32_e32 v6, 47, v0
	v_cmp_lt_u32_e32 vcc, 6, v7
	v_mov_b32_e32 v199, 47
	s_and_saveexec_b64 s[2:3], vcc
	s_cbranch_execz .LBB126_209
; %bb.206:
	v_and_b32_e32 v7, -8, v6
	s_mov_b32 s12, 0
	s_mov_b64 s[10:11], 0
	v_mov_b32_e32 v198, 0
	s_mov_b32 s13, 0
.LBB126_207:                            ; =>This Inner Loop Header: Depth=1
	v_readfirstlane_b32 s14, v198
	s_add_i32 s14, s14, s12
	s_add_i32 s15, s14, 0x2f0
	v_mov_b32_e32 v199, s12
	ds_read_b128 v[200:203], v199 offset:1760
	ds_read_b128 v[204:207], v199 offset:1776
	;; [unrolled: 1-line block ×4, first 2 shown]
	scratch_load_dwordx4 v[216:219], off, s15
	s_add_i32 s15, s14, 0x300
	s_addk_i32 s12, 0x80
	s_waitcnt vmcnt(0) lgkmcnt(3)
	v_mul_f64 v[64:65], v[202:203], v[218:219]
	v_fma_f64 v[64:65], v[200:201], v[216:217], -v[64:65]
	v_mul_f64 v[200:201], v[200:201], v[218:219]
	v_fmac_f64_e32 v[200:201], v[202:203], v[216:217]
	v_add_f64 v[64:65], v[2:3], v[64:65]
	v_add_f64 v[200:201], v[4:5], v[200:201]
	scratch_load_dwordx4 v[2:5], off, s15
	s_add_i32 s15, s14, 0x310
	s_waitcnt vmcnt(0) lgkmcnt(2)
	v_mul_f64 v[202:203], v[206:207], v[4:5]
	v_mul_f64 v[4:5], v[204:205], v[4:5]
	v_fmac_f64_e32 v[4:5], v[206:207], v[2:3]
	v_fma_f64 v[202:203], v[204:205], v[2:3], -v[202:203]
	v_add_f64 v[200:201], v[200:201], v[4:5]
	scratch_load_dwordx4 v[2:5], off, s15
	v_add_f64 v[64:65], v[64:65], v[202:203]
	s_add_i32 s15, s14, 0x320
	s_waitcnt vmcnt(0) lgkmcnt(1)
	v_mul_f64 v[202:203], v[210:211], v[4:5]
	v_mul_f64 v[4:5], v[208:209], v[4:5]
	v_fmac_f64_e32 v[4:5], v[210:211], v[2:3]
	v_fma_f64 v[202:203], v[208:209], v[2:3], -v[202:203]
	v_add_f64 v[200:201], v[200:201], v[4:5]
	scratch_load_dwordx4 v[2:5], off, s15
	v_add_f64 v[64:65], v[64:65], v[202:203]
	s_add_i32 s15, s14, 0x330
	s_waitcnt vmcnt(0) lgkmcnt(0)
	v_mul_f64 v[202:203], v[214:215], v[4:5]
	v_mul_f64 v[4:5], v[212:213], v[4:5]
	v_fma_f64 v[202:203], v[212:213], v[2:3], -v[202:203]
	v_fmac_f64_e32 v[4:5], v[214:215], v[2:3]
	v_add_f64 v[64:65], v[64:65], v[202:203]
	v_add_f64 v[204:205], v[200:201], v[4:5]
	scratch_load_dwordx4 v[200:203], off, s15
	ds_read_b128 v[2:5], v199 offset:1824
	s_add_i32 s15, s14, 0x340
	s_waitcnt vmcnt(0) lgkmcnt(0)
	v_mul_f64 v[206:207], v[4:5], v[202:203]
	v_fma_f64 v[206:207], v[2:3], v[200:201], -v[206:207]
	v_mul_f64 v[2:3], v[2:3], v[202:203]
	v_fmac_f64_e32 v[2:3], v[4:5], v[200:201]
	scratch_load_dwordx4 v[200:203], off, s15
	v_add_f64 v[204:205], v[204:205], v[2:3]
	ds_read_b128 v[2:5], v199 offset:1840
	v_add_f64 v[64:65], v[64:65], v[206:207]
	s_add_i32 s15, s14, 0x350
	s_addk_i32 s14, 0x360
	s_waitcnt vmcnt(0) lgkmcnt(0)
	v_mul_f64 v[206:207], v[4:5], v[202:203]
	v_fma_f64 v[206:207], v[2:3], v[200:201], -v[206:207]
	v_mul_f64 v[2:3], v[2:3], v[202:203]
	v_fmac_f64_e32 v[2:3], v[4:5], v[200:201]
	scratch_load_dwordx4 v[200:203], off, s15
	v_add_f64 v[204:205], v[204:205], v[2:3]
	ds_read_b128 v[2:5], v199 offset:1856
	v_add_f64 v[64:65], v[64:65], v[206:207]
	s_waitcnt vmcnt(0) lgkmcnt(0)
	v_mul_f64 v[206:207], v[4:5], v[202:203]
	v_fma_f64 v[206:207], v[2:3], v[200:201], -v[206:207]
	v_mul_f64 v[2:3], v[2:3], v[202:203]
	v_fmac_f64_e32 v[2:3], v[4:5], v[200:201]
	scratch_load_dwordx4 v[200:203], off, s14
	v_add_f64 v[204:205], v[204:205], v[2:3]
	ds_read_b128 v[2:5], v199 offset:1872
	v_add_f64 v[64:65], v[64:65], v[206:207]
	s_add_i32 s14, s13, 8
	v_cmp_eq_u32_e32 vcc, s14, v7
	s_add_i32 s13, s13, 55
	s_or_b64 s[10:11], vcc, s[10:11]
	v_mov_b32_e32 v199, s13
	s_mov_b32 s13, s14
	s_waitcnt vmcnt(0) lgkmcnt(0)
	v_mul_f64 v[206:207], v[4:5], v[202:203]
	v_mul_f64 v[202:203], v[2:3], v[202:203]
	v_fma_f64 v[206:207], v[2:3], v[200:201], -v[206:207]
	v_fmac_f64_e32 v[202:203], v[4:5], v[200:201]
	v_add_f64 v[2:3], v[64:65], v[206:207]
	v_add_f64 v[4:5], v[204:205], v[202:203]
	s_andn2_b64 exec, exec, s[10:11]
	s_cbranch_execnz .LBB126_207
; %bb.208:
	s_or_b64 exec, exec, s[10:11]
.LBB126_209:
	s_or_b64 exec, exec, s[2:3]
	v_and_b32_e32 v6, 7, v6
	v_cmp_ne_u32_e32 vcc, 0, v6
	s_and_saveexec_b64 s[2:3], vcc
	s_cbranch_execz .LBB126_213
; %bb.210:
	v_lshlrev_b32_e32 v64, 4, v199
	v_add_u32_e32 v7, 0x3f0, v64
	v_add_u32_e32 v198, 0, v64
	s_mov_b64 s[10:11], 0
.LBB126_211:                            ; =>This Inner Loop Header: Depth=1
	scratch_load_dwordx4 v[200:203], v198, off
	ds_read_b128 v[204:207], v7
	v_add_u32_e32 v6, -1, v6
	v_cmp_eq_u32_e32 vcc, 0, v6
	v_add_u32_e32 v7, 16, v7
	v_add_u32_e32 v198, 16, v198
	s_or_b64 s[10:11], vcc, s[10:11]
	s_waitcnt vmcnt(0) lgkmcnt(0)
	v_mul_f64 v[64:65], v[206:207], v[202:203]
	v_mul_f64 v[202:203], v[204:205], v[202:203]
	v_fma_f64 v[64:65], v[204:205], v[200:201], -v[64:65]
	v_fmac_f64_e32 v[202:203], v[206:207], v[200:201]
	v_add_f64 v[2:3], v[2:3], v[64:65]
	v_add_f64 v[4:5], v[4:5], v[202:203]
	s_andn2_b64 exec, exec, s[10:11]
	s_cbranch_execnz .LBB126_211
; %bb.212:
	s_or_b64 exec, exec, s[10:11]
.LBB126_213:
	s_or_b64 exec, exec, s[2:3]
.LBB126_214:
	s_or_b64 exec, exec, s[8:9]
	v_mov_b32_e32 v6, 0
	ds_read_b128 v[198:201], v6 offset:736
	s_waitcnt lgkmcnt(0)
	v_mul_f64 v[6:7], v[4:5], v[200:201]
	v_mul_f64 v[202:203], v[2:3], v[200:201]
	v_fma_f64 v[200:201], v[2:3], v[198:199], -v[6:7]
	v_fmac_f64_e32 v[202:203], v[4:5], v[198:199]
	scratch_store_dwordx4 off, v[200:203], off offset:736
.LBB126_215:
	s_or_b64 exec, exec, s[4:5]
	scratch_load_dwordx4 v[2:5], v153, off
	v_cmp_lt_u32_e64 s[2:3], 45, v0
	s_waitcnt vmcnt(0)
	ds_write_b128 v9, v[2:5]
	s_waitcnt lgkmcnt(0)
	; wave barrier
	s_waitcnt lgkmcnt(0)
	s_and_saveexec_b64 s[4:5], s[2:3]
	s_cbranch_execz .LBB126_229
; %bb.216:
	ds_read_b128 v[2:5], v9
	s_andn2_b64 vcc, exec, s[6:7]
	s_cbranch_vccnz .LBB126_218
; %bb.217:
	scratch_load_dwordx4 v[198:201], v8, off
	s_waitcnt vmcnt(0) lgkmcnt(0)
	v_mul_f64 v[64:65], v[2:3], v[200:201]
	v_mul_f64 v[6:7], v[4:5], v[200:201]
	v_fmac_f64_e32 v[64:65], v[4:5], v[198:199]
	v_fma_f64 v[2:3], v[2:3], v[198:199], -v[6:7]
	v_mov_b64_e32 v[4:5], v[64:65]
.LBB126_218:
	s_and_saveexec_b64 s[8:9], s[0:1]
	s_cbranch_execz .LBB126_228
; %bb.219:
	v_subrev_u32_e32 v7, 47, v0
	v_subrev_u32_e32 v6, 46, v0
	v_cmp_lt_u32_e32 vcc, 6, v7
	v_mov_b32_e32 v199, 46
	s_and_saveexec_b64 s[0:1], vcc
	s_cbranch_execz .LBB126_223
; %bb.220:
	v_and_b32_e32 v7, -8, v6
	s_mov_b32 s12, 0
	s_mov_b64 s[10:11], 0
	v_mov_b32_e32 v198, 0
	s_mov_b32 s13, 0
.LBB126_221:                            ; =>This Inner Loop Header: Depth=1
	v_readfirstlane_b32 s14, v198
	s_add_i32 s14, s14, s12
	s_add_i32 s15, s14, 0x2e0
	v_mov_b32_e32 v199, s12
	ds_read_b128 v[200:203], v199 offset:1744
	ds_read_b128 v[204:207], v199 offset:1760
	;; [unrolled: 1-line block ×4, first 2 shown]
	scratch_load_dwordx4 v[216:219], off, s15
	s_add_i32 s15, s14, 0x2f0
	s_addk_i32 s12, 0x80
	s_waitcnt vmcnt(0) lgkmcnt(3)
	v_mul_f64 v[64:65], v[202:203], v[218:219]
	v_fma_f64 v[64:65], v[200:201], v[216:217], -v[64:65]
	v_mul_f64 v[200:201], v[200:201], v[218:219]
	v_fmac_f64_e32 v[200:201], v[202:203], v[216:217]
	v_add_f64 v[64:65], v[2:3], v[64:65]
	v_add_f64 v[200:201], v[4:5], v[200:201]
	scratch_load_dwordx4 v[2:5], off, s15
	s_add_i32 s15, s14, 0x300
	s_waitcnt vmcnt(0) lgkmcnt(2)
	v_mul_f64 v[202:203], v[206:207], v[4:5]
	v_mul_f64 v[4:5], v[204:205], v[4:5]
	v_fmac_f64_e32 v[4:5], v[206:207], v[2:3]
	v_fma_f64 v[202:203], v[204:205], v[2:3], -v[202:203]
	v_add_f64 v[200:201], v[200:201], v[4:5]
	scratch_load_dwordx4 v[2:5], off, s15
	v_add_f64 v[64:65], v[64:65], v[202:203]
	s_add_i32 s15, s14, 0x310
	s_waitcnt vmcnt(0) lgkmcnt(1)
	v_mul_f64 v[202:203], v[210:211], v[4:5]
	v_mul_f64 v[4:5], v[208:209], v[4:5]
	v_fmac_f64_e32 v[4:5], v[210:211], v[2:3]
	v_fma_f64 v[202:203], v[208:209], v[2:3], -v[202:203]
	v_add_f64 v[200:201], v[200:201], v[4:5]
	scratch_load_dwordx4 v[2:5], off, s15
	v_add_f64 v[64:65], v[64:65], v[202:203]
	s_add_i32 s15, s14, 0x320
	s_waitcnt vmcnt(0) lgkmcnt(0)
	v_mul_f64 v[202:203], v[214:215], v[4:5]
	v_mul_f64 v[4:5], v[212:213], v[4:5]
	v_fma_f64 v[202:203], v[212:213], v[2:3], -v[202:203]
	v_fmac_f64_e32 v[4:5], v[214:215], v[2:3]
	v_add_f64 v[64:65], v[64:65], v[202:203]
	v_add_f64 v[204:205], v[200:201], v[4:5]
	scratch_load_dwordx4 v[200:203], off, s15
	ds_read_b128 v[2:5], v199 offset:1808
	s_add_i32 s15, s14, 0x330
	s_waitcnt vmcnt(0) lgkmcnt(0)
	v_mul_f64 v[206:207], v[4:5], v[202:203]
	v_fma_f64 v[206:207], v[2:3], v[200:201], -v[206:207]
	v_mul_f64 v[2:3], v[2:3], v[202:203]
	v_fmac_f64_e32 v[2:3], v[4:5], v[200:201]
	scratch_load_dwordx4 v[200:203], off, s15
	v_add_f64 v[204:205], v[204:205], v[2:3]
	ds_read_b128 v[2:5], v199 offset:1824
	v_add_f64 v[64:65], v[64:65], v[206:207]
	s_add_i32 s15, s14, 0x340
	s_addk_i32 s14, 0x350
	s_waitcnt vmcnt(0) lgkmcnt(0)
	v_mul_f64 v[206:207], v[4:5], v[202:203]
	v_fma_f64 v[206:207], v[2:3], v[200:201], -v[206:207]
	v_mul_f64 v[2:3], v[2:3], v[202:203]
	v_fmac_f64_e32 v[2:3], v[4:5], v[200:201]
	scratch_load_dwordx4 v[200:203], off, s15
	v_add_f64 v[204:205], v[204:205], v[2:3]
	ds_read_b128 v[2:5], v199 offset:1840
	v_add_f64 v[64:65], v[64:65], v[206:207]
	s_waitcnt vmcnt(0) lgkmcnt(0)
	v_mul_f64 v[206:207], v[4:5], v[202:203]
	v_fma_f64 v[206:207], v[2:3], v[200:201], -v[206:207]
	v_mul_f64 v[2:3], v[2:3], v[202:203]
	v_fmac_f64_e32 v[2:3], v[4:5], v[200:201]
	scratch_load_dwordx4 v[200:203], off, s14
	v_add_f64 v[204:205], v[204:205], v[2:3]
	ds_read_b128 v[2:5], v199 offset:1856
	v_add_f64 v[64:65], v[64:65], v[206:207]
	s_add_i32 s14, s13, 8
	v_cmp_eq_u32_e32 vcc, s14, v7
	s_add_i32 s13, s13, 54
	s_or_b64 s[10:11], vcc, s[10:11]
	v_mov_b32_e32 v199, s13
	s_mov_b32 s13, s14
	s_waitcnt vmcnt(0) lgkmcnt(0)
	v_mul_f64 v[206:207], v[4:5], v[202:203]
	v_mul_f64 v[202:203], v[2:3], v[202:203]
	v_fma_f64 v[206:207], v[2:3], v[200:201], -v[206:207]
	v_fmac_f64_e32 v[202:203], v[4:5], v[200:201]
	v_add_f64 v[2:3], v[64:65], v[206:207]
	v_add_f64 v[4:5], v[204:205], v[202:203]
	s_andn2_b64 exec, exec, s[10:11]
	s_cbranch_execnz .LBB126_221
; %bb.222:
	s_or_b64 exec, exec, s[10:11]
.LBB126_223:
	s_or_b64 exec, exec, s[0:1]
	v_and_b32_e32 v6, 7, v6
	v_cmp_ne_u32_e32 vcc, 0, v6
	s_and_saveexec_b64 s[0:1], vcc
	s_cbranch_execz .LBB126_227
; %bb.224:
	v_lshlrev_b32_e32 v64, 4, v199
	v_add_u32_e32 v7, 0x3f0, v64
	v_add_u32_e32 v198, 0, v64
	s_mov_b64 s[10:11], 0
.LBB126_225:                            ; =>This Inner Loop Header: Depth=1
	scratch_load_dwordx4 v[200:203], v198, off
	ds_read_b128 v[204:207], v7
	v_add_u32_e32 v6, -1, v6
	v_cmp_eq_u32_e32 vcc, 0, v6
	v_add_u32_e32 v7, 16, v7
	v_add_u32_e32 v198, 16, v198
	s_or_b64 s[10:11], vcc, s[10:11]
	s_waitcnt vmcnt(0) lgkmcnt(0)
	v_mul_f64 v[64:65], v[206:207], v[202:203]
	v_mul_f64 v[202:203], v[204:205], v[202:203]
	v_fma_f64 v[64:65], v[204:205], v[200:201], -v[64:65]
	v_fmac_f64_e32 v[202:203], v[206:207], v[200:201]
	v_add_f64 v[2:3], v[2:3], v[64:65]
	v_add_f64 v[4:5], v[4:5], v[202:203]
	s_andn2_b64 exec, exec, s[10:11]
	s_cbranch_execnz .LBB126_225
; %bb.226:
	s_or_b64 exec, exec, s[10:11]
.LBB126_227:
	s_or_b64 exec, exec, s[0:1]
.LBB126_228:
	s_or_b64 exec, exec, s[8:9]
	v_mov_b32_e32 v6, 0
	ds_read_b128 v[198:201], v6 offset:720
	s_waitcnt lgkmcnt(0)
	v_mul_f64 v[6:7], v[4:5], v[200:201]
	v_mul_f64 v[202:203], v[2:3], v[200:201]
	v_fma_f64 v[200:201], v[2:3], v[198:199], -v[6:7]
	v_fmac_f64_e32 v[202:203], v[4:5], v[198:199]
	scratch_store_dwordx4 off, v[200:203], off offset:720
.LBB126_229:
	s_or_b64 exec, exec, s[4:5]
	scratch_load_dwordx4 v[2:5], v154, off
	v_cmp_lt_u32_e64 s[0:1], 44, v0
	s_waitcnt vmcnt(0)
	ds_write_b128 v9, v[2:5]
	s_waitcnt lgkmcnt(0)
	; wave barrier
	s_waitcnt lgkmcnt(0)
	s_and_saveexec_b64 s[4:5], s[0:1]
	s_cbranch_execz .LBB126_243
; %bb.230:
	ds_read_b128 v[2:5], v9
	s_andn2_b64 vcc, exec, s[6:7]
	s_cbranch_vccnz .LBB126_232
; %bb.231:
	scratch_load_dwordx4 v[198:201], v8, off
	s_waitcnt vmcnt(0) lgkmcnt(0)
	v_mul_f64 v[64:65], v[2:3], v[200:201]
	v_mul_f64 v[6:7], v[4:5], v[200:201]
	v_fmac_f64_e32 v[64:65], v[4:5], v[198:199]
	v_fma_f64 v[2:3], v[2:3], v[198:199], -v[6:7]
	v_mov_b64_e32 v[4:5], v[64:65]
.LBB126_232:
	s_and_saveexec_b64 s[8:9], s[2:3]
	s_cbranch_execz .LBB126_242
; %bb.233:
	v_subrev_u32_e32 v7, 46, v0
	v_subrev_u32_e32 v6, 45, v0
	v_cmp_lt_u32_e32 vcc, 6, v7
	v_mov_b32_e32 v199, 45
	s_and_saveexec_b64 s[2:3], vcc
	s_cbranch_execz .LBB126_237
; %bb.234:
	v_and_b32_e32 v7, -8, v6
	s_mov_b32 s12, 0
	s_mov_b64 s[10:11], 0
	v_mov_b32_e32 v198, 0
	s_mov_b32 s13, 0
.LBB126_235:                            ; =>This Inner Loop Header: Depth=1
	v_readfirstlane_b32 s14, v198
	s_add_i32 s14, s14, s12
	s_add_i32 s15, s14, 0x2d0
	v_mov_b32_e32 v199, s12
	ds_read_b128 v[200:203], v199 offset:1728
	ds_read_b128 v[204:207], v199 offset:1744
	;; [unrolled: 1-line block ×4, first 2 shown]
	scratch_load_dwordx4 v[216:219], off, s15
	s_add_i32 s15, s14, 0x2e0
	s_addk_i32 s12, 0x80
	s_waitcnt vmcnt(0) lgkmcnt(3)
	v_mul_f64 v[64:65], v[202:203], v[218:219]
	v_fma_f64 v[64:65], v[200:201], v[216:217], -v[64:65]
	v_mul_f64 v[200:201], v[200:201], v[218:219]
	v_fmac_f64_e32 v[200:201], v[202:203], v[216:217]
	v_add_f64 v[64:65], v[2:3], v[64:65]
	v_add_f64 v[200:201], v[4:5], v[200:201]
	scratch_load_dwordx4 v[2:5], off, s15
	s_add_i32 s15, s14, 0x2f0
	s_waitcnt vmcnt(0) lgkmcnt(2)
	v_mul_f64 v[202:203], v[206:207], v[4:5]
	v_mul_f64 v[4:5], v[204:205], v[4:5]
	v_fmac_f64_e32 v[4:5], v[206:207], v[2:3]
	v_fma_f64 v[202:203], v[204:205], v[2:3], -v[202:203]
	v_add_f64 v[200:201], v[200:201], v[4:5]
	scratch_load_dwordx4 v[2:5], off, s15
	v_add_f64 v[64:65], v[64:65], v[202:203]
	s_add_i32 s15, s14, 0x300
	s_waitcnt vmcnt(0) lgkmcnt(1)
	v_mul_f64 v[202:203], v[210:211], v[4:5]
	v_mul_f64 v[4:5], v[208:209], v[4:5]
	v_fmac_f64_e32 v[4:5], v[210:211], v[2:3]
	v_fma_f64 v[202:203], v[208:209], v[2:3], -v[202:203]
	v_add_f64 v[200:201], v[200:201], v[4:5]
	scratch_load_dwordx4 v[2:5], off, s15
	v_add_f64 v[64:65], v[64:65], v[202:203]
	s_add_i32 s15, s14, 0x310
	s_waitcnt vmcnt(0) lgkmcnt(0)
	v_mul_f64 v[202:203], v[214:215], v[4:5]
	v_mul_f64 v[4:5], v[212:213], v[4:5]
	v_fma_f64 v[202:203], v[212:213], v[2:3], -v[202:203]
	v_fmac_f64_e32 v[4:5], v[214:215], v[2:3]
	v_add_f64 v[64:65], v[64:65], v[202:203]
	v_add_f64 v[204:205], v[200:201], v[4:5]
	scratch_load_dwordx4 v[200:203], off, s15
	ds_read_b128 v[2:5], v199 offset:1792
	s_add_i32 s15, s14, 0x320
	s_waitcnt vmcnt(0) lgkmcnt(0)
	v_mul_f64 v[206:207], v[4:5], v[202:203]
	v_fma_f64 v[206:207], v[2:3], v[200:201], -v[206:207]
	v_mul_f64 v[2:3], v[2:3], v[202:203]
	v_fmac_f64_e32 v[2:3], v[4:5], v[200:201]
	scratch_load_dwordx4 v[200:203], off, s15
	v_add_f64 v[204:205], v[204:205], v[2:3]
	ds_read_b128 v[2:5], v199 offset:1808
	v_add_f64 v[64:65], v[64:65], v[206:207]
	s_add_i32 s15, s14, 0x330
	s_addk_i32 s14, 0x340
	s_waitcnt vmcnt(0) lgkmcnt(0)
	v_mul_f64 v[206:207], v[4:5], v[202:203]
	v_fma_f64 v[206:207], v[2:3], v[200:201], -v[206:207]
	v_mul_f64 v[2:3], v[2:3], v[202:203]
	v_fmac_f64_e32 v[2:3], v[4:5], v[200:201]
	scratch_load_dwordx4 v[200:203], off, s15
	v_add_f64 v[204:205], v[204:205], v[2:3]
	ds_read_b128 v[2:5], v199 offset:1824
	v_add_f64 v[64:65], v[64:65], v[206:207]
	s_waitcnt vmcnt(0) lgkmcnt(0)
	v_mul_f64 v[206:207], v[4:5], v[202:203]
	v_fma_f64 v[206:207], v[2:3], v[200:201], -v[206:207]
	v_mul_f64 v[2:3], v[2:3], v[202:203]
	v_fmac_f64_e32 v[2:3], v[4:5], v[200:201]
	scratch_load_dwordx4 v[200:203], off, s14
	v_add_f64 v[204:205], v[204:205], v[2:3]
	ds_read_b128 v[2:5], v199 offset:1840
	v_add_f64 v[64:65], v[64:65], v[206:207]
	s_add_i32 s14, s13, 8
	v_cmp_eq_u32_e32 vcc, s14, v7
	s_add_i32 s13, s13, 53
	s_or_b64 s[10:11], vcc, s[10:11]
	v_mov_b32_e32 v199, s13
	s_mov_b32 s13, s14
	s_waitcnt vmcnt(0) lgkmcnt(0)
	v_mul_f64 v[206:207], v[4:5], v[202:203]
	v_mul_f64 v[202:203], v[2:3], v[202:203]
	v_fma_f64 v[206:207], v[2:3], v[200:201], -v[206:207]
	v_fmac_f64_e32 v[202:203], v[4:5], v[200:201]
	v_add_f64 v[2:3], v[64:65], v[206:207]
	v_add_f64 v[4:5], v[204:205], v[202:203]
	s_andn2_b64 exec, exec, s[10:11]
	s_cbranch_execnz .LBB126_235
; %bb.236:
	s_or_b64 exec, exec, s[10:11]
.LBB126_237:
	s_or_b64 exec, exec, s[2:3]
	v_and_b32_e32 v6, 7, v6
	v_cmp_ne_u32_e32 vcc, 0, v6
	s_and_saveexec_b64 s[2:3], vcc
	s_cbranch_execz .LBB126_241
; %bb.238:
	v_lshlrev_b32_e32 v64, 4, v199
	v_add_u32_e32 v7, 0x3f0, v64
	v_add_u32_e32 v198, 0, v64
	s_mov_b64 s[10:11], 0
.LBB126_239:                            ; =>This Inner Loop Header: Depth=1
	scratch_load_dwordx4 v[200:203], v198, off
	ds_read_b128 v[204:207], v7
	v_add_u32_e32 v6, -1, v6
	v_cmp_eq_u32_e32 vcc, 0, v6
	v_add_u32_e32 v7, 16, v7
	v_add_u32_e32 v198, 16, v198
	s_or_b64 s[10:11], vcc, s[10:11]
	s_waitcnt vmcnt(0) lgkmcnt(0)
	v_mul_f64 v[64:65], v[206:207], v[202:203]
	v_mul_f64 v[202:203], v[204:205], v[202:203]
	v_fma_f64 v[64:65], v[204:205], v[200:201], -v[64:65]
	v_fmac_f64_e32 v[202:203], v[206:207], v[200:201]
	v_add_f64 v[2:3], v[2:3], v[64:65]
	v_add_f64 v[4:5], v[4:5], v[202:203]
	s_andn2_b64 exec, exec, s[10:11]
	s_cbranch_execnz .LBB126_239
; %bb.240:
	s_or_b64 exec, exec, s[10:11]
.LBB126_241:
	s_or_b64 exec, exec, s[2:3]
.LBB126_242:
	s_or_b64 exec, exec, s[8:9]
	v_mov_b32_e32 v6, 0
	ds_read_b128 v[198:201], v6 offset:704
	s_waitcnt lgkmcnt(0)
	v_mul_f64 v[6:7], v[4:5], v[200:201]
	v_mul_f64 v[202:203], v[2:3], v[200:201]
	v_fma_f64 v[200:201], v[2:3], v[198:199], -v[6:7]
	v_fmac_f64_e32 v[202:203], v[4:5], v[198:199]
	scratch_store_dwordx4 off, v[200:203], off offset:704
.LBB126_243:
	s_or_b64 exec, exec, s[4:5]
	scratch_load_dwordx4 v[2:5], v155, off
	v_cmp_lt_u32_e64 s[2:3], 43, v0
	s_waitcnt vmcnt(0)
	ds_write_b128 v9, v[2:5]
	s_waitcnt lgkmcnt(0)
	; wave barrier
	s_waitcnt lgkmcnt(0)
	s_and_saveexec_b64 s[4:5], s[2:3]
	s_cbranch_execz .LBB126_257
; %bb.244:
	ds_read_b128 v[2:5], v9
	s_andn2_b64 vcc, exec, s[6:7]
	s_cbranch_vccnz .LBB126_246
; %bb.245:
	scratch_load_dwordx4 v[198:201], v8, off
	s_waitcnt vmcnt(0) lgkmcnt(0)
	v_mul_f64 v[64:65], v[2:3], v[200:201]
	v_mul_f64 v[6:7], v[4:5], v[200:201]
	v_fmac_f64_e32 v[64:65], v[4:5], v[198:199]
	v_fma_f64 v[2:3], v[2:3], v[198:199], -v[6:7]
	v_mov_b64_e32 v[4:5], v[64:65]
.LBB126_246:
	s_and_saveexec_b64 s[8:9], s[0:1]
	s_cbranch_execz .LBB126_256
; %bb.247:
	v_subrev_u32_e32 v7, 45, v0
	v_subrev_u32_e32 v6, 44, v0
	v_cmp_lt_u32_e32 vcc, 6, v7
	v_mov_b32_e32 v199, 44
	s_and_saveexec_b64 s[0:1], vcc
	s_cbranch_execz .LBB126_251
; %bb.248:
	v_and_b32_e32 v7, -8, v6
	s_mov_b32 s12, 0
	s_mov_b64 s[10:11], 0
	v_mov_b32_e32 v198, 0
	s_mov_b32 s13, 0
.LBB126_249:                            ; =>This Inner Loop Header: Depth=1
	v_readfirstlane_b32 s14, v198
	s_add_i32 s14, s14, s12
	s_add_i32 s15, s14, 0x2c0
	v_mov_b32_e32 v199, s12
	ds_read_b128 v[200:203], v199 offset:1712
	ds_read_b128 v[204:207], v199 offset:1728
	;; [unrolled: 1-line block ×4, first 2 shown]
	scratch_load_dwordx4 v[216:219], off, s15
	s_add_i32 s15, s14, 0x2d0
	s_addk_i32 s12, 0x80
	s_waitcnt vmcnt(0) lgkmcnt(3)
	v_mul_f64 v[64:65], v[202:203], v[218:219]
	v_fma_f64 v[64:65], v[200:201], v[216:217], -v[64:65]
	v_mul_f64 v[200:201], v[200:201], v[218:219]
	v_fmac_f64_e32 v[200:201], v[202:203], v[216:217]
	v_add_f64 v[64:65], v[2:3], v[64:65]
	v_add_f64 v[200:201], v[4:5], v[200:201]
	scratch_load_dwordx4 v[2:5], off, s15
	s_add_i32 s15, s14, 0x2e0
	s_waitcnt vmcnt(0) lgkmcnt(2)
	v_mul_f64 v[202:203], v[206:207], v[4:5]
	v_mul_f64 v[4:5], v[204:205], v[4:5]
	v_fmac_f64_e32 v[4:5], v[206:207], v[2:3]
	v_fma_f64 v[202:203], v[204:205], v[2:3], -v[202:203]
	v_add_f64 v[200:201], v[200:201], v[4:5]
	scratch_load_dwordx4 v[2:5], off, s15
	v_add_f64 v[64:65], v[64:65], v[202:203]
	s_add_i32 s15, s14, 0x2f0
	s_waitcnt vmcnt(0) lgkmcnt(1)
	v_mul_f64 v[202:203], v[210:211], v[4:5]
	v_mul_f64 v[4:5], v[208:209], v[4:5]
	v_fmac_f64_e32 v[4:5], v[210:211], v[2:3]
	v_fma_f64 v[202:203], v[208:209], v[2:3], -v[202:203]
	v_add_f64 v[200:201], v[200:201], v[4:5]
	scratch_load_dwordx4 v[2:5], off, s15
	v_add_f64 v[64:65], v[64:65], v[202:203]
	s_add_i32 s15, s14, 0x300
	s_waitcnt vmcnt(0) lgkmcnt(0)
	v_mul_f64 v[202:203], v[214:215], v[4:5]
	v_mul_f64 v[4:5], v[212:213], v[4:5]
	v_fma_f64 v[202:203], v[212:213], v[2:3], -v[202:203]
	v_fmac_f64_e32 v[4:5], v[214:215], v[2:3]
	v_add_f64 v[64:65], v[64:65], v[202:203]
	v_add_f64 v[204:205], v[200:201], v[4:5]
	scratch_load_dwordx4 v[200:203], off, s15
	ds_read_b128 v[2:5], v199 offset:1776
	s_add_i32 s15, s14, 0x310
	s_waitcnt vmcnt(0) lgkmcnt(0)
	v_mul_f64 v[206:207], v[4:5], v[202:203]
	v_fma_f64 v[206:207], v[2:3], v[200:201], -v[206:207]
	v_mul_f64 v[2:3], v[2:3], v[202:203]
	v_fmac_f64_e32 v[2:3], v[4:5], v[200:201]
	scratch_load_dwordx4 v[200:203], off, s15
	v_add_f64 v[204:205], v[204:205], v[2:3]
	ds_read_b128 v[2:5], v199 offset:1792
	v_add_f64 v[64:65], v[64:65], v[206:207]
	s_add_i32 s15, s14, 0x320
	s_addk_i32 s14, 0x330
	s_waitcnt vmcnt(0) lgkmcnt(0)
	v_mul_f64 v[206:207], v[4:5], v[202:203]
	v_fma_f64 v[206:207], v[2:3], v[200:201], -v[206:207]
	v_mul_f64 v[2:3], v[2:3], v[202:203]
	v_fmac_f64_e32 v[2:3], v[4:5], v[200:201]
	scratch_load_dwordx4 v[200:203], off, s15
	v_add_f64 v[204:205], v[204:205], v[2:3]
	ds_read_b128 v[2:5], v199 offset:1808
	v_add_f64 v[64:65], v[64:65], v[206:207]
	s_waitcnt vmcnt(0) lgkmcnt(0)
	v_mul_f64 v[206:207], v[4:5], v[202:203]
	v_fma_f64 v[206:207], v[2:3], v[200:201], -v[206:207]
	v_mul_f64 v[2:3], v[2:3], v[202:203]
	v_fmac_f64_e32 v[2:3], v[4:5], v[200:201]
	scratch_load_dwordx4 v[200:203], off, s14
	v_add_f64 v[204:205], v[204:205], v[2:3]
	ds_read_b128 v[2:5], v199 offset:1824
	v_add_f64 v[64:65], v[64:65], v[206:207]
	s_add_i32 s14, s13, 8
	v_cmp_eq_u32_e32 vcc, s14, v7
	s_add_i32 s13, s13, 52
	s_or_b64 s[10:11], vcc, s[10:11]
	v_mov_b32_e32 v199, s13
	s_mov_b32 s13, s14
	s_waitcnt vmcnt(0) lgkmcnt(0)
	v_mul_f64 v[206:207], v[4:5], v[202:203]
	v_mul_f64 v[202:203], v[2:3], v[202:203]
	v_fma_f64 v[206:207], v[2:3], v[200:201], -v[206:207]
	v_fmac_f64_e32 v[202:203], v[4:5], v[200:201]
	v_add_f64 v[2:3], v[64:65], v[206:207]
	v_add_f64 v[4:5], v[204:205], v[202:203]
	s_andn2_b64 exec, exec, s[10:11]
	s_cbranch_execnz .LBB126_249
; %bb.250:
	s_or_b64 exec, exec, s[10:11]
.LBB126_251:
	s_or_b64 exec, exec, s[0:1]
	v_and_b32_e32 v6, 7, v6
	v_cmp_ne_u32_e32 vcc, 0, v6
	s_and_saveexec_b64 s[0:1], vcc
	s_cbranch_execz .LBB126_255
; %bb.252:
	v_lshlrev_b32_e32 v64, 4, v199
	v_add_u32_e32 v7, 0x3f0, v64
	v_add_u32_e32 v198, 0, v64
	s_mov_b64 s[10:11], 0
.LBB126_253:                            ; =>This Inner Loop Header: Depth=1
	scratch_load_dwordx4 v[200:203], v198, off
	ds_read_b128 v[204:207], v7
	v_add_u32_e32 v6, -1, v6
	v_cmp_eq_u32_e32 vcc, 0, v6
	v_add_u32_e32 v7, 16, v7
	v_add_u32_e32 v198, 16, v198
	s_or_b64 s[10:11], vcc, s[10:11]
	s_waitcnt vmcnt(0) lgkmcnt(0)
	v_mul_f64 v[64:65], v[206:207], v[202:203]
	v_mul_f64 v[202:203], v[204:205], v[202:203]
	v_fma_f64 v[64:65], v[204:205], v[200:201], -v[64:65]
	v_fmac_f64_e32 v[202:203], v[206:207], v[200:201]
	v_add_f64 v[2:3], v[2:3], v[64:65]
	v_add_f64 v[4:5], v[4:5], v[202:203]
	s_andn2_b64 exec, exec, s[10:11]
	s_cbranch_execnz .LBB126_253
; %bb.254:
	s_or_b64 exec, exec, s[10:11]
.LBB126_255:
	s_or_b64 exec, exec, s[0:1]
.LBB126_256:
	s_or_b64 exec, exec, s[8:9]
	v_mov_b32_e32 v6, 0
	ds_read_b128 v[198:201], v6 offset:688
	s_waitcnt lgkmcnt(0)
	v_mul_f64 v[6:7], v[4:5], v[200:201]
	v_mul_f64 v[202:203], v[2:3], v[200:201]
	v_fma_f64 v[200:201], v[2:3], v[198:199], -v[6:7]
	v_fmac_f64_e32 v[202:203], v[4:5], v[198:199]
	scratch_store_dwordx4 off, v[200:203], off offset:688
.LBB126_257:
	s_or_b64 exec, exec, s[4:5]
	scratch_load_dwordx4 v[2:5], v156, off
	v_cmp_lt_u32_e64 s[0:1], 42, v0
	s_waitcnt vmcnt(0)
	ds_write_b128 v9, v[2:5]
	s_waitcnt lgkmcnt(0)
	; wave barrier
	s_waitcnt lgkmcnt(0)
	s_and_saveexec_b64 s[4:5], s[0:1]
	s_cbranch_execz .LBB126_271
; %bb.258:
	ds_read_b128 v[2:5], v9
	s_andn2_b64 vcc, exec, s[6:7]
	s_cbranch_vccnz .LBB126_260
; %bb.259:
	scratch_load_dwordx4 v[198:201], v8, off
	s_waitcnt vmcnt(0) lgkmcnt(0)
	v_mul_f64 v[64:65], v[2:3], v[200:201]
	v_mul_f64 v[6:7], v[4:5], v[200:201]
	v_fmac_f64_e32 v[64:65], v[4:5], v[198:199]
	v_fma_f64 v[2:3], v[2:3], v[198:199], -v[6:7]
	v_mov_b64_e32 v[4:5], v[64:65]
.LBB126_260:
	s_and_saveexec_b64 s[8:9], s[2:3]
	s_cbranch_execz .LBB126_270
; %bb.261:
	v_subrev_u32_e32 v7, 44, v0
	v_subrev_u32_e32 v6, 43, v0
	v_cmp_lt_u32_e32 vcc, 6, v7
	v_mov_b32_e32 v199, 43
	s_and_saveexec_b64 s[2:3], vcc
	s_cbranch_execz .LBB126_265
; %bb.262:
	v_and_b32_e32 v7, -8, v6
	s_mov_b32 s12, 0
	s_mov_b64 s[10:11], 0
	v_mov_b32_e32 v198, 0
	s_mov_b32 s13, 0
.LBB126_263:                            ; =>This Inner Loop Header: Depth=1
	v_readfirstlane_b32 s14, v198
	s_add_i32 s14, s14, s12
	s_add_i32 s15, s14, 0x2b0
	v_mov_b32_e32 v199, s12
	ds_read_b128 v[200:203], v199 offset:1696
	ds_read_b128 v[204:207], v199 offset:1712
	ds_read_b128 v[208:211], v199 offset:1728
	ds_read_b128 v[212:215], v199 offset:1744
	scratch_load_dwordx4 v[216:219], off, s15
	s_add_i32 s15, s14, 0x2c0
	s_addk_i32 s12, 0x80
	s_waitcnt vmcnt(0) lgkmcnt(3)
	v_mul_f64 v[64:65], v[202:203], v[218:219]
	v_fma_f64 v[64:65], v[200:201], v[216:217], -v[64:65]
	v_mul_f64 v[200:201], v[200:201], v[218:219]
	v_fmac_f64_e32 v[200:201], v[202:203], v[216:217]
	v_add_f64 v[64:65], v[2:3], v[64:65]
	v_add_f64 v[200:201], v[4:5], v[200:201]
	scratch_load_dwordx4 v[2:5], off, s15
	s_add_i32 s15, s14, 0x2d0
	s_waitcnt vmcnt(0) lgkmcnt(2)
	v_mul_f64 v[202:203], v[206:207], v[4:5]
	v_mul_f64 v[4:5], v[204:205], v[4:5]
	v_fmac_f64_e32 v[4:5], v[206:207], v[2:3]
	v_fma_f64 v[202:203], v[204:205], v[2:3], -v[202:203]
	v_add_f64 v[200:201], v[200:201], v[4:5]
	scratch_load_dwordx4 v[2:5], off, s15
	v_add_f64 v[64:65], v[64:65], v[202:203]
	s_add_i32 s15, s14, 0x2e0
	s_waitcnt vmcnt(0) lgkmcnt(1)
	v_mul_f64 v[202:203], v[210:211], v[4:5]
	v_mul_f64 v[4:5], v[208:209], v[4:5]
	v_fmac_f64_e32 v[4:5], v[210:211], v[2:3]
	v_fma_f64 v[202:203], v[208:209], v[2:3], -v[202:203]
	v_add_f64 v[200:201], v[200:201], v[4:5]
	scratch_load_dwordx4 v[2:5], off, s15
	v_add_f64 v[64:65], v[64:65], v[202:203]
	s_add_i32 s15, s14, 0x2f0
	s_waitcnt vmcnt(0) lgkmcnt(0)
	v_mul_f64 v[202:203], v[214:215], v[4:5]
	v_mul_f64 v[4:5], v[212:213], v[4:5]
	v_fma_f64 v[202:203], v[212:213], v[2:3], -v[202:203]
	v_fmac_f64_e32 v[4:5], v[214:215], v[2:3]
	v_add_f64 v[64:65], v[64:65], v[202:203]
	v_add_f64 v[204:205], v[200:201], v[4:5]
	scratch_load_dwordx4 v[200:203], off, s15
	ds_read_b128 v[2:5], v199 offset:1760
	s_add_i32 s15, s14, 0x300
	s_waitcnt vmcnt(0) lgkmcnt(0)
	v_mul_f64 v[206:207], v[4:5], v[202:203]
	v_fma_f64 v[206:207], v[2:3], v[200:201], -v[206:207]
	v_mul_f64 v[2:3], v[2:3], v[202:203]
	v_fmac_f64_e32 v[2:3], v[4:5], v[200:201]
	scratch_load_dwordx4 v[200:203], off, s15
	v_add_f64 v[204:205], v[204:205], v[2:3]
	ds_read_b128 v[2:5], v199 offset:1776
	v_add_f64 v[64:65], v[64:65], v[206:207]
	s_add_i32 s15, s14, 0x310
	s_addk_i32 s14, 0x320
	s_waitcnt vmcnt(0) lgkmcnt(0)
	v_mul_f64 v[206:207], v[4:5], v[202:203]
	v_fma_f64 v[206:207], v[2:3], v[200:201], -v[206:207]
	v_mul_f64 v[2:3], v[2:3], v[202:203]
	v_fmac_f64_e32 v[2:3], v[4:5], v[200:201]
	scratch_load_dwordx4 v[200:203], off, s15
	v_add_f64 v[204:205], v[204:205], v[2:3]
	ds_read_b128 v[2:5], v199 offset:1792
	v_add_f64 v[64:65], v[64:65], v[206:207]
	s_waitcnt vmcnt(0) lgkmcnt(0)
	v_mul_f64 v[206:207], v[4:5], v[202:203]
	v_fma_f64 v[206:207], v[2:3], v[200:201], -v[206:207]
	v_mul_f64 v[2:3], v[2:3], v[202:203]
	v_fmac_f64_e32 v[2:3], v[4:5], v[200:201]
	scratch_load_dwordx4 v[200:203], off, s14
	v_add_f64 v[204:205], v[204:205], v[2:3]
	ds_read_b128 v[2:5], v199 offset:1808
	v_add_f64 v[64:65], v[64:65], v[206:207]
	s_add_i32 s14, s13, 8
	v_cmp_eq_u32_e32 vcc, s14, v7
	s_add_i32 s13, s13, 51
	s_or_b64 s[10:11], vcc, s[10:11]
	v_mov_b32_e32 v199, s13
	s_mov_b32 s13, s14
	s_waitcnt vmcnt(0) lgkmcnt(0)
	v_mul_f64 v[206:207], v[4:5], v[202:203]
	v_mul_f64 v[202:203], v[2:3], v[202:203]
	v_fma_f64 v[206:207], v[2:3], v[200:201], -v[206:207]
	v_fmac_f64_e32 v[202:203], v[4:5], v[200:201]
	v_add_f64 v[2:3], v[64:65], v[206:207]
	v_add_f64 v[4:5], v[204:205], v[202:203]
	s_andn2_b64 exec, exec, s[10:11]
	s_cbranch_execnz .LBB126_263
; %bb.264:
	s_or_b64 exec, exec, s[10:11]
.LBB126_265:
	s_or_b64 exec, exec, s[2:3]
	v_and_b32_e32 v6, 7, v6
	v_cmp_ne_u32_e32 vcc, 0, v6
	s_and_saveexec_b64 s[2:3], vcc
	s_cbranch_execz .LBB126_269
; %bb.266:
	v_lshlrev_b32_e32 v64, 4, v199
	v_add_u32_e32 v7, 0x3f0, v64
	v_add_u32_e32 v198, 0, v64
	s_mov_b64 s[10:11], 0
.LBB126_267:                            ; =>This Inner Loop Header: Depth=1
	scratch_load_dwordx4 v[200:203], v198, off
	ds_read_b128 v[204:207], v7
	v_add_u32_e32 v6, -1, v6
	v_cmp_eq_u32_e32 vcc, 0, v6
	v_add_u32_e32 v7, 16, v7
	v_add_u32_e32 v198, 16, v198
	s_or_b64 s[10:11], vcc, s[10:11]
	s_waitcnt vmcnt(0) lgkmcnt(0)
	v_mul_f64 v[64:65], v[206:207], v[202:203]
	v_mul_f64 v[202:203], v[204:205], v[202:203]
	v_fma_f64 v[64:65], v[204:205], v[200:201], -v[64:65]
	v_fmac_f64_e32 v[202:203], v[206:207], v[200:201]
	v_add_f64 v[2:3], v[2:3], v[64:65]
	v_add_f64 v[4:5], v[4:5], v[202:203]
	s_andn2_b64 exec, exec, s[10:11]
	s_cbranch_execnz .LBB126_267
; %bb.268:
	s_or_b64 exec, exec, s[10:11]
.LBB126_269:
	s_or_b64 exec, exec, s[2:3]
.LBB126_270:
	s_or_b64 exec, exec, s[8:9]
	v_mov_b32_e32 v6, 0
	ds_read_b128 v[198:201], v6 offset:672
	s_waitcnt lgkmcnt(0)
	v_mul_f64 v[6:7], v[4:5], v[200:201]
	v_mul_f64 v[202:203], v[2:3], v[200:201]
	v_fma_f64 v[200:201], v[2:3], v[198:199], -v[6:7]
	v_fmac_f64_e32 v[202:203], v[4:5], v[198:199]
	scratch_store_dwordx4 off, v[200:203], off offset:672
.LBB126_271:
	s_or_b64 exec, exec, s[4:5]
	scratch_load_dwordx4 v[2:5], v157, off
	v_cmp_lt_u32_e64 s[2:3], 41, v0
	s_waitcnt vmcnt(0)
	ds_write_b128 v9, v[2:5]
	s_waitcnt lgkmcnt(0)
	; wave barrier
	s_waitcnt lgkmcnt(0)
	s_and_saveexec_b64 s[4:5], s[2:3]
	s_cbranch_execz .LBB126_285
; %bb.272:
	ds_read_b128 v[2:5], v9
	s_andn2_b64 vcc, exec, s[6:7]
	s_cbranch_vccnz .LBB126_274
; %bb.273:
	scratch_load_dwordx4 v[198:201], v8, off
	s_waitcnt vmcnt(0) lgkmcnt(0)
	v_mul_f64 v[64:65], v[2:3], v[200:201]
	v_mul_f64 v[6:7], v[4:5], v[200:201]
	v_fmac_f64_e32 v[64:65], v[4:5], v[198:199]
	v_fma_f64 v[2:3], v[2:3], v[198:199], -v[6:7]
	v_mov_b64_e32 v[4:5], v[64:65]
.LBB126_274:
	s_and_saveexec_b64 s[8:9], s[0:1]
	s_cbranch_execz .LBB126_284
; %bb.275:
	v_subrev_u32_e32 v7, 43, v0
	v_subrev_u32_e32 v6, 42, v0
	v_cmp_lt_u32_e32 vcc, 6, v7
	v_mov_b32_e32 v199, 42
	s_and_saveexec_b64 s[0:1], vcc
	s_cbranch_execz .LBB126_279
; %bb.276:
	v_and_b32_e32 v7, -8, v6
	s_mov_b32 s12, 0
	s_mov_b64 s[10:11], 0
	v_mov_b32_e32 v198, 0
	s_mov_b32 s13, 0
.LBB126_277:                            ; =>This Inner Loop Header: Depth=1
	v_readfirstlane_b32 s14, v198
	s_add_i32 s14, s14, s12
	s_add_i32 s15, s14, 0x2a0
	v_mov_b32_e32 v199, s12
	ds_read_b128 v[200:203], v199 offset:1680
	ds_read_b128 v[204:207], v199 offset:1696
	;; [unrolled: 1-line block ×4, first 2 shown]
	scratch_load_dwordx4 v[216:219], off, s15
	s_add_i32 s15, s14, 0x2b0
	s_addk_i32 s12, 0x80
	s_waitcnt vmcnt(0) lgkmcnt(3)
	v_mul_f64 v[64:65], v[202:203], v[218:219]
	v_fma_f64 v[64:65], v[200:201], v[216:217], -v[64:65]
	v_mul_f64 v[200:201], v[200:201], v[218:219]
	v_fmac_f64_e32 v[200:201], v[202:203], v[216:217]
	v_add_f64 v[64:65], v[2:3], v[64:65]
	v_add_f64 v[200:201], v[4:5], v[200:201]
	scratch_load_dwordx4 v[2:5], off, s15
	s_add_i32 s15, s14, 0x2c0
	s_waitcnt vmcnt(0) lgkmcnt(2)
	v_mul_f64 v[202:203], v[206:207], v[4:5]
	v_mul_f64 v[4:5], v[204:205], v[4:5]
	v_fmac_f64_e32 v[4:5], v[206:207], v[2:3]
	v_fma_f64 v[202:203], v[204:205], v[2:3], -v[202:203]
	v_add_f64 v[200:201], v[200:201], v[4:5]
	scratch_load_dwordx4 v[2:5], off, s15
	v_add_f64 v[64:65], v[64:65], v[202:203]
	s_add_i32 s15, s14, 0x2d0
	s_waitcnt vmcnt(0) lgkmcnt(1)
	v_mul_f64 v[202:203], v[210:211], v[4:5]
	v_mul_f64 v[4:5], v[208:209], v[4:5]
	v_fmac_f64_e32 v[4:5], v[210:211], v[2:3]
	v_fma_f64 v[202:203], v[208:209], v[2:3], -v[202:203]
	v_add_f64 v[200:201], v[200:201], v[4:5]
	scratch_load_dwordx4 v[2:5], off, s15
	v_add_f64 v[64:65], v[64:65], v[202:203]
	s_add_i32 s15, s14, 0x2e0
	s_waitcnt vmcnt(0) lgkmcnt(0)
	v_mul_f64 v[202:203], v[214:215], v[4:5]
	v_mul_f64 v[4:5], v[212:213], v[4:5]
	v_fma_f64 v[202:203], v[212:213], v[2:3], -v[202:203]
	v_fmac_f64_e32 v[4:5], v[214:215], v[2:3]
	v_add_f64 v[64:65], v[64:65], v[202:203]
	v_add_f64 v[204:205], v[200:201], v[4:5]
	scratch_load_dwordx4 v[200:203], off, s15
	ds_read_b128 v[2:5], v199 offset:1744
	s_add_i32 s15, s14, 0x2f0
	s_waitcnt vmcnt(0) lgkmcnt(0)
	v_mul_f64 v[206:207], v[4:5], v[202:203]
	v_fma_f64 v[206:207], v[2:3], v[200:201], -v[206:207]
	v_mul_f64 v[2:3], v[2:3], v[202:203]
	v_fmac_f64_e32 v[2:3], v[4:5], v[200:201]
	scratch_load_dwordx4 v[200:203], off, s15
	v_add_f64 v[204:205], v[204:205], v[2:3]
	ds_read_b128 v[2:5], v199 offset:1760
	v_add_f64 v[64:65], v[64:65], v[206:207]
	s_add_i32 s15, s14, 0x300
	s_addk_i32 s14, 0x310
	s_waitcnt vmcnt(0) lgkmcnt(0)
	v_mul_f64 v[206:207], v[4:5], v[202:203]
	v_fma_f64 v[206:207], v[2:3], v[200:201], -v[206:207]
	v_mul_f64 v[2:3], v[2:3], v[202:203]
	v_fmac_f64_e32 v[2:3], v[4:5], v[200:201]
	scratch_load_dwordx4 v[200:203], off, s15
	v_add_f64 v[204:205], v[204:205], v[2:3]
	ds_read_b128 v[2:5], v199 offset:1776
	v_add_f64 v[64:65], v[64:65], v[206:207]
	s_waitcnt vmcnt(0) lgkmcnt(0)
	v_mul_f64 v[206:207], v[4:5], v[202:203]
	v_fma_f64 v[206:207], v[2:3], v[200:201], -v[206:207]
	v_mul_f64 v[2:3], v[2:3], v[202:203]
	v_fmac_f64_e32 v[2:3], v[4:5], v[200:201]
	scratch_load_dwordx4 v[200:203], off, s14
	v_add_f64 v[204:205], v[204:205], v[2:3]
	ds_read_b128 v[2:5], v199 offset:1792
	v_add_f64 v[64:65], v[64:65], v[206:207]
	s_add_i32 s14, s13, 8
	v_cmp_eq_u32_e32 vcc, s14, v7
	s_add_i32 s13, s13, 50
	s_or_b64 s[10:11], vcc, s[10:11]
	v_mov_b32_e32 v199, s13
	s_mov_b32 s13, s14
	s_waitcnt vmcnt(0) lgkmcnt(0)
	v_mul_f64 v[206:207], v[4:5], v[202:203]
	v_mul_f64 v[202:203], v[2:3], v[202:203]
	v_fma_f64 v[206:207], v[2:3], v[200:201], -v[206:207]
	v_fmac_f64_e32 v[202:203], v[4:5], v[200:201]
	v_add_f64 v[2:3], v[64:65], v[206:207]
	v_add_f64 v[4:5], v[204:205], v[202:203]
	s_andn2_b64 exec, exec, s[10:11]
	s_cbranch_execnz .LBB126_277
; %bb.278:
	s_or_b64 exec, exec, s[10:11]
.LBB126_279:
	s_or_b64 exec, exec, s[0:1]
	v_and_b32_e32 v6, 7, v6
	v_cmp_ne_u32_e32 vcc, 0, v6
	s_and_saveexec_b64 s[0:1], vcc
	s_cbranch_execz .LBB126_283
; %bb.280:
	v_lshlrev_b32_e32 v64, 4, v199
	v_add_u32_e32 v7, 0x3f0, v64
	v_add_u32_e32 v198, 0, v64
	s_mov_b64 s[10:11], 0
.LBB126_281:                            ; =>This Inner Loop Header: Depth=1
	scratch_load_dwordx4 v[200:203], v198, off
	ds_read_b128 v[204:207], v7
	v_add_u32_e32 v6, -1, v6
	v_cmp_eq_u32_e32 vcc, 0, v6
	v_add_u32_e32 v7, 16, v7
	v_add_u32_e32 v198, 16, v198
	s_or_b64 s[10:11], vcc, s[10:11]
	s_waitcnt vmcnt(0) lgkmcnt(0)
	v_mul_f64 v[64:65], v[206:207], v[202:203]
	v_mul_f64 v[202:203], v[204:205], v[202:203]
	v_fma_f64 v[64:65], v[204:205], v[200:201], -v[64:65]
	v_fmac_f64_e32 v[202:203], v[206:207], v[200:201]
	v_add_f64 v[2:3], v[2:3], v[64:65]
	v_add_f64 v[4:5], v[4:5], v[202:203]
	s_andn2_b64 exec, exec, s[10:11]
	s_cbranch_execnz .LBB126_281
; %bb.282:
	s_or_b64 exec, exec, s[10:11]
.LBB126_283:
	s_or_b64 exec, exec, s[0:1]
.LBB126_284:
	s_or_b64 exec, exec, s[8:9]
	v_mov_b32_e32 v6, 0
	ds_read_b128 v[198:201], v6 offset:656
	s_waitcnt lgkmcnt(0)
	v_mul_f64 v[6:7], v[4:5], v[200:201]
	v_mul_f64 v[202:203], v[2:3], v[200:201]
	v_fma_f64 v[200:201], v[2:3], v[198:199], -v[6:7]
	v_fmac_f64_e32 v[202:203], v[4:5], v[198:199]
	scratch_store_dwordx4 off, v[200:203], off offset:656
.LBB126_285:
	s_or_b64 exec, exec, s[4:5]
	scratch_load_dwordx4 v[2:5], v158, off
	v_cmp_lt_u32_e64 s[0:1], 40, v0
	s_waitcnt vmcnt(0)
	ds_write_b128 v9, v[2:5]
	s_waitcnt lgkmcnt(0)
	; wave barrier
	s_waitcnt lgkmcnt(0)
	s_and_saveexec_b64 s[4:5], s[0:1]
	s_cbranch_execz .LBB126_299
; %bb.286:
	ds_read_b128 v[2:5], v9
	s_andn2_b64 vcc, exec, s[6:7]
	s_cbranch_vccnz .LBB126_288
; %bb.287:
	scratch_load_dwordx4 v[198:201], v8, off
	s_waitcnt vmcnt(0) lgkmcnt(0)
	v_mul_f64 v[64:65], v[2:3], v[200:201]
	v_mul_f64 v[6:7], v[4:5], v[200:201]
	v_fmac_f64_e32 v[64:65], v[4:5], v[198:199]
	v_fma_f64 v[2:3], v[2:3], v[198:199], -v[6:7]
	v_mov_b64_e32 v[4:5], v[64:65]
.LBB126_288:
	s_and_saveexec_b64 s[8:9], s[2:3]
	s_cbranch_execz .LBB126_298
; %bb.289:
	v_subrev_u32_e32 v7, 42, v0
	v_subrev_u32_e32 v6, 41, v0
	v_cmp_lt_u32_e32 vcc, 6, v7
	v_mov_b32_e32 v199, 41
	s_and_saveexec_b64 s[2:3], vcc
	s_cbranch_execz .LBB126_293
; %bb.290:
	v_and_b32_e32 v7, -8, v6
	s_mov_b32 s12, 0
	s_mov_b64 s[10:11], 0
	v_mov_b32_e32 v198, 0
	s_mov_b32 s13, 0
.LBB126_291:                            ; =>This Inner Loop Header: Depth=1
	v_readfirstlane_b32 s14, v198
	s_add_i32 s14, s14, s12
	s_add_i32 s15, s14, 0x290
	v_mov_b32_e32 v199, s12
	ds_read_b128 v[200:203], v199 offset:1664
	ds_read_b128 v[204:207], v199 offset:1680
	;; [unrolled: 1-line block ×4, first 2 shown]
	scratch_load_dwordx4 v[216:219], off, s15
	s_add_i32 s15, s14, 0x2a0
	s_addk_i32 s12, 0x80
	s_waitcnt vmcnt(0) lgkmcnt(3)
	v_mul_f64 v[64:65], v[202:203], v[218:219]
	v_fma_f64 v[64:65], v[200:201], v[216:217], -v[64:65]
	v_mul_f64 v[200:201], v[200:201], v[218:219]
	v_fmac_f64_e32 v[200:201], v[202:203], v[216:217]
	v_add_f64 v[64:65], v[2:3], v[64:65]
	v_add_f64 v[200:201], v[4:5], v[200:201]
	scratch_load_dwordx4 v[2:5], off, s15
	s_add_i32 s15, s14, 0x2b0
	s_waitcnt vmcnt(0) lgkmcnt(2)
	v_mul_f64 v[202:203], v[206:207], v[4:5]
	v_mul_f64 v[4:5], v[204:205], v[4:5]
	v_fmac_f64_e32 v[4:5], v[206:207], v[2:3]
	v_fma_f64 v[202:203], v[204:205], v[2:3], -v[202:203]
	v_add_f64 v[200:201], v[200:201], v[4:5]
	scratch_load_dwordx4 v[2:5], off, s15
	v_add_f64 v[64:65], v[64:65], v[202:203]
	s_add_i32 s15, s14, 0x2c0
	s_waitcnt vmcnt(0) lgkmcnt(1)
	v_mul_f64 v[202:203], v[210:211], v[4:5]
	v_mul_f64 v[4:5], v[208:209], v[4:5]
	v_fmac_f64_e32 v[4:5], v[210:211], v[2:3]
	v_fma_f64 v[202:203], v[208:209], v[2:3], -v[202:203]
	v_add_f64 v[200:201], v[200:201], v[4:5]
	scratch_load_dwordx4 v[2:5], off, s15
	v_add_f64 v[64:65], v[64:65], v[202:203]
	s_add_i32 s15, s14, 0x2d0
	s_waitcnt vmcnt(0) lgkmcnt(0)
	v_mul_f64 v[202:203], v[214:215], v[4:5]
	v_mul_f64 v[4:5], v[212:213], v[4:5]
	v_fma_f64 v[202:203], v[212:213], v[2:3], -v[202:203]
	v_fmac_f64_e32 v[4:5], v[214:215], v[2:3]
	v_add_f64 v[64:65], v[64:65], v[202:203]
	v_add_f64 v[204:205], v[200:201], v[4:5]
	scratch_load_dwordx4 v[200:203], off, s15
	ds_read_b128 v[2:5], v199 offset:1728
	s_add_i32 s15, s14, 0x2e0
	s_waitcnt vmcnt(0) lgkmcnt(0)
	v_mul_f64 v[206:207], v[4:5], v[202:203]
	v_fma_f64 v[206:207], v[2:3], v[200:201], -v[206:207]
	v_mul_f64 v[2:3], v[2:3], v[202:203]
	v_fmac_f64_e32 v[2:3], v[4:5], v[200:201]
	scratch_load_dwordx4 v[200:203], off, s15
	v_add_f64 v[204:205], v[204:205], v[2:3]
	ds_read_b128 v[2:5], v199 offset:1744
	v_add_f64 v[64:65], v[64:65], v[206:207]
	s_add_i32 s15, s14, 0x2f0
	s_addk_i32 s14, 0x300
	s_waitcnt vmcnt(0) lgkmcnt(0)
	v_mul_f64 v[206:207], v[4:5], v[202:203]
	v_fma_f64 v[206:207], v[2:3], v[200:201], -v[206:207]
	v_mul_f64 v[2:3], v[2:3], v[202:203]
	v_fmac_f64_e32 v[2:3], v[4:5], v[200:201]
	scratch_load_dwordx4 v[200:203], off, s15
	v_add_f64 v[204:205], v[204:205], v[2:3]
	ds_read_b128 v[2:5], v199 offset:1760
	v_add_f64 v[64:65], v[64:65], v[206:207]
	s_waitcnt vmcnt(0) lgkmcnt(0)
	v_mul_f64 v[206:207], v[4:5], v[202:203]
	v_fma_f64 v[206:207], v[2:3], v[200:201], -v[206:207]
	v_mul_f64 v[2:3], v[2:3], v[202:203]
	v_fmac_f64_e32 v[2:3], v[4:5], v[200:201]
	scratch_load_dwordx4 v[200:203], off, s14
	v_add_f64 v[204:205], v[204:205], v[2:3]
	ds_read_b128 v[2:5], v199 offset:1776
	v_add_f64 v[64:65], v[64:65], v[206:207]
	s_add_i32 s14, s13, 8
	v_cmp_eq_u32_e32 vcc, s14, v7
	s_add_i32 s13, s13, 49
	s_or_b64 s[10:11], vcc, s[10:11]
	v_mov_b32_e32 v199, s13
	s_mov_b32 s13, s14
	s_waitcnt vmcnt(0) lgkmcnt(0)
	v_mul_f64 v[206:207], v[4:5], v[202:203]
	v_mul_f64 v[202:203], v[2:3], v[202:203]
	v_fma_f64 v[206:207], v[2:3], v[200:201], -v[206:207]
	v_fmac_f64_e32 v[202:203], v[4:5], v[200:201]
	v_add_f64 v[2:3], v[64:65], v[206:207]
	v_add_f64 v[4:5], v[204:205], v[202:203]
	s_andn2_b64 exec, exec, s[10:11]
	s_cbranch_execnz .LBB126_291
; %bb.292:
	s_or_b64 exec, exec, s[10:11]
.LBB126_293:
	s_or_b64 exec, exec, s[2:3]
	v_and_b32_e32 v6, 7, v6
	v_cmp_ne_u32_e32 vcc, 0, v6
	s_and_saveexec_b64 s[2:3], vcc
	s_cbranch_execz .LBB126_297
; %bb.294:
	v_lshlrev_b32_e32 v64, 4, v199
	v_add_u32_e32 v7, 0x3f0, v64
	v_add_u32_e32 v198, 0, v64
	s_mov_b64 s[10:11], 0
.LBB126_295:                            ; =>This Inner Loop Header: Depth=1
	scratch_load_dwordx4 v[200:203], v198, off
	ds_read_b128 v[204:207], v7
	v_add_u32_e32 v6, -1, v6
	v_cmp_eq_u32_e32 vcc, 0, v6
	v_add_u32_e32 v7, 16, v7
	v_add_u32_e32 v198, 16, v198
	s_or_b64 s[10:11], vcc, s[10:11]
	s_waitcnt vmcnt(0) lgkmcnt(0)
	v_mul_f64 v[64:65], v[206:207], v[202:203]
	v_mul_f64 v[202:203], v[204:205], v[202:203]
	v_fma_f64 v[64:65], v[204:205], v[200:201], -v[64:65]
	v_fmac_f64_e32 v[202:203], v[206:207], v[200:201]
	v_add_f64 v[2:3], v[2:3], v[64:65]
	v_add_f64 v[4:5], v[4:5], v[202:203]
	s_andn2_b64 exec, exec, s[10:11]
	s_cbranch_execnz .LBB126_295
; %bb.296:
	s_or_b64 exec, exec, s[10:11]
.LBB126_297:
	s_or_b64 exec, exec, s[2:3]
.LBB126_298:
	s_or_b64 exec, exec, s[8:9]
	v_mov_b32_e32 v6, 0
	ds_read_b128 v[198:201], v6 offset:640
	s_waitcnt lgkmcnt(0)
	v_mul_f64 v[6:7], v[4:5], v[200:201]
	v_mul_f64 v[202:203], v[2:3], v[200:201]
	v_fma_f64 v[200:201], v[2:3], v[198:199], -v[6:7]
	v_fmac_f64_e32 v[202:203], v[4:5], v[198:199]
	scratch_store_dwordx4 off, v[200:203], off offset:640
.LBB126_299:
	s_or_b64 exec, exec, s[4:5]
	scratch_load_dwordx4 v[2:5], v159, off
	v_cmp_lt_u32_e64 s[2:3], 39, v0
	s_waitcnt vmcnt(0)
	ds_write_b128 v9, v[2:5]
	s_waitcnt lgkmcnt(0)
	; wave barrier
	s_waitcnt lgkmcnt(0)
	s_and_saveexec_b64 s[4:5], s[2:3]
	s_cbranch_execz .LBB126_313
; %bb.300:
	ds_read_b128 v[2:5], v9
	s_andn2_b64 vcc, exec, s[6:7]
	s_cbranch_vccnz .LBB126_302
; %bb.301:
	scratch_load_dwordx4 v[198:201], v8, off
	s_waitcnt vmcnt(0) lgkmcnt(0)
	v_mul_f64 v[64:65], v[2:3], v[200:201]
	v_mul_f64 v[6:7], v[4:5], v[200:201]
	v_fmac_f64_e32 v[64:65], v[4:5], v[198:199]
	v_fma_f64 v[2:3], v[2:3], v[198:199], -v[6:7]
	v_mov_b64_e32 v[4:5], v[64:65]
.LBB126_302:
	s_and_saveexec_b64 s[8:9], s[0:1]
	s_cbranch_execz .LBB126_312
; %bb.303:
	v_subrev_u32_e32 v6, 41, v0
	v_cmp_lt_u32_e32 vcc, 6, v6
	v_mov_b32_e32 v6, 40
	s_and_saveexec_b64 s[0:1], vcc
	s_cbranch_execz .LBB126_307
; %bb.304:
	v_and_b32_e32 v6, 56, v0
	s_mov_b32 s12, 40
	s_mov_b32 s13, 0
	s_mov_b64 s[10:11], 0
	v_mov_b32_e32 v7, 0
.LBB126_305:                            ; =>This Inner Loop Header: Depth=1
	s_nop 0
	v_readfirstlane_b32 s14, v7
	s_add_i32 s14, s14, s13
	s_add_i32 s15, s14, 0x280
	v_mov_b32_e32 v218, s13
	ds_read_b128 v[198:201], v218 offset:1648
	ds_read_b128 v[202:205], v218 offset:1664
	;; [unrolled: 1-line block ×4, first 2 shown]
	scratch_load_dwordx4 v[214:217], off, s15
	s_add_i32 s15, s14, 0x290
	s_add_i32 s12, s12, 8
	s_addk_i32 s13, 0x80
	v_cmp_eq_u32_e32 vcc, s12, v6
	s_waitcnt vmcnt(0) lgkmcnt(3)
	v_mul_f64 v[64:65], v[200:201], v[216:217]
	v_fma_f64 v[64:65], v[198:199], v[214:215], -v[64:65]
	v_mul_f64 v[198:199], v[198:199], v[216:217]
	v_fmac_f64_e32 v[198:199], v[200:201], v[214:215]
	v_add_f64 v[64:65], v[2:3], v[64:65]
	v_add_f64 v[198:199], v[4:5], v[198:199]
	scratch_load_dwordx4 v[2:5], off, s15
	s_add_i32 s15, s14, 0x2a0
	s_waitcnt vmcnt(0) lgkmcnt(2)
	v_mul_f64 v[200:201], v[204:205], v[4:5]
	v_mul_f64 v[4:5], v[202:203], v[4:5]
	v_fmac_f64_e32 v[4:5], v[204:205], v[2:3]
	v_fma_f64 v[200:201], v[202:203], v[2:3], -v[200:201]
	v_add_f64 v[198:199], v[198:199], v[4:5]
	scratch_load_dwordx4 v[2:5], off, s15
	v_add_f64 v[64:65], v[64:65], v[200:201]
	s_add_i32 s15, s14, 0x2b0
	s_waitcnt vmcnt(0) lgkmcnt(1)
	v_mul_f64 v[200:201], v[208:209], v[4:5]
	v_mul_f64 v[4:5], v[206:207], v[4:5]
	v_fmac_f64_e32 v[4:5], v[208:209], v[2:3]
	v_fma_f64 v[200:201], v[206:207], v[2:3], -v[200:201]
	v_add_f64 v[198:199], v[198:199], v[4:5]
	scratch_load_dwordx4 v[2:5], off, s15
	v_add_f64 v[64:65], v[64:65], v[200:201]
	s_add_i32 s15, s14, 0x2c0
	s_waitcnt vmcnt(0) lgkmcnt(0)
	v_mul_f64 v[200:201], v[212:213], v[4:5]
	v_mul_f64 v[4:5], v[210:211], v[4:5]
	v_fma_f64 v[200:201], v[210:211], v[2:3], -v[200:201]
	v_fmac_f64_e32 v[4:5], v[212:213], v[2:3]
	v_add_f64 v[64:65], v[64:65], v[200:201]
	v_add_f64 v[202:203], v[198:199], v[4:5]
	scratch_load_dwordx4 v[198:201], off, s15
	ds_read_b128 v[2:5], v218 offset:1712
	s_add_i32 s15, s14, 0x2d0
	s_waitcnt vmcnt(0) lgkmcnt(0)
	v_mul_f64 v[204:205], v[4:5], v[200:201]
	v_fma_f64 v[204:205], v[2:3], v[198:199], -v[204:205]
	v_mul_f64 v[2:3], v[2:3], v[200:201]
	v_fmac_f64_e32 v[2:3], v[4:5], v[198:199]
	scratch_load_dwordx4 v[198:201], off, s15
	v_add_f64 v[202:203], v[202:203], v[2:3]
	ds_read_b128 v[2:5], v218 offset:1728
	v_add_f64 v[64:65], v[64:65], v[204:205]
	s_add_i32 s15, s14, 0x2e0
	s_addk_i32 s14, 0x2f0
	s_or_b64 s[10:11], vcc, s[10:11]
	s_waitcnt vmcnt(0) lgkmcnt(0)
	v_mul_f64 v[204:205], v[4:5], v[200:201]
	v_fma_f64 v[204:205], v[2:3], v[198:199], -v[204:205]
	v_mul_f64 v[2:3], v[2:3], v[200:201]
	v_fmac_f64_e32 v[2:3], v[4:5], v[198:199]
	scratch_load_dwordx4 v[198:201], off, s15
	v_add_f64 v[202:203], v[202:203], v[2:3]
	ds_read_b128 v[2:5], v218 offset:1744
	v_add_f64 v[64:65], v[64:65], v[204:205]
	s_waitcnt vmcnt(0) lgkmcnt(0)
	v_mul_f64 v[204:205], v[4:5], v[200:201]
	v_fma_f64 v[204:205], v[2:3], v[198:199], -v[204:205]
	v_mul_f64 v[2:3], v[2:3], v[200:201]
	v_fmac_f64_e32 v[2:3], v[4:5], v[198:199]
	scratch_load_dwordx4 v[198:201], off, s14
	v_add_f64 v[202:203], v[202:203], v[2:3]
	ds_read_b128 v[2:5], v218 offset:1760
	v_add_f64 v[64:65], v[64:65], v[204:205]
	s_waitcnt vmcnt(0) lgkmcnt(0)
	v_mul_f64 v[204:205], v[4:5], v[200:201]
	v_mul_f64 v[200:201], v[2:3], v[200:201]
	v_fma_f64 v[204:205], v[2:3], v[198:199], -v[204:205]
	v_fmac_f64_e32 v[200:201], v[4:5], v[198:199]
	v_add_f64 v[2:3], v[64:65], v[204:205]
	v_add_f64 v[4:5], v[202:203], v[200:201]
	s_andn2_b64 exec, exec, s[10:11]
	s_cbranch_execnz .LBB126_305
; %bb.306:
	s_or_b64 exec, exec, s[10:11]
.LBB126_307:
	s_or_b64 exec, exec, s[0:1]
	v_and_b32_e32 v7, 7, v0
	v_cmp_ne_u32_e32 vcc, 0, v7
	s_and_saveexec_b64 s[0:1], vcc
	s_cbranch_execz .LBB126_311
; %bb.308:
	v_lshlrev_b32_e32 v64, 4, v6
	v_add_u32_e32 v6, 0x3f0, v64
	v_add_u32_e32 v198, 0, v64
	s_mov_b64 s[10:11], 0
.LBB126_309:                            ; =>This Inner Loop Header: Depth=1
	scratch_load_dwordx4 v[200:203], v198, off
	ds_read_b128 v[204:207], v6
	v_add_u32_e32 v7, -1, v7
	v_cmp_eq_u32_e32 vcc, 0, v7
	v_add_u32_e32 v6, 16, v6
	v_add_u32_e32 v198, 16, v198
	s_or_b64 s[10:11], vcc, s[10:11]
	s_waitcnt vmcnt(0) lgkmcnt(0)
	v_mul_f64 v[64:65], v[206:207], v[202:203]
	v_mul_f64 v[202:203], v[204:205], v[202:203]
	v_fma_f64 v[64:65], v[204:205], v[200:201], -v[64:65]
	v_fmac_f64_e32 v[202:203], v[206:207], v[200:201]
	v_add_f64 v[2:3], v[2:3], v[64:65]
	v_add_f64 v[4:5], v[4:5], v[202:203]
	s_andn2_b64 exec, exec, s[10:11]
	s_cbranch_execnz .LBB126_309
; %bb.310:
	s_or_b64 exec, exec, s[10:11]
.LBB126_311:
	s_or_b64 exec, exec, s[0:1]
.LBB126_312:
	s_or_b64 exec, exec, s[8:9]
	v_mov_b32_e32 v6, 0
	ds_read_b128 v[198:201], v6 offset:624
	s_waitcnt lgkmcnt(0)
	v_mul_f64 v[6:7], v[4:5], v[200:201]
	v_mul_f64 v[202:203], v[2:3], v[200:201]
	v_fma_f64 v[200:201], v[2:3], v[198:199], -v[6:7]
	v_fmac_f64_e32 v[202:203], v[4:5], v[198:199]
	scratch_store_dwordx4 off, v[200:203], off offset:624
.LBB126_313:
	s_or_b64 exec, exec, s[4:5]
	scratch_load_dwordx4 v[2:5], v160, off
	v_cmp_lt_u32_e64 s[0:1], 38, v0
	s_waitcnt vmcnt(0)
	ds_write_b128 v9, v[2:5]
	s_waitcnt lgkmcnt(0)
	; wave barrier
	s_waitcnt lgkmcnt(0)
	s_and_saveexec_b64 s[4:5], s[0:1]
	s_cbranch_execz .LBB126_327
; %bb.314:
	ds_read_b128 v[2:5], v9
	s_andn2_b64 vcc, exec, s[6:7]
	s_cbranch_vccnz .LBB126_316
; %bb.315:
	scratch_load_dwordx4 v[198:201], v8, off
	s_waitcnt vmcnt(0) lgkmcnt(0)
	v_mul_f64 v[64:65], v[2:3], v[200:201]
	v_mul_f64 v[6:7], v[4:5], v[200:201]
	v_fmac_f64_e32 v[64:65], v[4:5], v[198:199]
	v_fma_f64 v[2:3], v[2:3], v[198:199], -v[6:7]
	v_mov_b64_e32 v[4:5], v[64:65]
.LBB126_316:
	s_and_saveexec_b64 s[8:9], s[2:3]
	s_cbranch_execz .LBB126_326
; %bb.317:
	v_subrev_u32_e32 v7, 40, v0
	v_subrev_u32_e32 v6, 39, v0
	v_cmp_lt_u32_e32 vcc, 6, v7
	v_mov_b32_e32 v199, 39
	s_and_saveexec_b64 s[2:3], vcc
	s_cbranch_execz .LBB126_321
; %bb.318:
	v_and_b32_e32 v7, -8, v6
	s_mov_b32 s12, 0
	s_mov_b64 s[10:11], 0
	v_mov_b32_e32 v198, 0
	s_mov_b32 s13, 0
.LBB126_319:                            ; =>This Inner Loop Header: Depth=1
	v_readfirstlane_b32 s14, v198
	s_add_i32 s14, s14, s12
	s_add_i32 s15, s14, 0x270
	v_mov_b32_e32 v199, s12
	ds_read_b128 v[200:203], v199 offset:1632
	ds_read_b128 v[204:207], v199 offset:1648
	;; [unrolled: 1-line block ×4, first 2 shown]
	scratch_load_dwordx4 v[216:219], off, s15
	s_add_i32 s15, s14, 0x280
	s_addk_i32 s12, 0x80
	s_waitcnt vmcnt(0) lgkmcnt(3)
	v_mul_f64 v[64:65], v[202:203], v[218:219]
	v_fma_f64 v[64:65], v[200:201], v[216:217], -v[64:65]
	v_mul_f64 v[200:201], v[200:201], v[218:219]
	v_fmac_f64_e32 v[200:201], v[202:203], v[216:217]
	v_add_f64 v[64:65], v[2:3], v[64:65]
	v_add_f64 v[200:201], v[4:5], v[200:201]
	scratch_load_dwordx4 v[2:5], off, s15
	s_add_i32 s15, s14, 0x290
	s_waitcnt vmcnt(0) lgkmcnt(2)
	v_mul_f64 v[202:203], v[206:207], v[4:5]
	v_mul_f64 v[4:5], v[204:205], v[4:5]
	v_fmac_f64_e32 v[4:5], v[206:207], v[2:3]
	v_fma_f64 v[202:203], v[204:205], v[2:3], -v[202:203]
	v_add_f64 v[200:201], v[200:201], v[4:5]
	scratch_load_dwordx4 v[2:5], off, s15
	v_add_f64 v[64:65], v[64:65], v[202:203]
	s_add_i32 s15, s14, 0x2a0
	s_waitcnt vmcnt(0) lgkmcnt(1)
	v_mul_f64 v[202:203], v[210:211], v[4:5]
	v_mul_f64 v[4:5], v[208:209], v[4:5]
	v_fmac_f64_e32 v[4:5], v[210:211], v[2:3]
	v_fma_f64 v[202:203], v[208:209], v[2:3], -v[202:203]
	v_add_f64 v[200:201], v[200:201], v[4:5]
	scratch_load_dwordx4 v[2:5], off, s15
	v_add_f64 v[64:65], v[64:65], v[202:203]
	s_add_i32 s15, s14, 0x2b0
	s_waitcnt vmcnt(0) lgkmcnt(0)
	v_mul_f64 v[202:203], v[214:215], v[4:5]
	v_mul_f64 v[4:5], v[212:213], v[4:5]
	v_fma_f64 v[202:203], v[212:213], v[2:3], -v[202:203]
	v_fmac_f64_e32 v[4:5], v[214:215], v[2:3]
	v_add_f64 v[64:65], v[64:65], v[202:203]
	v_add_f64 v[204:205], v[200:201], v[4:5]
	scratch_load_dwordx4 v[200:203], off, s15
	ds_read_b128 v[2:5], v199 offset:1696
	s_add_i32 s15, s14, 0x2c0
	s_waitcnt vmcnt(0) lgkmcnt(0)
	v_mul_f64 v[206:207], v[4:5], v[202:203]
	v_fma_f64 v[206:207], v[2:3], v[200:201], -v[206:207]
	v_mul_f64 v[2:3], v[2:3], v[202:203]
	v_fmac_f64_e32 v[2:3], v[4:5], v[200:201]
	scratch_load_dwordx4 v[200:203], off, s15
	v_add_f64 v[204:205], v[204:205], v[2:3]
	ds_read_b128 v[2:5], v199 offset:1712
	v_add_f64 v[64:65], v[64:65], v[206:207]
	s_add_i32 s15, s14, 0x2d0
	s_addk_i32 s14, 0x2e0
	s_waitcnt vmcnt(0) lgkmcnt(0)
	v_mul_f64 v[206:207], v[4:5], v[202:203]
	v_fma_f64 v[206:207], v[2:3], v[200:201], -v[206:207]
	v_mul_f64 v[2:3], v[2:3], v[202:203]
	v_fmac_f64_e32 v[2:3], v[4:5], v[200:201]
	scratch_load_dwordx4 v[200:203], off, s15
	v_add_f64 v[204:205], v[204:205], v[2:3]
	ds_read_b128 v[2:5], v199 offset:1728
	v_add_f64 v[64:65], v[64:65], v[206:207]
	s_waitcnt vmcnt(0) lgkmcnt(0)
	v_mul_f64 v[206:207], v[4:5], v[202:203]
	v_fma_f64 v[206:207], v[2:3], v[200:201], -v[206:207]
	v_mul_f64 v[2:3], v[2:3], v[202:203]
	v_fmac_f64_e32 v[2:3], v[4:5], v[200:201]
	scratch_load_dwordx4 v[200:203], off, s14
	v_add_f64 v[204:205], v[204:205], v[2:3]
	ds_read_b128 v[2:5], v199 offset:1744
	v_add_f64 v[64:65], v[64:65], v[206:207]
	s_add_i32 s14, s13, 8
	v_cmp_eq_u32_e32 vcc, s14, v7
	s_add_i32 s13, s13, 47
	s_or_b64 s[10:11], vcc, s[10:11]
	v_mov_b32_e32 v199, s13
	s_mov_b32 s13, s14
	s_waitcnt vmcnt(0) lgkmcnt(0)
	v_mul_f64 v[206:207], v[4:5], v[202:203]
	v_mul_f64 v[202:203], v[2:3], v[202:203]
	v_fma_f64 v[206:207], v[2:3], v[200:201], -v[206:207]
	v_fmac_f64_e32 v[202:203], v[4:5], v[200:201]
	v_add_f64 v[2:3], v[64:65], v[206:207]
	v_add_f64 v[4:5], v[204:205], v[202:203]
	s_andn2_b64 exec, exec, s[10:11]
	s_cbranch_execnz .LBB126_319
; %bb.320:
	s_or_b64 exec, exec, s[10:11]
.LBB126_321:
	s_or_b64 exec, exec, s[2:3]
	v_and_b32_e32 v6, 7, v6
	v_cmp_ne_u32_e32 vcc, 0, v6
	s_and_saveexec_b64 s[2:3], vcc
	s_cbranch_execz .LBB126_325
; %bb.322:
	v_lshlrev_b32_e32 v64, 4, v199
	v_add_u32_e32 v7, 0x3f0, v64
	v_add_u32_e32 v198, 0, v64
	s_mov_b64 s[10:11], 0
.LBB126_323:                            ; =>This Inner Loop Header: Depth=1
	scratch_load_dwordx4 v[200:203], v198, off
	ds_read_b128 v[204:207], v7
	v_add_u32_e32 v6, -1, v6
	v_cmp_eq_u32_e32 vcc, 0, v6
	v_add_u32_e32 v7, 16, v7
	v_add_u32_e32 v198, 16, v198
	s_or_b64 s[10:11], vcc, s[10:11]
	s_waitcnt vmcnt(0) lgkmcnt(0)
	v_mul_f64 v[64:65], v[206:207], v[202:203]
	v_mul_f64 v[202:203], v[204:205], v[202:203]
	v_fma_f64 v[64:65], v[204:205], v[200:201], -v[64:65]
	v_fmac_f64_e32 v[202:203], v[206:207], v[200:201]
	v_add_f64 v[2:3], v[2:3], v[64:65]
	v_add_f64 v[4:5], v[4:5], v[202:203]
	s_andn2_b64 exec, exec, s[10:11]
	s_cbranch_execnz .LBB126_323
; %bb.324:
	s_or_b64 exec, exec, s[10:11]
.LBB126_325:
	s_or_b64 exec, exec, s[2:3]
.LBB126_326:
	s_or_b64 exec, exec, s[8:9]
	v_mov_b32_e32 v6, 0
	ds_read_b128 v[198:201], v6 offset:608
	s_waitcnt lgkmcnt(0)
	v_mul_f64 v[6:7], v[4:5], v[200:201]
	v_mul_f64 v[202:203], v[2:3], v[200:201]
	v_fma_f64 v[200:201], v[2:3], v[198:199], -v[6:7]
	v_fmac_f64_e32 v[202:203], v[4:5], v[198:199]
	scratch_store_dwordx4 off, v[200:203], off offset:608
.LBB126_327:
	s_or_b64 exec, exec, s[4:5]
	scratch_load_dwordx4 v[2:5], v161, off
	v_cmp_lt_u32_e64 s[2:3], 37, v0
	s_waitcnt vmcnt(0)
	ds_write_b128 v9, v[2:5]
	s_waitcnt lgkmcnt(0)
	; wave barrier
	s_waitcnt lgkmcnt(0)
	s_and_saveexec_b64 s[4:5], s[2:3]
	s_cbranch_execz .LBB126_341
; %bb.328:
	ds_read_b128 v[2:5], v9
	s_andn2_b64 vcc, exec, s[6:7]
	s_cbranch_vccnz .LBB126_330
; %bb.329:
	scratch_load_dwordx4 v[198:201], v8, off
	s_waitcnt vmcnt(0) lgkmcnt(0)
	v_mul_f64 v[64:65], v[2:3], v[200:201]
	v_mul_f64 v[6:7], v[4:5], v[200:201]
	v_fmac_f64_e32 v[64:65], v[4:5], v[198:199]
	v_fma_f64 v[2:3], v[2:3], v[198:199], -v[6:7]
	v_mov_b64_e32 v[4:5], v[64:65]
.LBB126_330:
	s_and_saveexec_b64 s[8:9], s[0:1]
	s_cbranch_execz .LBB126_340
; %bb.331:
	v_subrev_u32_e32 v7, 39, v0
	v_subrev_u32_e32 v6, 38, v0
	v_cmp_lt_u32_e32 vcc, 6, v7
	v_mov_b32_e32 v199, 38
	s_and_saveexec_b64 s[0:1], vcc
	s_cbranch_execz .LBB126_335
; %bb.332:
	v_and_b32_e32 v7, -8, v6
	s_mov_b32 s12, 0
	s_mov_b64 s[10:11], 0
	v_mov_b32_e32 v198, 0
	s_mov_b32 s13, 0
.LBB126_333:                            ; =>This Inner Loop Header: Depth=1
	v_readfirstlane_b32 s14, v198
	s_add_i32 s14, s14, s12
	s_add_i32 s15, s14, 0x260
	v_mov_b32_e32 v199, s12
	ds_read_b128 v[200:203], v199 offset:1616
	ds_read_b128 v[204:207], v199 offset:1632
	;; [unrolled: 1-line block ×4, first 2 shown]
	scratch_load_dwordx4 v[216:219], off, s15
	s_add_i32 s15, s14, 0x270
	s_addk_i32 s12, 0x80
	s_waitcnt vmcnt(0) lgkmcnt(3)
	v_mul_f64 v[64:65], v[202:203], v[218:219]
	v_fma_f64 v[64:65], v[200:201], v[216:217], -v[64:65]
	v_mul_f64 v[200:201], v[200:201], v[218:219]
	v_fmac_f64_e32 v[200:201], v[202:203], v[216:217]
	v_add_f64 v[64:65], v[2:3], v[64:65]
	v_add_f64 v[200:201], v[4:5], v[200:201]
	scratch_load_dwordx4 v[2:5], off, s15
	s_add_i32 s15, s14, 0x280
	s_waitcnt vmcnt(0) lgkmcnt(2)
	v_mul_f64 v[202:203], v[206:207], v[4:5]
	v_mul_f64 v[4:5], v[204:205], v[4:5]
	v_fmac_f64_e32 v[4:5], v[206:207], v[2:3]
	v_fma_f64 v[202:203], v[204:205], v[2:3], -v[202:203]
	v_add_f64 v[200:201], v[200:201], v[4:5]
	scratch_load_dwordx4 v[2:5], off, s15
	v_add_f64 v[64:65], v[64:65], v[202:203]
	s_add_i32 s15, s14, 0x290
	s_waitcnt vmcnt(0) lgkmcnt(1)
	v_mul_f64 v[202:203], v[210:211], v[4:5]
	v_mul_f64 v[4:5], v[208:209], v[4:5]
	v_fmac_f64_e32 v[4:5], v[210:211], v[2:3]
	v_fma_f64 v[202:203], v[208:209], v[2:3], -v[202:203]
	v_add_f64 v[200:201], v[200:201], v[4:5]
	scratch_load_dwordx4 v[2:5], off, s15
	v_add_f64 v[64:65], v[64:65], v[202:203]
	s_add_i32 s15, s14, 0x2a0
	s_waitcnt vmcnt(0) lgkmcnt(0)
	v_mul_f64 v[202:203], v[214:215], v[4:5]
	v_mul_f64 v[4:5], v[212:213], v[4:5]
	v_fma_f64 v[202:203], v[212:213], v[2:3], -v[202:203]
	v_fmac_f64_e32 v[4:5], v[214:215], v[2:3]
	v_add_f64 v[64:65], v[64:65], v[202:203]
	v_add_f64 v[204:205], v[200:201], v[4:5]
	scratch_load_dwordx4 v[200:203], off, s15
	ds_read_b128 v[2:5], v199 offset:1680
	s_add_i32 s15, s14, 0x2b0
	s_waitcnt vmcnt(0) lgkmcnt(0)
	v_mul_f64 v[206:207], v[4:5], v[202:203]
	v_fma_f64 v[206:207], v[2:3], v[200:201], -v[206:207]
	v_mul_f64 v[2:3], v[2:3], v[202:203]
	v_fmac_f64_e32 v[2:3], v[4:5], v[200:201]
	scratch_load_dwordx4 v[200:203], off, s15
	v_add_f64 v[204:205], v[204:205], v[2:3]
	ds_read_b128 v[2:5], v199 offset:1696
	v_add_f64 v[64:65], v[64:65], v[206:207]
	s_add_i32 s15, s14, 0x2c0
	s_addk_i32 s14, 0x2d0
	s_waitcnt vmcnt(0) lgkmcnt(0)
	v_mul_f64 v[206:207], v[4:5], v[202:203]
	v_fma_f64 v[206:207], v[2:3], v[200:201], -v[206:207]
	v_mul_f64 v[2:3], v[2:3], v[202:203]
	v_fmac_f64_e32 v[2:3], v[4:5], v[200:201]
	scratch_load_dwordx4 v[200:203], off, s15
	v_add_f64 v[204:205], v[204:205], v[2:3]
	ds_read_b128 v[2:5], v199 offset:1712
	v_add_f64 v[64:65], v[64:65], v[206:207]
	s_waitcnt vmcnt(0) lgkmcnt(0)
	v_mul_f64 v[206:207], v[4:5], v[202:203]
	v_fma_f64 v[206:207], v[2:3], v[200:201], -v[206:207]
	v_mul_f64 v[2:3], v[2:3], v[202:203]
	v_fmac_f64_e32 v[2:3], v[4:5], v[200:201]
	scratch_load_dwordx4 v[200:203], off, s14
	v_add_f64 v[204:205], v[204:205], v[2:3]
	ds_read_b128 v[2:5], v199 offset:1728
	v_add_f64 v[64:65], v[64:65], v[206:207]
	s_add_i32 s14, s13, 8
	v_cmp_eq_u32_e32 vcc, s14, v7
	s_add_i32 s13, s13, 46
	s_or_b64 s[10:11], vcc, s[10:11]
	v_mov_b32_e32 v199, s13
	s_mov_b32 s13, s14
	s_waitcnt vmcnt(0) lgkmcnt(0)
	v_mul_f64 v[206:207], v[4:5], v[202:203]
	v_mul_f64 v[202:203], v[2:3], v[202:203]
	v_fma_f64 v[206:207], v[2:3], v[200:201], -v[206:207]
	v_fmac_f64_e32 v[202:203], v[4:5], v[200:201]
	v_add_f64 v[2:3], v[64:65], v[206:207]
	v_add_f64 v[4:5], v[204:205], v[202:203]
	s_andn2_b64 exec, exec, s[10:11]
	s_cbranch_execnz .LBB126_333
; %bb.334:
	s_or_b64 exec, exec, s[10:11]
.LBB126_335:
	s_or_b64 exec, exec, s[0:1]
	v_and_b32_e32 v6, 7, v6
	v_cmp_ne_u32_e32 vcc, 0, v6
	s_and_saveexec_b64 s[0:1], vcc
	s_cbranch_execz .LBB126_339
; %bb.336:
	v_lshlrev_b32_e32 v64, 4, v199
	v_add_u32_e32 v7, 0x3f0, v64
	v_add_u32_e32 v198, 0, v64
	s_mov_b64 s[10:11], 0
.LBB126_337:                            ; =>This Inner Loop Header: Depth=1
	scratch_load_dwordx4 v[200:203], v198, off
	ds_read_b128 v[204:207], v7
	v_add_u32_e32 v6, -1, v6
	v_cmp_eq_u32_e32 vcc, 0, v6
	v_add_u32_e32 v7, 16, v7
	v_add_u32_e32 v198, 16, v198
	s_or_b64 s[10:11], vcc, s[10:11]
	s_waitcnt vmcnt(0) lgkmcnt(0)
	v_mul_f64 v[64:65], v[206:207], v[202:203]
	v_mul_f64 v[202:203], v[204:205], v[202:203]
	v_fma_f64 v[64:65], v[204:205], v[200:201], -v[64:65]
	v_fmac_f64_e32 v[202:203], v[206:207], v[200:201]
	v_add_f64 v[2:3], v[2:3], v[64:65]
	v_add_f64 v[4:5], v[4:5], v[202:203]
	s_andn2_b64 exec, exec, s[10:11]
	s_cbranch_execnz .LBB126_337
; %bb.338:
	s_or_b64 exec, exec, s[10:11]
.LBB126_339:
	s_or_b64 exec, exec, s[0:1]
.LBB126_340:
	s_or_b64 exec, exec, s[8:9]
	v_mov_b32_e32 v6, 0
	ds_read_b128 v[198:201], v6 offset:592
	s_waitcnt lgkmcnt(0)
	v_mul_f64 v[6:7], v[4:5], v[200:201]
	v_mul_f64 v[202:203], v[2:3], v[200:201]
	v_fma_f64 v[200:201], v[2:3], v[198:199], -v[6:7]
	v_fmac_f64_e32 v[202:203], v[4:5], v[198:199]
	scratch_store_dwordx4 off, v[200:203], off offset:592
.LBB126_341:
	s_or_b64 exec, exec, s[4:5]
	scratch_load_dwordx4 v[2:5], v162, off
	v_cmp_lt_u32_e64 s[0:1], 36, v0
	s_waitcnt vmcnt(0)
	ds_write_b128 v9, v[2:5]
	s_waitcnt lgkmcnt(0)
	; wave barrier
	s_waitcnt lgkmcnt(0)
	s_and_saveexec_b64 s[4:5], s[0:1]
	s_cbranch_execz .LBB126_355
; %bb.342:
	ds_read_b128 v[2:5], v9
	s_andn2_b64 vcc, exec, s[6:7]
	s_cbranch_vccnz .LBB126_344
; %bb.343:
	scratch_load_dwordx4 v[198:201], v8, off
	s_waitcnt vmcnt(0) lgkmcnt(0)
	v_mul_f64 v[64:65], v[2:3], v[200:201]
	v_mul_f64 v[6:7], v[4:5], v[200:201]
	v_fmac_f64_e32 v[64:65], v[4:5], v[198:199]
	v_fma_f64 v[2:3], v[2:3], v[198:199], -v[6:7]
	v_mov_b64_e32 v[4:5], v[64:65]
.LBB126_344:
	s_and_saveexec_b64 s[8:9], s[2:3]
	s_cbranch_execz .LBB126_354
; %bb.345:
	v_subrev_u32_e32 v7, 38, v0
	v_subrev_u32_e32 v6, 37, v0
	v_cmp_lt_u32_e32 vcc, 6, v7
	v_mov_b32_e32 v199, 37
	s_and_saveexec_b64 s[2:3], vcc
	s_cbranch_execz .LBB126_349
; %bb.346:
	v_and_b32_e32 v7, -8, v6
	s_mov_b32 s12, 0
	s_mov_b64 s[10:11], 0
	v_mov_b32_e32 v198, 0
	s_mov_b32 s13, 0
.LBB126_347:                            ; =>This Inner Loop Header: Depth=1
	v_readfirstlane_b32 s14, v198
	s_add_i32 s14, s14, s12
	s_add_i32 s15, s14, 0x250
	v_mov_b32_e32 v199, s12
	ds_read_b128 v[200:203], v199 offset:1600
	ds_read_b128 v[204:207], v199 offset:1616
	;; [unrolled: 1-line block ×4, first 2 shown]
	scratch_load_dwordx4 v[216:219], off, s15
	s_add_i32 s15, s14, 0x260
	s_addk_i32 s12, 0x80
	s_waitcnt vmcnt(0) lgkmcnt(3)
	v_mul_f64 v[64:65], v[202:203], v[218:219]
	v_fma_f64 v[64:65], v[200:201], v[216:217], -v[64:65]
	v_mul_f64 v[200:201], v[200:201], v[218:219]
	v_fmac_f64_e32 v[200:201], v[202:203], v[216:217]
	v_add_f64 v[64:65], v[2:3], v[64:65]
	v_add_f64 v[200:201], v[4:5], v[200:201]
	scratch_load_dwordx4 v[2:5], off, s15
	s_add_i32 s15, s14, 0x270
	s_waitcnt vmcnt(0) lgkmcnt(2)
	v_mul_f64 v[202:203], v[206:207], v[4:5]
	v_mul_f64 v[4:5], v[204:205], v[4:5]
	v_fmac_f64_e32 v[4:5], v[206:207], v[2:3]
	v_fma_f64 v[202:203], v[204:205], v[2:3], -v[202:203]
	v_add_f64 v[200:201], v[200:201], v[4:5]
	scratch_load_dwordx4 v[2:5], off, s15
	v_add_f64 v[64:65], v[64:65], v[202:203]
	s_add_i32 s15, s14, 0x280
	s_waitcnt vmcnt(0) lgkmcnt(1)
	v_mul_f64 v[202:203], v[210:211], v[4:5]
	v_mul_f64 v[4:5], v[208:209], v[4:5]
	v_fmac_f64_e32 v[4:5], v[210:211], v[2:3]
	v_fma_f64 v[202:203], v[208:209], v[2:3], -v[202:203]
	v_add_f64 v[200:201], v[200:201], v[4:5]
	scratch_load_dwordx4 v[2:5], off, s15
	v_add_f64 v[64:65], v[64:65], v[202:203]
	s_add_i32 s15, s14, 0x290
	s_waitcnt vmcnt(0) lgkmcnt(0)
	v_mul_f64 v[202:203], v[214:215], v[4:5]
	v_mul_f64 v[4:5], v[212:213], v[4:5]
	v_fma_f64 v[202:203], v[212:213], v[2:3], -v[202:203]
	v_fmac_f64_e32 v[4:5], v[214:215], v[2:3]
	v_add_f64 v[64:65], v[64:65], v[202:203]
	v_add_f64 v[204:205], v[200:201], v[4:5]
	scratch_load_dwordx4 v[200:203], off, s15
	ds_read_b128 v[2:5], v199 offset:1664
	s_add_i32 s15, s14, 0x2a0
	s_waitcnt vmcnt(0) lgkmcnt(0)
	v_mul_f64 v[206:207], v[4:5], v[202:203]
	v_fma_f64 v[206:207], v[2:3], v[200:201], -v[206:207]
	v_mul_f64 v[2:3], v[2:3], v[202:203]
	v_fmac_f64_e32 v[2:3], v[4:5], v[200:201]
	scratch_load_dwordx4 v[200:203], off, s15
	v_add_f64 v[204:205], v[204:205], v[2:3]
	ds_read_b128 v[2:5], v199 offset:1680
	v_add_f64 v[64:65], v[64:65], v[206:207]
	s_add_i32 s15, s14, 0x2b0
	s_addk_i32 s14, 0x2c0
	s_waitcnt vmcnt(0) lgkmcnt(0)
	v_mul_f64 v[206:207], v[4:5], v[202:203]
	v_fma_f64 v[206:207], v[2:3], v[200:201], -v[206:207]
	v_mul_f64 v[2:3], v[2:3], v[202:203]
	v_fmac_f64_e32 v[2:3], v[4:5], v[200:201]
	scratch_load_dwordx4 v[200:203], off, s15
	v_add_f64 v[204:205], v[204:205], v[2:3]
	ds_read_b128 v[2:5], v199 offset:1696
	v_add_f64 v[64:65], v[64:65], v[206:207]
	s_waitcnt vmcnt(0) lgkmcnt(0)
	v_mul_f64 v[206:207], v[4:5], v[202:203]
	v_fma_f64 v[206:207], v[2:3], v[200:201], -v[206:207]
	v_mul_f64 v[2:3], v[2:3], v[202:203]
	v_fmac_f64_e32 v[2:3], v[4:5], v[200:201]
	scratch_load_dwordx4 v[200:203], off, s14
	v_add_f64 v[204:205], v[204:205], v[2:3]
	ds_read_b128 v[2:5], v199 offset:1712
	v_add_f64 v[64:65], v[64:65], v[206:207]
	s_add_i32 s14, s13, 8
	v_cmp_eq_u32_e32 vcc, s14, v7
	s_add_i32 s13, s13, 45
	s_or_b64 s[10:11], vcc, s[10:11]
	v_mov_b32_e32 v199, s13
	s_mov_b32 s13, s14
	s_waitcnt vmcnt(0) lgkmcnt(0)
	v_mul_f64 v[206:207], v[4:5], v[202:203]
	v_mul_f64 v[202:203], v[2:3], v[202:203]
	v_fma_f64 v[206:207], v[2:3], v[200:201], -v[206:207]
	v_fmac_f64_e32 v[202:203], v[4:5], v[200:201]
	v_add_f64 v[2:3], v[64:65], v[206:207]
	v_add_f64 v[4:5], v[204:205], v[202:203]
	s_andn2_b64 exec, exec, s[10:11]
	s_cbranch_execnz .LBB126_347
; %bb.348:
	s_or_b64 exec, exec, s[10:11]
.LBB126_349:
	s_or_b64 exec, exec, s[2:3]
	v_and_b32_e32 v6, 7, v6
	v_cmp_ne_u32_e32 vcc, 0, v6
	s_and_saveexec_b64 s[2:3], vcc
	s_cbranch_execz .LBB126_353
; %bb.350:
	v_lshlrev_b32_e32 v64, 4, v199
	v_add_u32_e32 v7, 0x3f0, v64
	v_add_u32_e32 v198, 0, v64
	s_mov_b64 s[10:11], 0
.LBB126_351:                            ; =>This Inner Loop Header: Depth=1
	scratch_load_dwordx4 v[200:203], v198, off
	ds_read_b128 v[204:207], v7
	v_add_u32_e32 v6, -1, v6
	v_cmp_eq_u32_e32 vcc, 0, v6
	v_add_u32_e32 v7, 16, v7
	v_add_u32_e32 v198, 16, v198
	s_or_b64 s[10:11], vcc, s[10:11]
	s_waitcnt vmcnt(0) lgkmcnt(0)
	v_mul_f64 v[64:65], v[206:207], v[202:203]
	v_mul_f64 v[202:203], v[204:205], v[202:203]
	v_fma_f64 v[64:65], v[204:205], v[200:201], -v[64:65]
	v_fmac_f64_e32 v[202:203], v[206:207], v[200:201]
	v_add_f64 v[2:3], v[2:3], v[64:65]
	v_add_f64 v[4:5], v[4:5], v[202:203]
	s_andn2_b64 exec, exec, s[10:11]
	s_cbranch_execnz .LBB126_351
; %bb.352:
	s_or_b64 exec, exec, s[10:11]
.LBB126_353:
	s_or_b64 exec, exec, s[2:3]
.LBB126_354:
	s_or_b64 exec, exec, s[8:9]
	v_mov_b32_e32 v6, 0
	ds_read_b128 v[198:201], v6 offset:576
	s_waitcnt lgkmcnt(0)
	v_mul_f64 v[6:7], v[4:5], v[200:201]
	v_mul_f64 v[202:203], v[2:3], v[200:201]
	v_fma_f64 v[200:201], v[2:3], v[198:199], -v[6:7]
	v_fmac_f64_e32 v[202:203], v[4:5], v[198:199]
	scratch_store_dwordx4 off, v[200:203], off offset:576
.LBB126_355:
	s_or_b64 exec, exec, s[4:5]
	scratch_load_dwordx4 v[2:5], v163, off
	v_cmp_lt_u32_e64 s[2:3], 35, v0
	s_waitcnt vmcnt(0)
	ds_write_b128 v9, v[2:5]
	s_waitcnt lgkmcnt(0)
	; wave barrier
	s_waitcnt lgkmcnt(0)
	s_and_saveexec_b64 s[4:5], s[2:3]
	s_cbranch_execz .LBB126_369
; %bb.356:
	ds_read_b128 v[2:5], v9
	s_andn2_b64 vcc, exec, s[6:7]
	s_cbranch_vccnz .LBB126_358
; %bb.357:
	scratch_load_dwordx4 v[198:201], v8, off
	s_waitcnt vmcnt(0) lgkmcnt(0)
	v_mul_f64 v[64:65], v[2:3], v[200:201]
	v_mul_f64 v[6:7], v[4:5], v[200:201]
	v_fmac_f64_e32 v[64:65], v[4:5], v[198:199]
	v_fma_f64 v[2:3], v[2:3], v[198:199], -v[6:7]
	v_mov_b64_e32 v[4:5], v[64:65]
.LBB126_358:
	s_and_saveexec_b64 s[8:9], s[0:1]
	s_cbranch_execz .LBB126_368
; %bb.359:
	v_subrev_u32_e32 v7, 37, v0
	v_subrev_u32_e32 v6, 36, v0
	v_cmp_lt_u32_e32 vcc, 6, v7
	v_mov_b32_e32 v199, 36
	s_and_saveexec_b64 s[0:1], vcc
	s_cbranch_execz .LBB126_363
; %bb.360:
	v_and_b32_e32 v7, -8, v6
	s_mov_b32 s12, 0
	s_mov_b64 s[10:11], 0
	v_mov_b32_e32 v198, 0
	s_mov_b32 s13, 0
.LBB126_361:                            ; =>This Inner Loop Header: Depth=1
	v_readfirstlane_b32 s14, v198
	s_add_i32 s14, s14, s12
	s_add_i32 s15, s14, 0x240
	v_mov_b32_e32 v199, s12
	ds_read_b128 v[200:203], v199 offset:1584
	ds_read_b128 v[204:207], v199 offset:1600
	;; [unrolled: 1-line block ×4, first 2 shown]
	scratch_load_dwordx4 v[216:219], off, s15
	s_add_i32 s15, s14, 0x250
	s_addk_i32 s12, 0x80
	s_waitcnt vmcnt(0) lgkmcnt(3)
	v_mul_f64 v[64:65], v[202:203], v[218:219]
	v_fma_f64 v[64:65], v[200:201], v[216:217], -v[64:65]
	v_mul_f64 v[200:201], v[200:201], v[218:219]
	v_fmac_f64_e32 v[200:201], v[202:203], v[216:217]
	v_add_f64 v[64:65], v[2:3], v[64:65]
	v_add_f64 v[200:201], v[4:5], v[200:201]
	scratch_load_dwordx4 v[2:5], off, s15
	s_add_i32 s15, s14, 0x260
	s_waitcnt vmcnt(0) lgkmcnt(2)
	v_mul_f64 v[202:203], v[206:207], v[4:5]
	v_mul_f64 v[4:5], v[204:205], v[4:5]
	v_fmac_f64_e32 v[4:5], v[206:207], v[2:3]
	v_fma_f64 v[202:203], v[204:205], v[2:3], -v[202:203]
	v_add_f64 v[200:201], v[200:201], v[4:5]
	scratch_load_dwordx4 v[2:5], off, s15
	v_add_f64 v[64:65], v[64:65], v[202:203]
	s_add_i32 s15, s14, 0x270
	s_waitcnt vmcnt(0) lgkmcnt(1)
	v_mul_f64 v[202:203], v[210:211], v[4:5]
	v_mul_f64 v[4:5], v[208:209], v[4:5]
	v_fmac_f64_e32 v[4:5], v[210:211], v[2:3]
	v_fma_f64 v[202:203], v[208:209], v[2:3], -v[202:203]
	v_add_f64 v[200:201], v[200:201], v[4:5]
	scratch_load_dwordx4 v[2:5], off, s15
	v_add_f64 v[64:65], v[64:65], v[202:203]
	s_add_i32 s15, s14, 0x280
	s_waitcnt vmcnt(0) lgkmcnt(0)
	v_mul_f64 v[202:203], v[214:215], v[4:5]
	v_mul_f64 v[4:5], v[212:213], v[4:5]
	v_fma_f64 v[202:203], v[212:213], v[2:3], -v[202:203]
	v_fmac_f64_e32 v[4:5], v[214:215], v[2:3]
	v_add_f64 v[64:65], v[64:65], v[202:203]
	v_add_f64 v[204:205], v[200:201], v[4:5]
	scratch_load_dwordx4 v[200:203], off, s15
	ds_read_b128 v[2:5], v199 offset:1648
	s_add_i32 s15, s14, 0x290
	s_waitcnt vmcnt(0) lgkmcnt(0)
	v_mul_f64 v[206:207], v[4:5], v[202:203]
	v_fma_f64 v[206:207], v[2:3], v[200:201], -v[206:207]
	v_mul_f64 v[2:3], v[2:3], v[202:203]
	v_fmac_f64_e32 v[2:3], v[4:5], v[200:201]
	scratch_load_dwordx4 v[200:203], off, s15
	v_add_f64 v[204:205], v[204:205], v[2:3]
	ds_read_b128 v[2:5], v199 offset:1664
	v_add_f64 v[64:65], v[64:65], v[206:207]
	s_add_i32 s15, s14, 0x2a0
	s_addk_i32 s14, 0x2b0
	s_waitcnt vmcnt(0) lgkmcnt(0)
	v_mul_f64 v[206:207], v[4:5], v[202:203]
	v_fma_f64 v[206:207], v[2:3], v[200:201], -v[206:207]
	v_mul_f64 v[2:3], v[2:3], v[202:203]
	v_fmac_f64_e32 v[2:3], v[4:5], v[200:201]
	scratch_load_dwordx4 v[200:203], off, s15
	v_add_f64 v[204:205], v[204:205], v[2:3]
	ds_read_b128 v[2:5], v199 offset:1680
	v_add_f64 v[64:65], v[64:65], v[206:207]
	s_waitcnt vmcnt(0) lgkmcnt(0)
	v_mul_f64 v[206:207], v[4:5], v[202:203]
	v_fma_f64 v[206:207], v[2:3], v[200:201], -v[206:207]
	v_mul_f64 v[2:3], v[2:3], v[202:203]
	v_fmac_f64_e32 v[2:3], v[4:5], v[200:201]
	scratch_load_dwordx4 v[200:203], off, s14
	v_add_f64 v[204:205], v[204:205], v[2:3]
	ds_read_b128 v[2:5], v199 offset:1696
	v_add_f64 v[64:65], v[64:65], v[206:207]
	s_add_i32 s14, s13, 8
	v_cmp_eq_u32_e32 vcc, s14, v7
	s_add_i32 s13, s13, 44
	s_or_b64 s[10:11], vcc, s[10:11]
	v_mov_b32_e32 v199, s13
	s_mov_b32 s13, s14
	s_waitcnt vmcnt(0) lgkmcnt(0)
	v_mul_f64 v[206:207], v[4:5], v[202:203]
	v_mul_f64 v[202:203], v[2:3], v[202:203]
	v_fma_f64 v[206:207], v[2:3], v[200:201], -v[206:207]
	v_fmac_f64_e32 v[202:203], v[4:5], v[200:201]
	v_add_f64 v[2:3], v[64:65], v[206:207]
	v_add_f64 v[4:5], v[204:205], v[202:203]
	s_andn2_b64 exec, exec, s[10:11]
	s_cbranch_execnz .LBB126_361
; %bb.362:
	s_or_b64 exec, exec, s[10:11]
.LBB126_363:
	s_or_b64 exec, exec, s[0:1]
	v_and_b32_e32 v6, 7, v6
	v_cmp_ne_u32_e32 vcc, 0, v6
	s_and_saveexec_b64 s[0:1], vcc
	s_cbranch_execz .LBB126_367
; %bb.364:
	v_lshlrev_b32_e32 v64, 4, v199
	v_add_u32_e32 v7, 0x3f0, v64
	v_add_u32_e32 v198, 0, v64
	s_mov_b64 s[10:11], 0
.LBB126_365:                            ; =>This Inner Loop Header: Depth=1
	scratch_load_dwordx4 v[200:203], v198, off
	ds_read_b128 v[204:207], v7
	v_add_u32_e32 v6, -1, v6
	v_cmp_eq_u32_e32 vcc, 0, v6
	v_add_u32_e32 v7, 16, v7
	v_add_u32_e32 v198, 16, v198
	s_or_b64 s[10:11], vcc, s[10:11]
	s_waitcnt vmcnt(0) lgkmcnt(0)
	v_mul_f64 v[64:65], v[206:207], v[202:203]
	v_mul_f64 v[202:203], v[204:205], v[202:203]
	v_fma_f64 v[64:65], v[204:205], v[200:201], -v[64:65]
	v_fmac_f64_e32 v[202:203], v[206:207], v[200:201]
	v_add_f64 v[2:3], v[2:3], v[64:65]
	v_add_f64 v[4:5], v[4:5], v[202:203]
	s_andn2_b64 exec, exec, s[10:11]
	s_cbranch_execnz .LBB126_365
; %bb.366:
	s_or_b64 exec, exec, s[10:11]
.LBB126_367:
	s_or_b64 exec, exec, s[0:1]
.LBB126_368:
	s_or_b64 exec, exec, s[8:9]
	v_mov_b32_e32 v6, 0
	ds_read_b128 v[198:201], v6 offset:560
	s_waitcnt lgkmcnt(0)
	v_mul_f64 v[6:7], v[4:5], v[200:201]
	v_mul_f64 v[202:203], v[2:3], v[200:201]
	v_fma_f64 v[200:201], v[2:3], v[198:199], -v[6:7]
	v_fmac_f64_e32 v[202:203], v[4:5], v[198:199]
	scratch_store_dwordx4 off, v[200:203], off offset:560
.LBB126_369:
	s_or_b64 exec, exec, s[4:5]
	scratch_load_dwordx4 v[2:5], v164, off
	v_cmp_lt_u32_e64 s[0:1], 34, v0
	s_waitcnt vmcnt(0)
	ds_write_b128 v9, v[2:5]
	s_waitcnt lgkmcnt(0)
	; wave barrier
	s_waitcnt lgkmcnt(0)
	s_and_saveexec_b64 s[4:5], s[0:1]
	s_cbranch_execz .LBB126_383
; %bb.370:
	ds_read_b128 v[2:5], v9
	s_andn2_b64 vcc, exec, s[6:7]
	s_cbranch_vccnz .LBB126_372
; %bb.371:
	scratch_load_dwordx4 v[198:201], v8, off
	s_waitcnt vmcnt(0) lgkmcnt(0)
	v_mul_f64 v[64:65], v[2:3], v[200:201]
	v_mul_f64 v[6:7], v[4:5], v[200:201]
	v_fmac_f64_e32 v[64:65], v[4:5], v[198:199]
	v_fma_f64 v[2:3], v[2:3], v[198:199], -v[6:7]
	v_mov_b64_e32 v[4:5], v[64:65]
.LBB126_372:
	s_and_saveexec_b64 s[8:9], s[2:3]
	s_cbranch_execz .LBB126_382
; %bb.373:
	v_subrev_u32_e32 v7, 36, v0
	v_subrev_u32_e32 v6, 35, v0
	v_cmp_lt_u32_e32 vcc, 6, v7
	v_mov_b32_e32 v199, 35
	s_and_saveexec_b64 s[2:3], vcc
	s_cbranch_execz .LBB126_377
; %bb.374:
	v_and_b32_e32 v7, -8, v6
	s_mov_b32 s12, 0
	s_mov_b64 s[10:11], 0
	v_mov_b32_e32 v198, 0
	s_mov_b32 s13, 0
.LBB126_375:                            ; =>This Inner Loop Header: Depth=1
	v_readfirstlane_b32 s14, v198
	s_add_i32 s14, s14, s12
	s_add_i32 s15, s14, 0x230
	v_mov_b32_e32 v199, s12
	ds_read_b128 v[200:203], v199 offset:1568
	ds_read_b128 v[204:207], v199 offset:1584
	;; [unrolled: 1-line block ×4, first 2 shown]
	scratch_load_dwordx4 v[216:219], off, s15
	s_add_i32 s15, s14, 0x240
	s_addk_i32 s12, 0x80
	s_waitcnt vmcnt(0) lgkmcnt(3)
	v_mul_f64 v[64:65], v[202:203], v[218:219]
	v_fma_f64 v[64:65], v[200:201], v[216:217], -v[64:65]
	v_mul_f64 v[200:201], v[200:201], v[218:219]
	v_fmac_f64_e32 v[200:201], v[202:203], v[216:217]
	v_add_f64 v[64:65], v[2:3], v[64:65]
	v_add_f64 v[200:201], v[4:5], v[200:201]
	scratch_load_dwordx4 v[2:5], off, s15
	s_add_i32 s15, s14, 0x250
	s_waitcnt vmcnt(0) lgkmcnt(2)
	v_mul_f64 v[202:203], v[206:207], v[4:5]
	v_mul_f64 v[4:5], v[204:205], v[4:5]
	v_fmac_f64_e32 v[4:5], v[206:207], v[2:3]
	v_fma_f64 v[202:203], v[204:205], v[2:3], -v[202:203]
	v_add_f64 v[200:201], v[200:201], v[4:5]
	scratch_load_dwordx4 v[2:5], off, s15
	v_add_f64 v[64:65], v[64:65], v[202:203]
	s_add_i32 s15, s14, 0x260
	s_waitcnt vmcnt(0) lgkmcnt(1)
	v_mul_f64 v[202:203], v[210:211], v[4:5]
	v_mul_f64 v[4:5], v[208:209], v[4:5]
	v_fmac_f64_e32 v[4:5], v[210:211], v[2:3]
	v_fma_f64 v[202:203], v[208:209], v[2:3], -v[202:203]
	v_add_f64 v[200:201], v[200:201], v[4:5]
	scratch_load_dwordx4 v[2:5], off, s15
	v_add_f64 v[64:65], v[64:65], v[202:203]
	s_add_i32 s15, s14, 0x270
	s_waitcnt vmcnt(0) lgkmcnt(0)
	v_mul_f64 v[202:203], v[214:215], v[4:5]
	v_mul_f64 v[4:5], v[212:213], v[4:5]
	v_fma_f64 v[202:203], v[212:213], v[2:3], -v[202:203]
	v_fmac_f64_e32 v[4:5], v[214:215], v[2:3]
	v_add_f64 v[64:65], v[64:65], v[202:203]
	v_add_f64 v[204:205], v[200:201], v[4:5]
	scratch_load_dwordx4 v[200:203], off, s15
	ds_read_b128 v[2:5], v199 offset:1632
	s_add_i32 s15, s14, 0x280
	s_waitcnt vmcnt(0) lgkmcnt(0)
	v_mul_f64 v[206:207], v[4:5], v[202:203]
	v_fma_f64 v[206:207], v[2:3], v[200:201], -v[206:207]
	v_mul_f64 v[2:3], v[2:3], v[202:203]
	v_fmac_f64_e32 v[2:3], v[4:5], v[200:201]
	scratch_load_dwordx4 v[200:203], off, s15
	v_add_f64 v[204:205], v[204:205], v[2:3]
	ds_read_b128 v[2:5], v199 offset:1648
	v_add_f64 v[64:65], v[64:65], v[206:207]
	s_add_i32 s15, s14, 0x290
	s_addk_i32 s14, 0x2a0
	s_waitcnt vmcnt(0) lgkmcnt(0)
	v_mul_f64 v[206:207], v[4:5], v[202:203]
	v_fma_f64 v[206:207], v[2:3], v[200:201], -v[206:207]
	v_mul_f64 v[2:3], v[2:3], v[202:203]
	v_fmac_f64_e32 v[2:3], v[4:5], v[200:201]
	scratch_load_dwordx4 v[200:203], off, s15
	v_add_f64 v[204:205], v[204:205], v[2:3]
	ds_read_b128 v[2:5], v199 offset:1664
	v_add_f64 v[64:65], v[64:65], v[206:207]
	s_waitcnt vmcnt(0) lgkmcnt(0)
	v_mul_f64 v[206:207], v[4:5], v[202:203]
	v_fma_f64 v[206:207], v[2:3], v[200:201], -v[206:207]
	v_mul_f64 v[2:3], v[2:3], v[202:203]
	v_fmac_f64_e32 v[2:3], v[4:5], v[200:201]
	scratch_load_dwordx4 v[200:203], off, s14
	v_add_f64 v[204:205], v[204:205], v[2:3]
	ds_read_b128 v[2:5], v199 offset:1680
	v_add_f64 v[64:65], v[64:65], v[206:207]
	s_add_i32 s14, s13, 8
	v_cmp_eq_u32_e32 vcc, s14, v7
	s_add_i32 s13, s13, 43
	s_or_b64 s[10:11], vcc, s[10:11]
	v_mov_b32_e32 v199, s13
	s_mov_b32 s13, s14
	s_waitcnt vmcnt(0) lgkmcnt(0)
	v_mul_f64 v[206:207], v[4:5], v[202:203]
	v_mul_f64 v[202:203], v[2:3], v[202:203]
	v_fma_f64 v[206:207], v[2:3], v[200:201], -v[206:207]
	v_fmac_f64_e32 v[202:203], v[4:5], v[200:201]
	v_add_f64 v[2:3], v[64:65], v[206:207]
	v_add_f64 v[4:5], v[204:205], v[202:203]
	s_andn2_b64 exec, exec, s[10:11]
	s_cbranch_execnz .LBB126_375
; %bb.376:
	s_or_b64 exec, exec, s[10:11]
.LBB126_377:
	s_or_b64 exec, exec, s[2:3]
	v_and_b32_e32 v6, 7, v6
	v_cmp_ne_u32_e32 vcc, 0, v6
	s_and_saveexec_b64 s[2:3], vcc
	s_cbranch_execz .LBB126_381
; %bb.378:
	v_lshlrev_b32_e32 v64, 4, v199
	v_add_u32_e32 v7, 0x3f0, v64
	v_add_u32_e32 v198, 0, v64
	s_mov_b64 s[10:11], 0
.LBB126_379:                            ; =>This Inner Loop Header: Depth=1
	scratch_load_dwordx4 v[200:203], v198, off
	ds_read_b128 v[204:207], v7
	v_add_u32_e32 v6, -1, v6
	v_cmp_eq_u32_e32 vcc, 0, v6
	v_add_u32_e32 v7, 16, v7
	v_add_u32_e32 v198, 16, v198
	s_or_b64 s[10:11], vcc, s[10:11]
	s_waitcnt vmcnt(0) lgkmcnt(0)
	v_mul_f64 v[64:65], v[206:207], v[202:203]
	v_mul_f64 v[202:203], v[204:205], v[202:203]
	v_fma_f64 v[64:65], v[204:205], v[200:201], -v[64:65]
	v_fmac_f64_e32 v[202:203], v[206:207], v[200:201]
	v_add_f64 v[2:3], v[2:3], v[64:65]
	v_add_f64 v[4:5], v[4:5], v[202:203]
	s_andn2_b64 exec, exec, s[10:11]
	s_cbranch_execnz .LBB126_379
; %bb.380:
	s_or_b64 exec, exec, s[10:11]
.LBB126_381:
	s_or_b64 exec, exec, s[2:3]
.LBB126_382:
	s_or_b64 exec, exec, s[8:9]
	v_mov_b32_e32 v6, 0
	ds_read_b128 v[198:201], v6 offset:544
	s_waitcnt lgkmcnt(0)
	v_mul_f64 v[6:7], v[4:5], v[200:201]
	v_mul_f64 v[202:203], v[2:3], v[200:201]
	v_fma_f64 v[200:201], v[2:3], v[198:199], -v[6:7]
	v_fmac_f64_e32 v[202:203], v[4:5], v[198:199]
	scratch_store_dwordx4 off, v[200:203], off offset:544
.LBB126_383:
	s_or_b64 exec, exec, s[4:5]
	scratch_load_dwordx4 v[2:5], v165, off
	v_cmp_lt_u32_e64 s[2:3], 33, v0
	s_waitcnt vmcnt(0)
	ds_write_b128 v9, v[2:5]
	s_waitcnt lgkmcnt(0)
	; wave barrier
	s_waitcnt lgkmcnt(0)
	s_and_saveexec_b64 s[4:5], s[2:3]
	s_cbranch_execz .LBB126_397
; %bb.384:
	ds_read_b128 v[2:5], v9
	s_andn2_b64 vcc, exec, s[6:7]
	s_cbranch_vccnz .LBB126_386
; %bb.385:
	scratch_load_dwordx4 v[198:201], v8, off
	s_waitcnt vmcnt(0) lgkmcnt(0)
	v_mul_f64 v[64:65], v[2:3], v[200:201]
	v_mul_f64 v[6:7], v[4:5], v[200:201]
	v_fmac_f64_e32 v[64:65], v[4:5], v[198:199]
	v_fma_f64 v[2:3], v[2:3], v[198:199], -v[6:7]
	v_mov_b64_e32 v[4:5], v[64:65]
.LBB126_386:
	s_and_saveexec_b64 s[8:9], s[0:1]
	s_cbranch_execz .LBB126_396
; %bb.387:
	v_subrev_u32_e32 v7, 35, v0
	v_subrev_u32_e32 v6, 34, v0
	v_cmp_lt_u32_e32 vcc, 6, v7
	v_mov_b32_e32 v199, 34
	s_and_saveexec_b64 s[0:1], vcc
	s_cbranch_execz .LBB126_391
; %bb.388:
	v_and_b32_e32 v7, -8, v6
	s_mov_b32 s12, 0
	s_mov_b64 s[10:11], 0
	v_mov_b32_e32 v198, 0
	s_mov_b32 s13, 0
.LBB126_389:                            ; =>This Inner Loop Header: Depth=1
	v_readfirstlane_b32 s14, v198
	s_add_i32 s14, s14, s12
	s_add_i32 s15, s14, 0x220
	v_mov_b32_e32 v199, s12
	ds_read_b128 v[200:203], v199 offset:1552
	ds_read_b128 v[204:207], v199 offset:1568
	;; [unrolled: 1-line block ×4, first 2 shown]
	scratch_load_dwordx4 v[216:219], off, s15
	s_add_i32 s15, s14, 0x230
	s_addk_i32 s12, 0x80
	s_waitcnt vmcnt(0) lgkmcnt(3)
	v_mul_f64 v[64:65], v[202:203], v[218:219]
	v_fma_f64 v[64:65], v[200:201], v[216:217], -v[64:65]
	v_mul_f64 v[200:201], v[200:201], v[218:219]
	v_fmac_f64_e32 v[200:201], v[202:203], v[216:217]
	v_add_f64 v[64:65], v[2:3], v[64:65]
	v_add_f64 v[200:201], v[4:5], v[200:201]
	scratch_load_dwordx4 v[2:5], off, s15
	s_add_i32 s15, s14, 0x240
	s_waitcnt vmcnt(0) lgkmcnt(2)
	v_mul_f64 v[202:203], v[206:207], v[4:5]
	v_mul_f64 v[4:5], v[204:205], v[4:5]
	v_fmac_f64_e32 v[4:5], v[206:207], v[2:3]
	v_fma_f64 v[202:203], v[204:205], v[2:3], -v[202:203]
	v_add_f64 v[200:201], v[200:201], v[4:5]
	scratch_load_dwordx4 v[2:5], off, s15
	v_add_f64 v[64:65], v[64:65], v[202:203]
	s_add_i32 s15, s14, 0x250
	s_waitcnt vmcnt(0) lgkmcnt(1)
	v_mul_f64 v[202:203], v[210:211], v[4:5]
	v_mul_f64 v[4:5], v[208:209], v[4:5]
	v_fmac_f64_e32 v[4:5], v[210:211], v[2:3]
	v_fma_f64 v[202:203], v[208:209], v[2:3], -v[202:203]
	v_add_f64 v[200:201], v[200:201], v[4:5]
	scratch_load_dwordx4 v[2:5], off, s15
	v_add_f64 v[64:65], v[64:65], v[202:203]
	s_add_i32 s15, s14, 0x260
	s_waitcnt vmcnt(0) lgkmcnt(0)
	v_mul_f64 v[202:203], v[214:215], v[4:5]
	v_mul_f64 v[4:5], v[212:213], v[4:5]
	v_fma_f64 v[202:203], v[212:213], v[2:3], -v[202:203]
	v_fmac_f64_e32 v[4:5], v[214:215], v[2:3]
	v_add_f64 v[64:65], v[64:65], v[202:203]
	v_add_f64 v[204:205], v[200:201], v[4:5]
	scratch_load_dwordx4 v[200:203], off, s15
	ds_read_b128 v[2:5], v199 offset:1616
	s_add_i32 s15, s14, 0x270
	s_waitcnt vmcnt(0) lgkmcnt(0)
	v_mul_f64 v[206:207], v[4:5], v[202:203]
	v_fma_f64 v[206:207], v[2:3], v[200:201], -v[206:207]
	v_mul_f64 v[2:3], v[2:3], v[202:203]
	v_fmac_f64_e32 v[2:3], v[4:5], v[200:201]
	scratch_load_dwordx4 v[200:203], off, s15
	v_add_f64 v[204:205], v[204:205], v[2:3]
	ds_read_b128 v[2:5], v199 offset:1632
	v_add_f64 v[64:65], v[64:65], v[206:207]
	s_add_i32 s15, s14, 0x280
	s_addk_i32 s14, 0x290
	s_waitcnt vmcnt(0) lgkmcnt(0)
	v_mul_f64 v[206:207], v[4:5], v[202:203]
	v_fma_f64 v[206:207], v[2:3], v[200:201], -v[206:207]
	v_mul_f64 v[2:3], v[2:3], v[202:203]
	v_fmac_f64_e32 v[2:3], v[4:5], v[200:201]
	scratch_load_dwordx4 v[200:203], off, s15
	v_add_f64 v[204:205], v[204:205], v[2:3]
	ds_read_b128 v[2:5], v199 offset:1648
	v_add_f64 v[64:65], v[64:65], v[206:207]
	s_waitcnt vmcnt(0) lgkmcnt(0)
	v_mul_f64 v[206:207], v[4:5], v[202:203]
	v_fma_f64 v[206:207], v[2:3], v[200:201], -v[206:207]
	v_mul_f64 v[2:3], v[2:3], v[202:203]
	v_fmac_f64_e32 v[2:3], v[4:5], v[200:201]
	scratch_load_dwordx4 v[200:203], off, s14
	v_add_f64 v[204:205], v[204:205], v[2:3]
	ds_read_b128 v[2:5], v199 offset:1664
	v_add_f64 v[64:65], v[64:65], v[206:207]
	s_add_i32 s14, s13, 8
	v_cmp_eq_u32_e32 vcc, s14, v7
	s_add_i32 s13, s13, 42
	s_or_b64 s[10:11], vcc, s[10:11]
	v_mov_b32_e32 v199, s13
	s_mov_b32 s13, s14
	s_waitcnt vmcnt(0) lgkmcnt(0)
	v_mul_f64 v[206:207], v[4:5], v[202:203]
	v_mul_f64 v[202:203], v[2:3], v[202:203]
	v_fma_f64 v[206:207], v[2:3], v[200:201], -v[206:207]
	v_fmac_f64_e32 v[202:203], v[4:5], v[200:201]
	v_add_f64 v[2:3], v[64:65], v[206:207]
	v_add_f64 v[4:5], v[204:205], v[202:203]
	s_andn2_b64 exec, exec, s[10:11]
	s_cbranch_execnz .LBB126_389
; %bb.390:
	s_or_b64 exec, exec, s[10:11]
.LBB126_391:
	s_or_b64 exec, exec, s[0:1]
	v_and_b32_e32 v6, 7, v6
	v_cmp_ne_u32_e32 vcc, 0, v6
	s_and_saveexec_b64 s[0:1], vcc
	s_cbranch_execz .LBB126_395
; %bb.392:
	v_lshlrev_b32_e32 v64, 4, v199
	v_add_u32_e32 v7, 0x3f0, v64
	v_add_u32_e32 v198, 0, v64
	s_mov_b64 s[10:11], 0
.LBB126_393:                            ; =>This Inner Loop Header: Depth=1
	scratch_load_dwordx4 v[200:203], v198, off
	ds_read_b128 v[204:207], v7
	v_add_u32_e32 v6, -1, v6
	v_cmp_eq_u32_e32 vcc, 0, v6
	v_add_u32_e32 v7, 16, v7
	v_add_u32_e32 v198, 16, v198
	s_or_b64 s[10:11], vcc, s[10:11]
	s_waitcnt vmcnt(0) lgkmcnt(0)
	v_mul_f64 v[64:65], v[206:207], v[202:203]
	v_mul_f64 v[202:203], v[204:205], v[202:203]
	v_fma_f64 v[64:65], v[204:205], v[200:201], -v[64:65]
	v_fmac_f64_e32 v[202:203], v[206:207], v[200:201]
	v_add_f64 v[2:3], v[2:3], v[64:65]
	v_add_f64 v[4:5], v[4:5], v[202:203]
	s_andn2_b64 exec, exec, s[10:11]
	s_cbranch_execnz .LBB126_393
; %bb.394:
	s_or_b64 exec, exec, s[10:11]
.LBB126_395:
	s_or_b64 exec, exec, s[0:1]
.LBB126_396:
	s_or_b64 exec, exec, s[8:9]
	v_mov_b32_e32 v6, 0
	ds_read_b128 v[198:201], v6 offset:528
	s_waitcnt lgkmcnt(0)
	v_mul_f64 v[6:7], v[4:5], v[200:201]
	v_mul_f64 v[202:203], v[2:3], v[200:201]
	v_fma_f64 v[200:201], v[2:3], v[198:199], -v[6:7]
	v_fmac_f64_e32 v[202:203], v[4:5], v[198:199]
	scratch_store_dwordx4 off, v[200:203], off offset:528
.LBB126_397:
	s_or_b64 exec, exec, s[4:5]
	scratch_load_dwordx4 v[2:5], v166, off
	v_cmp_lt_u32_e64 s[0:1], 32, v0
	s_waitcnt vmcnt(0)
	ds_write_b128 v9, v[2:5]
	s_waitcnt lgkmcnt(0)
	; wave barrier
	s_waitcnt lgkmcnt(0)
	s_and_saveexec_b64 s[4:5], s[0:1]
	s_cbranch_execz .LBB126_411
; %bb.398:
	ds_read_b128 v[2:5], v9
	s_andn2_b64 vcc, exec, s[6:7]
	s_cbranch_vccnz .LBB126_400
; %bb.399:
	scratch_load_dwordx4 v[198:201], v8, off
	s_waitcnt vmcnt(0) lgkmcnt(0)
	v_mul_f64 v[64:65], v[2:3], v[200:201]
	v_mul_f64 v[6:7], v[4:5], v[200:201]
	v_fmac_f64_e32 v[64:65], v[4:5], v[198:199]
	v_fma_f64 v[2:3], v[2:3], v[198:199], -v[6:7]
	v_mov_b64_e32 v[4:5], v[64:65]
.LBB126_400:
	s_and_saveexec_b64 s[8:9], s[2:3]
	s_cbranch_execz .LBB126_410
; %bb.401:
	v_subrev_u32_e32 v7, 34, v0
	v_subrev_u32_e32 v6, 33, v0
	v_cmp_lt_u32_e32 vcc, 6, v7
	v_mov_b32_e32 v199, 33
	s_and_saveexec_b64 s[2:3], vcc
	s_cbranch_execz .LBB126_405
; %bb.402:
	v_and_b32_e32 v7, -8, v6
	s_mov_b32 s12, 0
	s_mov_b64 s[10:11], 0
	v_mov_b32_e32 v198, 0
	s_mov_b32 s13, 0
.LBB126_403:                            ; =>This Inner Loop Header: Depth=1
	v_readfirstlane_b32 s14, v198
	s_add_i32 s14, s14, s12
	s_add_i32 s15, s14, 0x210
	v_mov_b32_e32 v199, s12
	ds_read_b128 v[200:203], v199 offset:1536
	ds_read_b128 v[204:207], v199 offset:1552
	;; [unrolled: 1-line block ×4, first 2 shown]
	scratch_load_dwordx4 v[216:219], off, s15
	s_add_i32 s15, s14, 0x220
	s_addk_i32 s12, 0x80
	s_waitcnt vmcnt(0) lgkmcnt(3)
	v_mul_f64 v[64:65], v[202:203], v[218:219]
	v_fma_f64 v[64:65], v[200:201], v[216:217], -v[64:65]
	v_mul_f64 v[200:201], v[200:201], v[218:219]
	v_fmac_f64_e32 v[200:201], v[202:203], v[216:217]
	v_add_f64 v[64:65], v[2:3], v[64:65]
	v_add_f64 v[200:201], v[4:5], v[200:201]
	scratch_load_dwordx4 v[2:5], off, s15
	s_add_i32 s15, s14, 0x230
	s_waitcnt vmcnt(0) lgkmcnt(2)
	v_mul_f64 v[202:203], v[206:207], v[4:5]
	v_mul_f64 v[4:5], v[204:205], v[4:5]
	v_fmac_f64_e32 v[4:5], v[206:207], v[2:3]
	v_fma_f64 v[202:203], v[204:205], v[2:3], -v[202:203]
	v_add_f64 v[200:201], v[200:201], v[4:5]
	scratch_load_dwordx4 v[2:5], off, s15
	v_add_f64 v[64:65], v[64:65], v[202:203]
	s_add_i32 s15, s14, 0x240
	s_waitcnt vmcnt(0) lgkmcnt(1)
	v_mul_f64 v[202:203], v[210:211], v[4:5]
	v_mul_f64 v[4:5], v[208:209], v[4:5]
	v_fmac_f64_e32 v[4:5], v[210:211], v[2:3]
	v_fma_f64 v[202:203], v[208:209], v[2:3], -v[202:203]
	v_add_f64 v[200:201], v[200:201], v[4:5]
	scratch_load_dwordx4 v[2:5], off, s15
	v_add_f64 v[64:65], v[64:65], v[202:203]
	s_add_i32 s15, s14, 0x250
	s_waitcnt vmcnt(0) lgkmcnt(0)
	v_mul_f64 v[202:203], v[214:215], v[4:5]
	v_mul_f64 v[4:5], v[212:213], v[4:5]
	v_fma_f64 v[202:203], v[212:213], v[2:3], -v[202:203]
	v_fmac_f64_e32 v[4:5], v[214:215], v[2:3]
	v_add_f64 v[64:65], v[64:65], v[202:203]
	v_add_f64 v[204:205], v[200:201], v[4:5]
	scratch_load_dwordx4 v[200:203], off, s15
	ds_read_b128 v[2:5], v199 offset:1600
	s_add_i32 s15, s14, 0x260
	s_waitcnt vmcnt(0) lgkmcnt(0)
	v_mul_f64 v[206:207], v[4:5], v[202:203]
	v_fma_f64 v[206:207], v[2:3], v[200:201], -v[206:207]
	v_mul_f64 v[2:3], v[2:3], v[202:203]
	v_fmac_f64_e32 v[2:3], v[4:5], v[200:201]
	scratch_load_dwordx4 v[200:203], off, s15
	v_add_f64 v[204:205], v[204:205], v[2:3]
	ds_read_b128 v[2:5], v199 offset:1616
	v_add_f64 v[64:65], v[64:65], v[206:207]
	s_add_i32 s15, s14, 0x270
	s_addk_i32 s14, 0x280
	s_waitcnt vmcnt(0) lgkmcnt(0)
	v_mul_f64 v[206:207], v[4:5], v[202:203]
	v_fma_f64 v[206:207], v[2:3], v[200:201], -v[206:207]
	v_mul_f64 v[2:3], v[2:3], v[202:203]
	v_fmac_f64_e32 v[2:3], v[4:5], v[200:201]
	scratch_load_dwordx4 v[200:203], off, s15
	v_add_f64 v[204:205], v[204:205], v[2:3]
	ds_read_b128 v[2:5], v199 offset:1632
	v_add_f64 v[64:65], v[64:65], v[206:207]
	s_waitcnt vmcnt(0) lgkmcnt(0)
	v_mul_f64 v[206:207], v[4:5], v[202:203]
	v_fma_f64 v[206:207], v[2:3], v[200:201], -v[206:207]
	v_mul_f64 v[2:3], v[2:3], v[202:203]
	v_fmac_f64_e32 v[2:3], v[4:5], v[200:201]
	scratch_load_dwordx4 v[200:203], off, s14
	v_add_f64 v[204:205], v[204:205], v[2:3]
	ds_read_b128 v[2:5], v199 offset:1648
	v_add_f64 v[64:65], v[64:65], v[206:207]
	s_add_i32 s14, s13, 8
	v_cmp_eq_u32_e32 vcc, s14, v7
	s_add_i32 s13, s13, 41
	s_or_b64 s[10:11], vcc, s[10:11]
	v_mov_b32_e32 v199, s13
	s_mov_b32 s13, s14
	s_waitcnt vmcnt(0) lgkmcnt(0)
	v_mul_f64 v[206:207], v[4:5], v[202:203]
	v_mul_f64 v[202:203], v[2:3], v[202:203]
	v_fma_f64 v[206:207], v[2:3], v[200:201], -v[206:207]
	v_fmac_f64_e32 v[202:203], v[4:5], v[200:201]
	v_add_f64 v[2:3], v[64:65], v[206:207]
	v_add_f64 v[4:5], v[204:205], v[202:203]
	s_andn2_b64 exec, exec, s[10:11]
	s_cbranch_execnz .LBB126_403
; %bb.404:
	s_or_b64 exec, exec, s[10:11]
.LBB126_405:
	s_or_b64 exec, exec, s[2:3]
	v_and_b32_e32 v6, 7, v6
	v_cmp_ne_u32_e32 vcc, 0, v6
	s_and_saveexec_b64 s[2:3], vcc
	s_cbranch_execz .LBB126_409
; %bb.406:
	v_lshlrev_b32_e32 v64, 4, v199
	v_add_u32_e32 v7, 0x3f0, v64
	v_add_u32_e32 v198, 0, v64
	s_mov_b64 s[10:11], 0
.LBB126_407:                            ; =>This Inner Loop Header: Depth=1
	scratch_load_dwordx4 v[200:203], v198, off
	ds_read_b128 v[204:207], v7
	v_add_u32_e32 v6, -1, v6
	v_cmp_eq_u32_e32 vcc, 0, v6
	v_add_u32_e32 v7, 16, v7
	v_add_u32_e32 v198, 16, v198
	s_or_b64 s[10:11], vcc, s[10:11]
	s_waitcnt vmcnt(0) lgkmcnt(0)
	v_mul_f64 v[64:65], v[206:207], v[202:203]
	v_mul_f64 v[202:203], v[204:205], v[202:203]
	v_fma_f64 v[64:65], v[204:205], v[200:201], -v[64:65]
	v_fmac_f64_e32 v[202:203], v[206:207], v[200:201]
	v_add_f64 v[2:3], v[2:3], v[64:65]
	v_add_f64 v[4:5], v[4:5], v[202:203]
	s_andn2_b64 exec, exec, s[10:11]
	s_cbranch_execnz .LBB126_407
; %bb.408:
	s_or_b64 exec, exec, s[10:11]
.LBB126_409:
	s_or_b64 exec, exec, s[2:3]
.LBB126_410:
	s_or_b64 exec, exec, s[8:9]
	v_mov_b32_e32 v6, 0
	ds_read_b128 v[198:201], v6 offset:512
	s_waitcnt lgkmcnt(0)
	v_mul_f64 v[6:7], v[4:5], v[200:201]
	v_mul_f64 v[202:203], v[2:3], v[200:201]
	v_fma_f64 v[200:201], v[2:3], v[198:199], -v[6:7]
	v_fmac_f64_e32 v[202:203], v[4:5], v[198:199]
	scratch_store_dwordx4 off, v[200:203], off offset:512
.LBB126_411:
	s_or_b64 exec, exec, s[4:5]
	scratch_load_dwordx4 v[2:5], v167, off
	v_cmp_lt_u32_e64 s[2:3], 31, v0
	s_waitcnt vmcnt(0)
	ds_write_b128 v9, v[2:5]
	s_waitcnt lgkmcnt(0)
	; wave barrier
	s_waitcnt lgkmcnt(0)
	s_and_saveexec_b64 s[4:5], s[2:3]
	s_cbranch_execz .LBB126_425
; %bb.412:
	ds_read_b128 v[2:5], v9
	s_andn2_b64 vcc, exec, s[6:7]
	s_cbranch_vccnz .LBB126_414
; %bb.413:
	scratch_load_dwordx4 v[198:201], v8, off
	s_waitcnt vmcnt(0) lgkmcnt(0)
	v_mul_f64 v[64:65], v[2:3], v[200:201]
	v_mul_f64 v[6:7], v[4:5], v[200:201]
	v_fmac_f64_e32 v[64:65], v[4:5], v[198:199]
	v_fma_f64 v[2:3], v[2:3], v[198:199], -v[6:7]
	v_mov_b64_e32 v[4:5], v[64:65]
.LBB126_414:
	s_and_saveexec_b64 s[8:9], s[0:1]
	s_cbranch_execz .LBB126_424
; %bb.415:
	v_subrev_u32_e32 v6, 33, v0
	v_cmp_lt_u32_e32 vcc, 6, v6
	v_mov_b32_e32 v6, 32
	s_and_saveexec_b64 s[0:1], vcc
	s_cbranch_execz .LBB126_419
; %bb.416:
	v_and_b32_e32 v6, 56, v0
	s_mov_b32 s12, 32
	s_mov_b32 s13, 0
	s_mov_b64 s[10:11], 0
	v_mov_b32_e32 v7, 0
.LBB126_417:                            ; =>This Inner Loop Header: Depth=1
	s_nop 0
	v_readfirstlane_b32 s14, v7
	s_add_i32 s14, s14, s13
	s_add_i32 s15, s14, 0x200
	v_mov_b32_e32 v218, s13
	ds_read_b128 v[198:201], v218 offset:1520
	ds_read_b128 v[202:205], v218 offset:1536
	;; [unrolled: 1-line block ×4, first 2 shown]
	scratch_load_dwordx4 v[214:217], off, s15
	s_add_i32 s15, s14, 0x210
	s_add_i32 s12, s12, 8
	s_addk_i32 s13, 0x80
	v_cmp_eq_u32_e32 vcc, s12, v6
	s_waitcnt vmcnt(0) lgkmcnt(3)
	v_mul_f64 v[64:65], v[200:201], v[216:217]
	v_fma_f64 v[64:65], v[198:199], v[214:215], -v[64:65]
	v_mul_f64 v[198:199], v[198:199], v[216:217]
	v_fmac_f64_e32 v[198:199], v[200:201], v[214:215]
	v_add_f64 v[64:65], v[2:3], v[64:65]
	v_add_f64 v[198:199], v[4:5], v[198:199]
	scratch_load_dwordx4 v[2:5], off, s15
	s_add_i32 s15, s14, 0x220
	s_waitcnt vmcnt(0) lgkmcnt(2)
	v_mul_f64 v[200:201], v[204:205], v[4:5]
	v_mul_f64 v[4:5], v[202:203], v[4:5]
	v_fmac_f64_e32 v[4:5], v[204:205], v[2:3]
	v_fma_f64 v[200:201], v[202:203], v[2:3], -v[200:201]
	v_add_f64 v[198:199], v[198:199], v[4:5]
	scratch_load_dwordx4 v[2:5], off, s15
	v_add_f64 v[64:65], v[64:65], v[200:201]
	s_add_i32 s15, s14, 0x230
	s_waitcnt vmcnt(0) lgkmcnt(1)
	v_mul_f64 v[200:201], v[208:209], v[4:5]
	v_mul_f64 v[4:5], v[206:207], v[4:5]
	v_fmac_f64_e32 v[4:5], v[208:209], v[2:3]
	v_fma_f64 v[200:201], v[206:207], v[2:3], -v[200:201]
	v_add_f64 v[198:199], v[198:199], v[4:5]
	scratch_load_dwordx4 v[2:5], off, s15
	v_add_f64 v[64:65], v[64:65], v[200:201]
	s_add_i32 s15, s14, 0x240
	s_waitcnt vmcnt(0) lgkmcnt(0)
	v_mul_f64 v[200:201], v[212:213], v[4:5]
	v_mul_f64 v[4:5], v[210:211], v[4:5]
	v_fma_f64 v[200:201], v[210:211], v[2:3], -v[200:201]
	v_fmac_f64_e32 v[4:5], v[212:213], v[2:3]
	v_add_f64 v[64:65], v[64:65], v[200:201]
	v_add_f64 v[202:203], v[198:199], v[4:5]
	scratch_load_dwordx4 v[198:201], off, s15
	ds_read_b128 v[2:5], v218 offset:1584
	s_add_i32 s15, s14, 0x250
	s_waitcnt vmcnt(0) lgkmcnt(0)
	v_mul_f64 v[204:205], v[4:5], v[200:201]
	v_fma_f64 v[204:205], v[2:3], v[198:199], -v[204:205]
	v_mul_f64 v[2:3], v[2:3], v[200:201]
	v_fmac_f64_e32 v[2:3], v[4:5], v[198:199]
	scratch_load_dwordx4 v[198:201], off, s15
	v_add_f64 v[202:203], v[202:203], v[2:3]
	ds_read_b128 v[2:5], v218 offset:1600
	v_add_f64 v[64:65], v[64:65], v[204:205]
	s_add_i32 s15, s14, 0x260
	s_addk_i32 s14, 0x270
	s_or_b64 s[10:11], vcc, s[10:11]
	s_waitcnt vmcnt(0) lgkmcnt(0)
	v_mul_f64 v[204:205], v[4:5], v[200:201]
	v_fma_f64 v[204:205], v[2:3], v[198:199], -v[204:205]
	v_mul_f64 v[2:3], v[2:3], v[200:201]
	v_fmac_f64_e32 v[2:3], v[4:5], v[198:199]
	scratch_load_dwordx4 v[198:201], off, s15
	v_add_f64 v[202:203], v[202:203], v[2:3]
	ds_read_b128 v[2:5], v218 offset:1616
	v_add_f64 v[64:65], v[64:65], v[204:205]
	s_waitcnt vmcnt(0) lgkmcnt(0)
	v_mul_f64 v[204:205], v[4:5], v[200:201]
	v_fma_f64 v[204:205], v[2:3], v[198:199], -v[204:205]
	v_mul_f64 v[2:3], v[2:3], v[200:201]
	v_fmac_f64_e32 v[2:3], v[4:5], v[198:199]
	scratch_load_dwordx4 v[198:201], off, s14
	v_add_f64 v[202:203], v[202:203], v[2:3]
	ds_read_b128 v[2:5], v218 offset:1632
	v_add_f64 v[64:65], v[64:65], v[204:205]
	s_waitcnt vmcnt(0) lgkmcnt(0)
	v_mul_f64 v[204:205], v[4:5], v[200:201]
	v_mul_f64 v[200:201], v[2:3], v[200:201]
	v_fma_f64 v[204:205], v[2:3], v[198:199], -v[204:205]
	v_fmac_f64_e32 v[200:201], v[4:5], v[198:199]
	v_add_f64 v[2:3], v[64:65], v[204:205]
	v_add_f64 v[4:5], v[202:203], v[200:201]
	s_andn2_b64 exec, exec, s[10:11]
	s_cbranch_execnz .LBB126_417
; %bb.418:
	s_or_b64 exec, exec, s[10:11]
.LBB126_419:
	s_or_b64 exec, exec, s[0:1]
	v_and_b32_e32 v7, 7, v0
	v_cmp_ne_u32_e32 vcc, 0, v7
	s_and_saveexec_b64 s[0:1], vcc
	s_cbranch_execz .LBB126_423
; %bb.420:
	v_lshlrev_b32_e32 v64, 4, v6
	v_add_u32_e32 v6, 0x3f0, v64
	v_add_u32_e32 v198, 0, v64
	s_mov_b64 s[10:11], 0
.LBB126_421:                            ; =>This Inner Loop Header: Depth=1
	scratch_load_dwordx4 v[200:203], v198, off
	ds_read_b128 v[204:207], v6
	v_add_u32_e32 v7, -1, v7
	v_cmp_eq_u32_e32 vcc, 0, v7
	v_add_u32_e32 v6, 16, v6
	v_add_u32_e32 v198, 16, v198
	s_or_b64 s[10:11], vcc, s[10:11]
	s_waitcnt vmcnt(0) lgkmcnt(0)
	v_mul_f64 v[64:65], v[206:207], v[202:203]
	v_mul_f64 v[202:203], v[204:205], v[202:203]
	v_fma_f64 v[64:65], v[204:205], v[200:201], -v[64:65]
	v_fmac_f64_e32 v[202:203], v[206:207], v[200:201]
	v_add_f64 v[2:3], v[2:3], v[64:65]
	v_add_f64 v[4:5], v[4:5], v[202:203]
	s_andn2_b64 exec, exec, s[10:11]
	s_cbranch_execnz .LBB126_421
; %bb.422:
	s_or_b64 exec, exec, s[10:11]
.LBB126_423:
	s_or_b64 exec, exec, s[0:1]
.LBB126_424:
	s_or_b64 exec, exec, s[8:9]
	v_mov_b32_e32 v6, 0
	ds_read_b128 v[198:201], v6 offset:496
	s_waitcnt lgkmcnt(0)
	v_mul_f64 v[6:7], v[4:5], v[200:201]
	v_mul_f64 v[202:203], v[2:3], v[200:201]
	v_fma_f64 v[200:201], v[2:3], v[198:199], -v[6:7]
	v_fmac_f64_e32 v[202:203], v[4:5], v[198:199]
	scratch_store_dwordx4 off, v[200:203], off offset:496
.LBB126_425:
	s_or_b64 exec, exec, s[4:5]
	scratch_load_dwordx4 v[2:5], v168, off
	v_cmp_lt_u32_e64 s[0:1], 30, v0
	s_waitcnt vmcnt(0)
	ds_write_b128 v9, v[2:5]
	s_waitcnt lgkmcnt(0)
	; wave barrier
	s_waitcnt lgkmcnt(0)
	s_and_saveexec_b64 s[4:5], s[0:1]
	s_cbranch_execz .LBB126_439
; %bb.426:
	ds_read_b128 v[2:5], v9
	s_andn2_b64 vcc, exec, s[6:7]
	s_cbranch_vccnz .LBB126_428
; %bb.427:
	scratch_load_dwordx4 v[198:201], v8, off
	s_waitcnt vmcnt(0) lgkmcnt(0)
	v_mul_f64 v[64:65], v[2:3], v[200:201]
	v_mul_f64 v[6:7], v[4:5], v[200:201]
	v_fmac_f64_e32 v[64:65], v[4:5], v[198:199]
	v_fma_f64 v[2:3], v[2:3], v[198:199], -v[6:7]
	v_mov_b64_e32 v[4:5], v[64:65]
.LBB126_428:
	s_and_saveexec_b64 s[8:9], s[2:3]
	s_cbranch_execz .LBB126_438
; %bb.429:
	v_subrev_u32_e32 v7, 32, v0
	v_subrev_u32_e32 v6, 31, v0
	v_cmp_lt_u32_e32 vcc, 6, v7
	v_mov_b32_e32 v199, 31
	s_and_saveexec_b64 s[2:3], vcc
	s_cbranch_execz .LBB126_433
; %bb.430:
	v_and_b32_e32 v7, -8, v6
	s_mov_b32 s12, 0
	s_mov_b64 s[10:11], 0
	v_mov_b32_e32 v198, 0
	s_mov_b32 s13, 0
.LBB126_431:                            ; =>This Inner Loop Header: Depth=1
	v_readfirstlane_b32 s14, v198
	s_add_i32 s14, s14, s12
	s_add_i32 s15, s14, 0x1f0
	v_mov_b32_e32 v199, s12
	ds_read_b128 v[200:203], v199 offset:1504
	ds_read_b128 v[204:207], v199 offset:1520
	;; [unrolled: 1-line block ×4, first 2 shown]
	scratch_load_dwordx4 v[216:219], off, s15
	s_add_i32 s15, s14, 0x200
	s_addk_i32 s12, 0x80
	s_waitcnt vmcnt(0) lgkmcnt(3)
	v_mul_f64 v[64:65], v[202:203], v[218:219]
	v_fma_f64 v[64:65], v[200:201], v[216:217], -v[64:65]
	v_mul_f64 v[200:201], v[200:201], v[218:219]
	v_fmac_f64_e32 v[200:201], v[202:203], v[216:217]
	v_add_f64 v[64:65], v[2:3], v[64:65]
	v_add_f64 v[200:201], v[4:5], v[200:201]
	scratch_load_dwordx4 v[2:5], off, s15
	s_add_i32 s15, s14, 0x210
	s_waitcnt vmcnt(0) lgkmcnt(2)
	v_mul_f64 v[202:203], v[206:207], v[4:5]
	v_mul_f64 v[4:5], v[204:205], v[4:5]
	v_fmac_f64_e32 v[4:5], v[206:207], v[2:3]
	v_fma_f64 v[202:203], v[204:205], v[2:3], -v[202:203]
	v_add_f64 v[200:201], v[200:201], v[4:5]
	scratch_load_dwordx4 v[2:5], off, s15
	v_add_f64 v[64:65], v[64:65], v[202:203]
	s_add_i32 s15, s14, 0x220
	s_waitcnt vmcnt(0) lgkmcnt(1)
	v_mul_f64 v[202:203], v[210:211], v[4:5]
	v_mul_f64 v[4:5], v[208:209], v[4:5]
	v_fmac_f64_e32 v[4:5], v[210:211], v[2:3]
	v_fma_f64 v[202:203], v[208:209], v[2:3], -v[202:203]
	v_add_f64 v[200:201], v[200:201], v[4:5]
	scratch_load_dwordx4 v[2:5], off, s15
	v_add_f64 v[64:65], v[64:65], v[202:203]
	s_add_i32 s15, s14, 0x230
	s_waitcnt vmcnt(0) lgkmcnt(0)
	v_mul_f64 v[202:203], v[214:215], v[4:5]
	v_mul_f64 v[4:5], v[212:213], v[4:5]
	v_fma_f64 v[202:203], v[212:213], v[2:3], -v[202:203]
	v_fmac_f64_e32 v[4:5], v[214:215], v[2:3]
	v_add_f64 v[64:65], v[64:65], v[202:203]
	v_add_f64 v[204:205], v[200:201], v[4:5]
	scratch_load_dwordx4 v[200:203], off, s15
	ds_read_b128 v[2:5], v199 offset:1568
	s_add_i32 s15, s14, 0x240
	s_waitcnt vmcnt(0) lgkmcnt(0)
	v_mul_f64 v[206:207], v[4:5], v[202:203]
	v_fma_f64 v[206:207], v[2:3], v[200:201], -v[206:207]
	v_mul_f64 v[2:3], v[2:3], v[202:203]
	v_fmac_f64_e32 v[2:3], v[4:5], v[200:201]
	scratch_load_dwordx4 v[200:203], off, s15
	v_add_f64 v[204:205], v[204:205], v[2:3]
	ds_read_b128 v[2:5], v199 offset:1584
	v_add_f64 v[64:65], v[64:65], v[206:207]
	s_add_i32 s15, s14, 0x250
	s_addk_i32 s14, 0x260
	s_waitcnt vmcnt(0) lgkmcnt(0)
	v_mul_f64 v[206:207], v[4:5], v[202:203]
	v_fma_f64 v[206:207], v[2:3], v[200:201], -v[206:207]
	v_mul_f64 v[2:3], v[2:3], v[202:203]
	v_fmac_f64_e32 v[2:3], v[4:5], v[200:201]
	scratch_load_dwordx4 v[200:203], off, s15
	v_add_f64 v[204:205], v[204:205], v[2:3]
	ds_read_b128 v[2:5], v199 offset:1600
	v_add_f64 v[64:65], v[64:65], v[206:207]
	s_waitcnt vmcnt(0) lgkmcnt(0)
	v_mul_f64 v[206:207], v[4:5], v[202:203]
	v_fma_f64 v[206:207], v[2:3], v[200:201], -v[206:207]
	v_mul_f64 v[2:3], v[2:3], v[202:203]
	v_fmac_f64_e32 v[2:3], v[4:5], v[200:201]
	scratch_load_dwordx4 v[200:203], off, s14
	v_add_f64 v[204:205], v[204:205], v[2:3]
	ds_read_b128 v[2:5], v199 offset:1616
	v_add_f64 v[64:65], v[64:65], v[206:207]
	s_add_i32 s14, s13, 8
	v_cmp_eq_u32_e32 vcc, s14, v7
	s_add_i32 s13, s13, 39
	s_or_b64 s[10:11], vcc, s[10:11]
	v_mov_b32_e32 v199, s13
	s_mov_b32 s13, s14
	s_waitcnt vmcnt(0) lgkmcnt(0)
	v_mul_f64 v[206:207], v[4:5], v[202:203]
	v_mul_f64 v[202:203], v[2:3], v[202:203]
	v_fma_f64 v[206:207], v[2:3], v[200:201], -v[206:207]
	v_fmac_f64_e32 v[202:203], v[4:5], v[200:201]
	v_add_f64 v[2:3], v[64:65], v[206:207]
	v_add_f64 v[4:5], v[204:205], v[202:203]
	s_andn2_b64 exec, exec, s[10:11]
	s_cbranch_execnz .LBB126_431
; %bb.432:
	s_or_b64 exec, exec, s[10:11]
.LBB126_433:
	s_or_b64 exec, exec, s[2:3]
	v_and_b32_e32 v6, 7, v6
	v_cmp_ne_u32_e32 vcc, 0, v6
	s_and_saveexec_b64 s[2:3], vcc
	s_cbranch_execz .LBB126_437
; %bb.434:
	v_lshlrev_b32_e32 v64, 4, v199
	v_add_u32_e32 v7, 0x3f0, v64
	v_add_u32_e32 v198, 0, v64
	s_mov_b64 s[10:11], 0
.LBB126_435:                            ; =>This Inner Loop Header: Depth=1
	scratch_load_dwordx4 v[200:203], v198, off
	ds_read_b128 v[204:207], v7
	v_add_u32_e32 v6, -1, v6
	v_cmp_eq_u32_e32 vcc, 0, v6
	v_add_u32_e32 v7, 16, v7
	v_add_u32_e32 v198, 16, v198
	s_or_b64 s[10:11], vcc, s[10:11]
	s_waitcnt vmcnt(0) lgkmcnt(0)
	v_mul_f64 v[64:65], v[206:207], v[202:203]
	v_mul_f64 v[202:203], v[204:205], v[202:203]
	v_fma_f64 v[64:65], v[204:205], v[200:201], -v[64:65]
	v_fmac_f64_e32 v[202:203], v[206:207], v[200:201]
	v_add_f64 v[2:3], v[2:3], v[64:65]
	v_add_f64 v[4:5], v[4:5], v[202:203]
	s_andn2_b64 exec, exec, s[10:11]
	s_cbranch_execnz .LBB126_435
; %bb.436:
	s_or_b64 exec, exec, s[10:11]
.LBB126_437:
	s_or_b64 exec, exec, s[2:3]
.LBB126_438:
	s_or_b64 exec, exec, s[8:9]
	v_mov_b32_e32 v6, 0
	ds_read_b128 v[198:201], v6 offset:480
	s_waitcnt lgkmcnt(0)
	v_mul_f64 v[6:7], v[4:5], v[200:201]
	v_mul_f64 v[202:203], v[2:3], v[200:201]
	v_fma_f64 v[200:201], v[2:3], v[198:199], -v[6:7]
	v_fmac_f64_e32 v[202:203], v[4:5], v[198:199]
	scratch_store_dwordx4 off, v[200:203], off offset:480
.LBB126_439:
	s_or_b64 exec, exec, s[4:5]
	scratch_load_dwordx4 v[2:5], v169, off
	v_cmp_lt_u32_e64 s[2:3], 29, v0
	s_waitcnt vmcnt(0)
	ds_write_b128 v9, v[2:5]
	s_waitcnt lgkmcnt(0)
	; wave barrier
	s_waitcnt lgkmcnt(0)
	s_and_saveexec_b64 s[4:5], s[2:3]
	s_cbranch_execz .LBB126_453
; %bb.440:
	ds_read_b128 v[2:5], v9
	s_andn2_b64 vcc, exec, s[6:7]
	s_cbranch_vccnz .LBB126_442
; %bb.441:
	scratch_load_dwordx4 v[198:201], v8, off
	s_waitcnt vmcnt(0) lgkmcnt(0)
	v_mul_f64 v[64:65], v[2:3], v[200:201]
	v_mul_f64 v[6:7], v[4:5], v[200:201]
	v_fmac_f64_e32 v[64:65], v[4:5], v[198:199]
	v_fma_f64 v[2:3], v[2:3], v[198:199], -v[6:7]
	v_mov_b64_e32 v[4:5], v[64:65]
.LBB126_442:
	s_and_saveexec_b64 s[8:9], s[0:1]
	s_cbranch_execz .LBB126_452
; %bb.443:
	v_subrev_u32_e32 v7, 31, v0
	v_subrev_u32_e32 v6, 30, v0
	v_cmp_lt_u32_e32 vcc, 6, v7
	v_mov_b32_e32 v199, 30
	s_and_saveexec_b64 s[0:1], vcc
	s_cbranch_execz .LBB126_447
; %bb.444:
	v_and_b32_e32 v7, -8, v6
	s_mov_b32 s12, 0
	s_mov_b64 s[10:11], 0
	v_mov_b32_e32 v198, 0
	s_mov_b32 s13, 0
.LBB126_445:                            ; =>This Inner Loop Header: Depth=1
	v_readfirstlane_b32 s14, v198
	s_add_i32 s14, s14, s12
	s_add_i32 s15, s14, 0x1e0
	v_mov_b32_e32 v199, s12
	ds_read_b128 v[200:203], v199 offset:1488
	ds_read_b128 v[204:207], v199 offset:1504
	ds_read_b128 v[208:211], v199 offset:1520
	ds_read_b128 v[212:215], v199 offset:1536
	scratch_load_dwordx4 v[216:219], off, s15
	s_add_i32 s15, s14, 0x1f0
	s_addk_i32 s12, 0x80
	s_waitcnt vmcnt(0) lgkmcnt(3)
	v_mul_f64 v[64:65], v[202:203], v[218:219]
	v_fma_f64 v[64:65], v[200:201], v[216:217], -v[64:65]
	v_mul_f64 v[200:201], v[200:201], v[218:219]
	v_fmac_f64_e32 v[200:201], v[202:203], v[216:217]
	v_add_f64 v[64:65], v[2:3], v[64:65]
	v_add_f64 v[200:201], v[4:5], v[200:201]
	scratch_load_dwordx4 v[2:5], off, s15
	s_add_i32 s15, s14, 0x200
	s_waitcnt vmcnt(0) lgkmcnt(2)
	v_mul_f64 v[202:203], v[206:207], v[4:5]
	v_mul_f64 v[4:5], v[204:205], v[4:5]
	v_fmac_f64_e32 v[4:5], v[206:207], v[2:3]
	v_fma_f64 v[202:203], v[204:205], v[2:3], -v[202:203]
	v_add_f64 v[200:201], v[200:201], v[4:5]
	scratch_load_dwordx4 v[2:5], off, s15
	v_add_f64 v[64:65], v[64:65], v[202:203]
	s_add_i32 s15, s14, 0x210
	s_waitcnt vmcnt(0) lgkmcnt(1)
	v_mul_f64 v[202:203], v[210:211], v[4:5]
	v_mul_f64 v[4:5], v[208:209], v[4:5]
	v_fmac_f64_e32 v[4:5], v[210:211], v[2:3]
	v_fma_f64 v[202:203], v[208:209], v[2:3], -v[202:203]
	v_add_f64 v[200:201], v[200:201], v[4:5]
	scratch_load_dwordx4 v[2:5], off, s15
	v_add_f64 v[64:65], v[64:65], v[202:203]
	s_add_i32 s15, s14, 0x220
	s_waitcnt vmcnt(0) lgkmcnt(0)
	v_mul_f64 v[202:203], v[214:215], v[4:5]
	v_mul_f64 v[4:5], v[212:213], v[4:5]
	v_fma_f64 v[202:203], v[212:213], v[2:3], -v[202:203]
	v_fmac_f64_e32 v[4:5], v[214:215], v[2:3]
	v_add_f64 v[64:65], v[64:65], v[202:203]
	v_add_f64 v[204:205], v[200:201], v[4:5]
	scratch_load_dwordx4 v[200:203], off, s15
	ds_read_b128 v[2:5], v199 offset:1552
	s_add_i32 s15, s14, 0x230
	s_waitcnt vmcnt(0) lgkmcnt(0)
	v_mul_f64 v[206:207], v[4:5], v[202:203]
	v_fma_f64 v[206:207], v[2:3], v[200:201], -v[206:207]
	v_mul_f64 v[2:3], v[2:3], v[202:203]
	v_fmac_f64_e32 v[2:3], v[4:5], v[200:201]
	scratch_load_dwordx4 v[200:203], off, s15
	v_add_f64 v[204:205], v[204:205], v[2:3]
	ds_read_b128 v[2:5], v199 offset:1568
	v_add_f64 v[64:65], v[64:65], v[206:207]
	s_add_i32 s15, s14, 0x240
	s_addk_i32 s14, 0x250
	s_waitcnt vmcnt(0) lgkmcnt(0)
	v_mul_f64 v[206:207], v[4:5], v[202:203]
	v_fma_f64 v[206:207], v[2:3], v[200:201], -v[206:207]
	v_mul_f64 v[2:3], v[2:3], v[202:203]
	v_fmac_f64_e32 v[2:3], v[4:5], v[200:201]
	scratch_load_dwordx4 v[200:203], off, s15
	v_add_f64 v[204:205], v[204:205], v[2:3]
	ds_read_b128 v[2:5], v199 offset:1584
	v_add_f64 v[64:65], v[64:65], v[206:207]
	s_waitcnt vmcnt(0) lgkmcnt(0)
	v_mul_f64 v[206:207], v[4:5], v[202:203]
	v_fma_f64 v[206:207], v[2:3], v[200:201], -v[206:207]
	v_mul_f64 v[2:3], v[2:3], v[202:203]
	v_fmac_f64_e32 v[2:3], v[4:5], v[200:201]
	scratch_load_dwordx4 v[200:203], off, s14
	v_add_f64 v[204:205], v[204:205], v[2:3]
	ds_read_b128 v[2:5], v199 offset:1600
	v_add_f64 v[64:65], v[64:65], v[206:207]
	s_add_i32 s14, s13, 8
	v_cmp_eq_u32_e32 vcc, s14, v7
	s_add_i32 s13, s13, 38
	s_or_b64 s[10:11], vcc, s[10:11]
	v_mov_b32_e32 v199, s13
	s_mov_b32 s13, s14
	s_waitcnt vmcnt(0) lgkmcnt(0)
	v_mul_f64 v[206:207], v[4:5], v[202:203]
	v_mul_f64 v[202:203], v[2:3], v[202:203]
	v_fma_f64 v[206:207], v[2:3], v[200:201], -v[206:207]
	v_fmac_f64_e32 v[202:203], v[4:5], v[200:201]
	v_add_f64 v[2:3], v[64:65], v[206:207]
	v_add_f64 v[4:5], v[204:205], v[202:203]
	s_andn2_b64 exec, exec, s[10:11]
	s_cbranch_execnz .LBB126_445
; %bb.446:
	s_or_b64 exec, exec, s[10:11]
.LBB126_447:
	s_or_b64 exec, exec, s[0:1]
	v_and_b32_e32 v6, 7, v6
	v_cmp_ne_u32_e32 vcc, 0, v6
	s_and_saveexec_b64 s[0:1], vcc
	s_cbranch_execz .LBB126_451
; %bb.448:
	v_lshlrev_b32_e32 v64, 4, v199
	v_add_u32_e32 v7, 0x3f0, v64
	v_add_u32_e32 v198, 0, v64
	s_mov_b64 s[10:11], 0
.LBB126_449:                            ; =>This Inner Loop Header: Depth=1
	scratch_load_dwordx4 v[200:203], v198, off
	ds_read_b128 v[204:207], v7
	v_add_u32_e32 v6, -1, v6
	v_cmp_eq_u32_e32 vcc, 0, v6
	v_add_u32_e32 v7, 16, v7
	v_add_u32_e32 v198, 16, v198
	s_or_b64 s[10:11], vcc, s[10:11]
	s_waitcnt vmcnt(0) lgkmcnt(0)
	v_mul_f64 v[64:65], v[206:207], v[202:203]
	v_mul_f64 v[202:203], v[204:205], v[202:203]
	v_fma_f64 v[64:65], v[204:205], v[200:201], -v[64:65]
	v_fmac_f64_e32 v[202:203], v[206:207], v[200:201]
	v_add_f64 v[2:3], v[2:3], v[64:65]
	v_add_f64 v[4:5], v[4:5], v[202:203]
	s_andn2_b64 exec, exec, s[10:11]
	s_cbranch_execnz .LBB126_449
; %bb.450:
	s_or_b64 exec, exec, s[10:11]
.LBB126_451:
	s_or_b64 exec, exec, s[0:1]
.LBB126_452:
	s_or_b64 exec, exec, s[8:9]
	v_mov_b32_e32 v6, 0
	ds_read_b128 v[198:201], v6 offset:464
	s_waitcnt lgkmcnt(0)
	v_mul_f64 v[6:7], v[4:5], v[200:201]
	v_mul_f64 v[202:203], v[2:3], v[200:201]
	v_fma_f64 v[200:201], v[2:3], v[198:199], -v[6:7]
	v_fmac_f64_e32 v[202:203], v[4:5], v[198:199]
	scratch_store_dwordx4 off, v[200:203], off offset:464
.LBB126_453:
	s_or_b64 exec, exec, s[4:5]
	scratch_load_dwordx4 v[2:5], v170, off
	v_cmp_lt_u32_e64 s[0:1], 28, v0
	s_waitcnt vmcnt(0)
	ds_write_b128 v9, v[2:5]
	s_waitcnt lgkmcnt(0)
	; wave barrier
	s_waitcnt lgkmcnt(0)
	s_and_saveexec_b64 s[4:5], s[0:1]
	s_cbranch_execz .LBB126_467
; %bb.454:
	ds_read_b128 v[2:5], v9
	s_andn2_b64 vcc, exec, s[6:7]
	s_cbranch_vccnz .LBB126_456
; %bb.455:
	scratch_load_dwordx4 v[198:201], v8, off
	s_waitcnt vmcnt(0) lgkmcnt(0)
	v_mul_f64 v[64:65], v[2:3], v[200:201]
	v_mul_f64 v[6:7], v[4:5], v[200:201]
	v_fmac_f64_e32 v[64:65], v[4:5], v[198:199]
	v_fma_f64 v[2:3], v[2:3], v[198:199], -v[6:7]
	v_mov_b64_e32 v[4:5], v[64:65]
.LBB126_456:
	s_and_saveexec_b64 s[8:9], s[2:3]
	s_cbranch_execz .LBB126_466
; %bb.457:
	v_subrev_u32_e32 v7, 30, v0
	v_subrev_u32_e32 v6, 29, v0
	v_cmp_lt_u32_e32 vcc, 6, v7
	v_mov_b32_e32 v199, 29
	s_and_saveexec_b64 s[2:3], vcc
	s_cbranch_execz .LBB126_461
; %bb.458:
	v_and_b32_e32 v7, -8, v6
	s_mov_b32 s12, 0
	s_mov_b64 s[10:11], 0
	v_mov_b32_e32 v198, 0
	s_mov_b32 s13, 0
.LBB126_459:                            ; =>This Inner Loop Header: Depth=1
	v_readfirstlane_b32 s14, v198
	s_add_i32 s14, s14, s12
	s_add_i32 s15, s14, 0x1d0
	v_mov_b32_e32 v199, s12
	ds_read_b128 v[200:203], v199 offset:1472
	ds_read_b128 v[204:207], v199 offset:1488
	;; [unrolled: 1-line block ×4, first 2 shown]
	scratch_load_dwordx4 v[216:219], off, s15
	s_add_i32 s15, s14, 0x1e0
	s_addk_i32 s12, 0x80
	s_waitcnt vmcnt(0) lgkmcnt(3)
	v_mul_f64 v[64:65], v[202:203], v[218:219]
	v_fma_f64 v[64:65], v[200:201], v[216:217], -v[64:65]
	v_mul_f64 v[200:201], v[200:201], v[218:219]
	v_fmac_f64_e32 v[200:201], v[202:203], v[216:217]
	v_add_f64 v[64:65], v[2:3], v[64:65]
	v_add_f64 v[200:201], v[4:5], v[200:201]
	scratch_load_dwordx4 v[2:5], off, s15
	s_add_i32 s15, s14, 0x1f0
	s_waitcnt vmcnt(0) lgkmcnt(2)
	v_mul_f64 v[202:203], v[206:207], v[4:5]
	v_mul_f64 v[4:5], v[204:205], v[4:5]
	v_fmac_f64_e32 v[4:5], v[206:207], v[2:3]
	v_fma_f64 v[202:203], v[204:205], v[2:3], -v[202:203]
	v_add_f64 v[200:201], v[200:201], v[4:5]
	scratch_load_dwordx4 v[2:5], off, s15
	v_add_f64 v[64:65], v[64:65], v[202:203]
	s_add_i32 s15, s14, 0x200
	s_waitcnt vmcnt(0) lgkmcnt(1)
	v_mul_f64 v[202:203], v[210:211], v[4:5]
	v_mul_f64 v[4:5], v[208:209], v[4:5]
	v_fmac_f64_e32 v[4:5], v[210:211], v[2:3]
	v_fma_f64 v[202:203], v[208:209], v[2:3], -v[202:203]
	v_add_f64 v[200:201], v[200:201], v[4:5]
	scratch_load_dwordx4 v[2:5], off, s15
	v_add_f64 v[64:65], v[64:65], v[202:203]
	s_add_i32 s15, s14, 0x210
	s_waitcnt vmcnt(0) lgkmcnt(0)
	v_mul_f64 v[202:203], v[214:215], v[4:5]
	v_mul_f64 v[4:5], v[212:213], v[4:5]
	v_fma_f64 v[202:203], v[212:213], v[2:3], -v[202:203]
	v_fmac_f64_e32 v[4:5], v[214:215], v[2:3]
	v_add_f64 v[64:65], v[64:65], v[202:203]
	v_add_f64 v[204:205], v[200:201], v[4:5]
	scratch_load_dwordx4 v[200:203], off, s15
	ds_read_b128 v[2:5], v199 offset:1536
	s_add_i32 s15, s14, 0x220
	s_waitcnt vmcnt(0) lgkmcnt(0)
	v_mul_f64 v[206:207], v[4:5], v[202:203]
	v_fma_f64 v[206:207], v[2:3], v[200:201], -v[206:207]
	v_mul_f64 v[2:3], v[2:3], v[202:203]
	v_fmac_f64_e32 v[2:3], v[4:5], v[200:201]
	scratch_load_dwordx4 v[200:203], off, s15
	v_add_f64 v[204:205], v[204:205], v[2:3]
	ds_read_b128 v[2:5], v199 offset:1552
	v_add_f64 v[64:65], v[64:65], v[206:207]
	s_add_i32 s15, s14, 0x230
	s_addk_i32 s14, 0x240
	s_waitcnt vmcnt(0) lgkmcnt(0)
	v_mul_f64 v[206:207], v[4:5], v[202:203]
	v_fma_f64 v[206:207], v[2:3], v[200:201], -v[206:207]
	v_mul_f64 v[2:3], v[2:3], v[202:203]
	v_fmac_f64_e32 v[2:3], v[4:5], v[200:201]
	scratch_load_dwordx4 v[200:203], off, s15
	v_add_f64 v[204:205], v[204:205], v[2:3]
	ds_read_b128 v[2:5], v199 offset:1568
	v_add_f64 v[64:65], v[64:65], v[206:207]
	s_waitcnt vmcnt(0) lgkmcnt(0)
	v_mul_f64 v[206:207], v[4:5], v[202:203]
	v_fma_f64 v[206:207], v[2:3], v[200:201], -v[206:207]
	v_mul_f64 v[2:3], v[2:3], v[202:203]
	v_fmac_f64_e32 v[2:3], v[4:5], v[200:201]
	scratch_load_dwordx4 v[200:203], off, s14
	v_add_f64 v[204:205], v[204:205], v[2:3]
	ds_read_b128 v[2:5], v199 offset:1584
	v_add_f64 v[64:65], v[64:65], v[206:207]
	s_add_i32 s14, s13, 8
	v_cmp_eq_u32_e32 vcc, s14, v7
	s_add_i32 s13, s13, 37
	s_or_b64 s[10:11], vcc, s[10:11]
	v_mov_b32_e32 v199, s13
	s_mov_b32 s13, s14
	s_waitcnt vmcnt(0) lgkmcnt(0)
	v_mul_f64 v[206:207], v[4:5], v[202:203]
	v_mul_f64 v[202:203], v[2:3], v[202:203]
	v_fma_f64 v[206:207], v[2:3], v[200:201], -v[206:207]
	v_fmac_f64_e32 v[202:203], v[4:5], v[200:201]
	v_add_f64 v[2:3], v[64:65], v[206:207]
	v_add_f64 v[4:5], v[204:205], v[202:203]
	s_andn2_b64 exec, exec, s[10:11]
	s_cbranch_execnz .LBB126_459
; %bb.460:
	s_or_b64 exec, exec, s[10:11]
.LBB126_461:
	s_or_b64 exec, exec, s[2:3]
	v_and_b32_e32 v6, 7, v6
	v_cmp_ne_u32_e32 vcc, 0, v6
	s_and_saveexec_b64 s[2:3], vcc
	s_cbranch_execz .LBB126_465
; %bb.462:
	v_lshlrev_b32_e32 v64, 4, v199
	v_add_u32_e32 v7, 0x3f0, v64
	v_add_u32_e32 v198, 0, v64
	s_mov_b64 s[10:11], 0
.LBB126_463:                            ; =>This Inner Loop Header: Depth=1
	scratch_load_dwordx4 v[200:203], v198, off
	ds_read_b128 v[204:207], v7
	v_add_u32_e32 v6, -1, v6
	v_cmp_eq_u32_e32 vcc, 0, v6
	v_add_u32_e32 v7, 16, v7
	v_add_u32_e32 v198, 16, v198
	s_or_b64 s[10:11], vcc, s[10:11]
	s_waitcnt vmcnt(0) lgkmcnt(0)
	v_mul_f64 v[64:65], v[206:207], v[202:203]
	v_mul_f64 v[202:203], v[204:205], v[202:203]
	v_fma_f64 v[64:65], v[204:205], v[200:201], -v[64:65]
	v_fmac_f64_e32 v[202:203], v[206:207], v[200:201]
	v_add_f64 v[2:3], v[2:3], v[64:65]
	v_add_f64 v[4:5], v[4:5], v[202:203]
	s_andn2_b64 exec, exec, s[10:11]
	s_cbranch_execnz .LBB126_463
; %bb.464:
	s_or_b64 exec, exec, s[10:11]
.LBB126_465:
	s_or_b64 exec, exec, s[2:3]
.LBB126_466:
	s_or_b64 exec, exec, s[8:9]
	v_mov_b32_e32 v6, 0
	ds_read_b128 v[198:201], v6 offset:448
	s_waitcnt lgkmcnt(0)
	v_mul_f64 v[6:7], v[4:5], v[200:201]
	v_mul_f64 v[202:203], v[2:3], v[200:201]
	v_fma_f64 v[200:201], v[2:3], v[198:199], -v[6:7]
	v_fmac_f64_e32 v[202:203], v[4:5], v[198:199]
	scratch_store_dwordx4 off, v[200:203], off offset:448
.LBB126_467:
	s_or_b64 exec, exec, s[4:5]
	scratch_load_dwordx4 v[2:5], v171, off
	v_cmp_lt_u32_e64 s[2:3], 27, v0
	s_waitcnt vmcnt(0)
	ds_write_b128 v9, v[2:5]
	s_waitcnt lgkmcnt(0)
	; wave barrier
	s_waitcnt lgkmcnt(0)
	s_and_saveexec_b64 s[4:5], s[2:3]
	s_cbranch_execz .LBB126_481
; %bb.468:
	ds_read_b128 v[2:5], v9
	s_andn2_b64 vcc, exec, s[6:7]
	s_cbranch_vccnz .LBB126_470
; %bb.469:
	scratch_load_dwordx4 v[198:201], v8, off
	s_waitcnt vmcnt(0) lgkmcnt(0)
	v_mul_f64 v[64:65], v[2:3], v[200:201]
	v_mul_f64 v[6:7], v[4:5], v[200:201]
	v_fmac_f64_e32 v[64:65], v[4:5], v[198:199]
	v_fma_f64 v[2:3], v[2:3], v[198:199], -v[6:7]
	v_mov_b64_e32 v[4:5], v[64:65]
.LBB126_470:
	s_and_saveexec_b64 s[8:9], s[0:1]
	s_cbranch_execz .LBB126_480
; %bb.471:
	v_subrev_u32_e32 v7, 29, v0
	v_subrev_u32_e32 v6, 28, v0
	v_cmp_lt_u32_e32 vcc, 6, v7
	v_mov_b32_e32 v199, 28
	s_and_saveexec_b64 s[0:1], vcc
	s_cbranch_execz .LBB126_475
; %bb.472:
	v_and_b32_e32 v7, -8, v6
	s_mov_b32 s12, 0
	s_mov_b64 s[10:11], 0
	v_mov_b32_e32 v198, 0
	s_mov_b32 s13, 0
.LBB126_473:                            ; =>This Inner Loop Header: Depth=1
	v_readfirstlane_b32 s14, v198
	s_add_i32 s14, s14, s12
	s_add_i32 s15, s14, 0x1c0
	v_mov_b32_e32 v199, s12
	ds_read_b128 v[200:203], v199 offset:1456
	ds_read_b128 v[204:207], v199 offset:1472
	;; [unrolled: 1-line block ×4, first 2 shown]
	scratch_load_dwordx4 v[216:219], off, s15
	s_add_i32 s15, s14, 0x1d0
	s_addk_i32 s12, 0x80
	s_waitcnt vmcnt(0) lgkmcnt(3)
	v_mul_f64 v[64:65], v[202:203], v[218:219]
	v_fma_f64 v[64:65], v[200:201], v[216:217], -v[64:65]
	v_mul_f64 v[200:201], v[200:201], v[218:219]
	v_fmac_f64_e32 v[200:201], v[202:203], v[216:217]
	v_add_f64 v[64:65], v[2:3], v[64:65]
	v_add_f64 v[200:201], v[4:5], v[200:201]
	scratch_load_dwordx4 v[2:5], off, s15
	s_add_i32 s15, s14, 0x1e0
	s_waitcnt vmcnt(0) lgkmcnt(2)
	v_mul_f64 v[202:203], v[206:207], v[4:5]
	v_mul_f64 v[4:5], v[204:205], v[4:5]
	v_fmac_f64_e32 v[4:5], v[206:207], v[2:3]
	v_fma_f64 v[202:203], v[204:205], v[2:3], -v[202:203]
	v_add_f64 v[200:201], v[200:201], v[4:5]
	scratch_load_dwordx4 v[2:5], off, s15
	v_add_f64 v[64:65], v[64:65], v[202:203]
	s_add_i32 s15, s14, 0x1f0
	s_waitcnt vmcnt(0) lgkmcnt(1)
	v_mul_f64 v[202:203], v[210:211], v[4:5]
	v_mul_f64 v[4:5], v[208:209], v[4:5]
	v_fmac_f64_e32 v[4:5], v[210:211], v[2:3]
	v_fma_f64 v[202:203], v[208:209], v[2:3], -v[202:203]
	v_add_f64 v[200:201], v[200:201], v[4:5]
	scratch_load_dwordx4 v[2:5], off, s15
	v_add_f64 v[64:65], v[64:65], v[202:203]
	s_add_i32 s15, s14, 0x200
	s_waitcnt vmcnt(0) lgkmcnt(0)
	v_mul_f64 v[202:203], v[214:215], v[4:5]
	v_mul_f64 v[4:5], v[212:213], v[4:5]
	v_fma_f64 v[202:203], v[212:213], v[2:3], -v[202:203]
	v_fmac_f64_e32 v[4:5], v[214:215], v[2:3]
	v_add_f64 v[64:65], v[64:65], v[202:203]
	v_add_f64 v[204:205], v[200:201], v[4:5]
	scratch_load_dwordx4 v[200:203], off, s15
	ds_read_b128 v[2:5], v199 offset:1520
	s_add_i32 s15, s14, 0x210
	s_waitcnt vmcnt(0) lgkmcnt(0)
	v_mul_f64 v[206:207], v[4:5], v[202:203]
	v_fma_f64 v[206:207], v[2:3], v[200:201], -v[206:207]
	v_mul_f64 v[2:3], v[2:3], v[202:203]
	v_fmac_f64_e32 v[2:3], v[4:5], v[200:201]
	scratch_load_dwordx4 v[200:203], off, s15
	v_add_f64 v[204:205], v[204:205], v[2:3]
	ds_read_b128 v[2:5], v199 offset:1536
	v_add_f64 v[64:65], v[64:65], v[206:207]
	s_add_i32 s15, s14, 0x220
	s_addk_i32 s14, 0x230
	s_waitcnt vmcnt(0) lgkmcnt(0)
	v_mul_f64 v[206:207], v[4:5], v[202:203]
	v_fma_f64 v[206:207], v[2:3], v[200:201], -v[206:207]
	v_mul_f64 v[2:3], v[2:3], v[202:203]
	v_fmac_f64_e32 v[2:3], v[4:5], v[200:201]
	scratch_load_dwordx4 v[200:203], off, s15
	v_add_f64 v[204:205], v[204:205], v[2:3]
	ds_read_b128 v[2:5], v199 offset:1552
	v_add_f64 v[64:65], v[64:65], v[206:207]
	s_waitcnt vmcnt(0) lgkmcnt(0)
	v_mul_f64 v[206:207], v[4:5], v[202:203]
	v_fma_f64 v[206:207], v[2:3], v[200:201], -v[206:207]
	v_mul_f64 v[2:3], v[2:3], v[202:203]
	v_fmac_f64_e32 v[2:3], v[4:5], v[200:201]
	scratch_load_dwordx4 v[200:203], off, s14
	v_add_f64 v[204:205], v[204:205], v[2:3]
	ds_read_b128 v[2:5], v199 offset:1568
	v_add_f64 v[64:65], v[64:65], v[206:207]
	s_add_i32 s14, s13, 8
	v_cmp_eq_u32_e32 vcc, s14, v7
	s_add_i32 s13, s13, 36
	s_or_b64 s[10:11], vcc, s[10:11]
	v_mov_b32_e32 v199, s13
	s_mov_b32 s13, s14
	s_waitcnt vmcnt(0) lgkmcnt(0)
	v_mul_f64 v[206:207], v[4:5], v[202:203]
	v_mul_f64 v[202:203], v[2:3], v[202:203]
	v_fma_f64 v[206:207], v[2:3], v[200:201], -v[206:207]
	v_fmac_f64_e32 v[202:203], v[4:5], v[200:201]
	v_add_f64 v[2:3], v[64:65], v[206:207]
	v_add_f64 v[4:5], v[204:205], v[202:203]
	s_andn2_b64 exec, exec, s[10:11]
	s_cbranch_execnz .LBB126_473
; %bb.474:
	s_or_b64 exec, exec, s[10:11]
.LBB126_475:
	s_or_b64 exec, exec, s[0:1]
	v_and_b32_e32 v6, 7, v6
	v_cmp_ne_u32_e32 vcc, 0, v6
	s_and_saveexec_b64 s[0:1], vcc
	s_cbranch_execz .LBB126_479
; %bb.476:
	v_lshlrev_b32_e32 v64, 4, v199
	v_add_u32_e32 v7, 0x3f0, v64
	v_add_u32_e32 v198, 0, v64
	s_mov_b64 s[10:11], 0
.LBB126_477:                            ; =>This Inner Loop Header: Depth=1
	scratch_load_dwordx4 v[200:203], v198, off
	ds_read_b128 v[204:207], v7
	v_add_u32_e32 v6, -1, v6
	v_cmp_eq_u32_e32 vcc, 0, v6
	v_add_u32_e32 v7, 16, v7
	v_add_u32_e32 v198, 16, v198
	s_or_b64 s[10:11], vcc, s[10:11]
	s_waitcnt vmcnt(0) lgkmcnt(0)
	v_mul_f64 v[64:65], v[206:207], v[202:203]
	v_mul_f64 v[202:203], v[204:205], v[202:203]
	v_fma_f64 v[64:65], v[204:205], v[200:201], -v[64:65]
	v_fmac_f64_e32 v[202:203], v[206:207], v[200:201]
	v_add_f64 v[2:3], v[2:3], v[64:65]
	v_add_f64 v[4:5], v[4:5], v[202:203]
	s_andn2_b64 exec, exec, s[10:11]
	s_cbranch_execnz .LBB126_477
; %bb.478:
	s_or_b64 exec, exec, s[10:11]
.LBB126_479:
	s_or_b64 exec, exec, s[0:1]
.LBB126_480:
	s_or_b64 exec, exec, s[8:9]
	v_mov_b32_e32 v6, 0
	ds_read_b128 v[198:201], v6 offset:432
	s_waitcnt lgkmcnt(0)
	v_mul_f64 v[6:7], v[4:5], v[200:201]
	v_mul_f64 v[202:203], v[2:3], v[200:201]
	v_fma_f64 v[200:201], v[2:3], v[198:199], -v[6:7]
	v_fmac_f64_e32 v[202:203], v[4:5], v[198:199]
	scratch_store_dwordx4 off, v[200:203], off offset:432
.LBB126_481:
	s_or_b64 exec, exec, s[4:5]
	scratch_load_dwordx4 v[2:5], v172, off
	v_cmp_lt_u32_e64 s[0:1], 26, v0
	s_waitcnt vmcnt(0)
	ds_write_b128 v9, v[2:5]
	s_waitcnt lgkmcnt(0)
	; wave barrier
	s_waitcnt lgkmcnt(0)
	s_and_saveexec_b64 s[4:5], s[0:1]
	s_cbranch_execz .LBB126_495
; %bb.482:
	ds_read_b128 v[2:5], v9
	s_andn2_b64 vcc, exec, s[6:7]
	s_cbranch_vccnz .LBB126_484
; %bb.483:
	scratch_load_dwordx4 v[198:201], v8, off
	s_waitcnt vmcnt(0) lgkmcnt(0)
	v_mul_f64 v[64:65], v[2:3], v[200:201]
	v_mul_f64 v[6:7], v[4:5], v[200:201]
	v_fmac_f64_e32 v[64:65], v[4:5], v[198:199]
	v_fma_f64 v[2:3], v[2:3], v[198:199], -v[6:7]
	v_mov_b64_e32 v[4:5], v[64:65]
.LBB126_484:
	s_and_saveexec_b64 s[8:9], s[2:3]
	s_cbranch_execz .LBB126_494
; %bb.485:
	v_subrev_u32_e32 v7, 28, v0
	v_subrev_u32_e32 v6, 27, v0
	v_cmp_lt_u32_e32 vcc, 6, v7
	v_mov_b32_e32 v199, 27
	s_and_saveexec_b64 s[2:3], vcc
	s_cbranch_execz .LBB126_489
; %bb.486:
	v_and_b32_e32 v7, -8, v6
	s_mov_b32 s12, 0
	s_mov_b64 s[10:11], 0
	v_mov_b32_e32 v198, 0
	s_mov_b32 s13, 0
.LBB126_487:                            ; =>This Inner Loop Header: Depth=1
	v_readfirstlane_b32 s14, v198
	s_add_i32 s14, s14, s12
	s_add_i32 s15, s14, 0x1b0
	v_mov_b32_e32 v199, s12
	ds_read_b128 v[200:203], v199 offset:1440
	ds_read_b128 v[204:207], v199 offset:1456
	;; [unrolled: 1-line block ×4, first 2 shown]
	scratch_load_dwordx4 v[216:219], off, s15
	s_add_i32 s15, s14, 0x1c0
	s_addk_i32 s12, 0x80
	s_waitcnt vmcnt(0) lgkmcnt(3)
	v_mul_f64 v[64:65], v[202:203], v[218:219]
	v_fma_f64 v[64:65], v[200:201], v[216:217], -v[64:65]
	v_mul_f64 v[200:201], v[200:201], v[218:219]
	v_fmac_f64_e32 v[200:201], v[202:203], v[216:217]
	v_add_f64 v[64:65], v[2:3], v[64:65]
	v_add_f64 v[200:201], v[4:5], v[200:201]
	scratch_load_dwordx4 v[2:5], off, s15
	s_add_i32 s15, s14, 0x1d0
	s_waitcnt vmcnt(0) lgkmcnt(2)
	v_mul_f64 v[202:203], v[206:207], v[4:5]
	v_mul_f64 v[4:5], v[204:205], v[4:5]
	v_fmac_f64_e32 v[4:5], v[206:207], v[2:3]
	v_fma_f64 v[202:203], v[204:205], v[2:3], -v[202:203]
	v_add_f64 v[200:201], v[200:201], v[4:5]
	scratch_load_dwordx4 v[2:5], off, s15
	v_add_f64 v[64:65], v[64:65], v[202:203]
	s_add_i32 s15, s14, 0x1e0
	s_waitcnt vmcnt(0) lgkmcnt(1)
	v_mul_f64 v[202:203], v[210:211], v[4:5]
	v_mul_f64 v[4:5], v[208:209], v[4:5]
	v_fmac_f64_e32 v[4:5], v[210:211], v[2:3]
	v_fma_f64 v[202:203], v[208:209], v[2:3], -v[202:203]
	v_add_f64 v[200:201], v[200:201], v[4:5]
	scratch_load_dwordx4 v[2:5], off, s15
	v_add_f64 v[64:65], v[64:65], v[202:203]
	s_add_i32 s15, s14, 0x1f0
	s_waitcnt vmcnt(0) lgkmcnt(0)
	v_mul_f64 v[202:203], v[214:215], v[4:5]
	v_mul_f64 v[4:5], v[212:213], v[4:5]
	v_fma_f64 v[202:203], v[212:213], v[2:3], -v[202:203]
	v_fmac_f64_e32 v[4:5], v[214:215], v[2:3]
	v_add_f64 v[64:65], v[64:65], v[202:203]
	v_add_f64 v[204:205], v[200:201], v[4:5]
	scratch_load_dwordx4 v[200:203], off, s15
	ds_read_b128 v[2:5], v199 offset:1504
	s_add_i32 s15, s14, 0x200
	s_waitcnt vmcnt(0) lgkmcnt(0)
	v_mul_f64 v[206:207], v[4:5], v[202:203]
	v_fma_f64 v[206:207], v[2:3], v[200:201], -v[206:207]
	v_mul_f64 v[2:3], v[2:3], v[202:203]
	v_fmac_f64_e32 v[2:3], v[4:5], v[200:201]
	scratch_load_dwordx4 v[200:203], off, s15
	v_add_f64 v[204:205], v[204:205], v[2:3]
	ds_read_b128 v[2:5], v199 offset:1520
	v_add_f64 v[64:65], v[64:65], v[206:207]
	s_add_i32 s15, s14, 0x210
	s_addk_i32 s14, 0x220
	s_waitcnt vmcnt(0) lgkmcnt(0)
	v_mul_f64 v[206:207], v[4:5], v[202:203]
	v_fma_f64 v[206:207], v[2:3], v[200:201], -v[206:207]
	v_mul_f64 v[2:3], v[2:3], v[202:203]
	v_fmac_f64_e32 v[2:3], v[4:5], v[200:201]
	scratch_load_dwordx4 v[200:203], off, s15
	v_add_f64 v[204:205], v[204:205], v[2:3]
	ds_read_b128 v[2:5], v199 offset:1536
	v_add_f64 v[64:65], v[64:65], v[206:207]
	s_waitcnt vmcnt(0) lgkmcnt(0)
	v_mul_f64 v[206:207], v[4:5], v[202:203]
	v_fma_f64 v[206:207], v[2:3], v[200:201], -v[206:207]
	v_mul_f64 v[2:3], v[2:3], v[202:203]
	v_fmac_f64_e32 v[2:3], v[4:5], v[200:201]
	scratch_load_dwordx4 v[200:203], off, s14
	v_add_f64 v[204:205], v[204:205], v[2:3]
	ds_read_b128 v[2:5], v199 offset:1552
	v_add_f64 v[64:65], v[64:65], v[206:207]
	s_add_i32 s14, s13, 8
	v_cmp_eq_u32_e32 vcc, s14, v7
	s_add_i32 s13, s13, 35
	s_or_b64 s[10:11], vcc, s[10:11]
	v_mov_b32_e32 v199, s13
	s_mov_b32 s13, s14
	s_waitcnt vmcnt(0) lgkmcnt(0)
	v_mul_f64 v[206:207], v[4:5], v[202:203]
	v_mul_f64 v[202:203], v[2:3], v[202:203]
	v_fma_f64 v[206:207], v[2:3], v[200:201], -v[206:207]
	v_fmac_f64_e32 v[202:203], v[4:5], v[200:201]
	v_add_f64 v[2:3], v[64:65], v[206:207]
	v_add_f64 v[4:5], v[204:205], v[202:203]
	s_andn2_b64 exec, exec, s[10:11]
	s_cbranch_execnz .LBB126_487
; %bb.488:
	s_or_b64 exec, exec, s[10:11]
.LBB126_489:
	s_or_b64 exec, exec, s[2:3]
	v_and_b32_e32 v6, 7, v6
	v_cmp_ne_u32_e32 vcc, 0, v6
	s_and_saveexec_b64 s[2:3], vcc
	s_cbranch_execz .LBB126_493
; %bb.490:
	v_lshlrev_b32_e32 v64, 4, v199
	v_add_u32_e32 v7, 0x3f0, v64
	v_add_u32_e32 v198, 0, v64
	s_mov_b64 s[10:11], 0
.LBB126_491:                            ; =>This Inner Loop Header: Depth=1
	scratch_load_dwordx4 v[200:203], v198, off
	ds_read_b128 v[204:207], v7
	v_add_u32_e32 v6, -1, v6
	v_cmp_eq_u32_e32 vcc, 0, v6
	v_add_u32_e32 v7, 16, v7
	v_add_u32_e32 v198, 16, v198
	s_or_b64 s[10:11], vcc, s[10:11]
	s_waitcnt vmcnt(0) lgkmcnt(0)
	v_mul_f64 v[64:65], v[206:207], v[202:203]
	v_mul_f64 v[202:203], v[204:205], v[202:203]
	v_fma_f64 v[64:65], v[204:205], v[200:201], -v[64:65]
	v_fmac_f64_e32 v[202:203], v[206:207], v[200:201]
	v_add_f64 v[2:3], v[2:3], v[64:65]
	v_add_f64 v[4:5], v[4:5], v[202:203]
	s_andn2_b64 exec, exec, s[10:11]
	s_cbranch_execnz .LBB126_491
; %bb.492:
	s_or_b64 exec, exec, s[10:11]
.LBB126_493:
	s_or_b64 exec, exec, s[2:3]
.LBB126_494:
	s_or_b64 exec, exec, s[8:9]
	v_mov_b32_e32 v6, 0
	ds_read_b128 v[198:201], v6 offset:416
	s_waitcnt lgkmcnt(0)
	v_mul_f64 v[6:7], v[4:5], v[200:201]
	v_mul_f64 v[202:203], v[2:3], v[200:201]
	v_fma_f64 v[200:201], v[2:3], v[198:199], -v[6:7]
	v_fmac_f64_e32 v[202:203], v[4:5], v[198:199]
	scratch_store_dwordx4 off, v[200:203], off offset:416
.LBB126_495:
	s_or_b64 exec, exec, s[4:5]
	scratch_load_dwordx4 v[2:5], v173, off
	v_cmp_lt_u32_e64 s[2:3], 25, v0
	s_waitcnt vmcnt(0)
	ds_write_b128 v9, v[2:5]
	s_waitcnt lgkmcnt(0)
	; wave barrier
	s_waitcnt lgkmcnt(0)
	s_and_saveexec_b64 s[4:5], s[2:3]
	s_cbranch_execz .LBB126_509
; %bb.496:
	ds_read_b128 v[2:5], v9
	s_andn2_b64 vcc, exec, s[6:7]
	s_cbranch_vccnz .LBB126_498
; %bb.497:
	scratch_load_dwordx4 v[198:201], v8, off
	s_waitcnt vmcnt(0) lgkmcnt(0)
	v_mul_f64 v[64:65], v[2:3], v[200:201]
	v_mul_f64 v[6:7], v[4:5], v[200:201]
	v_fmac_f64_e32 v[64:65], v[4:5], v[198:199]
	v_fma_f64 v[2:3], v[2:3], v[198:199], -v[6:7]
	v_mov_b64_e32 v[4:5], v[64:65]
.LBB126_498:
	s_and_saveexec_b64 s[8:9], s[0:1]
	s_cbranch_execz .LBB126_508
; %bb.499:
	v_subrev_u32_e32 v7, 27, v0
	v_subrev_u32_e32 v6, 26, v0
	v_cmp_lt_u32_e32 vcc, 6, v7
	v_mov_b32_e32 v199, 26
	s_and_saveexec_b64 s[0:1], vcc
	s_cbranch_execz .LBB126_503
; %bb.500:
	v_and_b32_e32 v7, -8, v6
	s_mov_b32 s12, 0
	s_mov_b64 s[10:11], 0
	v_mov_b32_e32 v198, 0
	s_mov_b32 s13, 0
.LBB126_501:                            ; =>This Inner Loop Header: Depth=1
	v_readfirstlane_b32 s14, v198
	s_add_i32 s14, s14, s12
	s_add_i32 s15, s14, 0x1a0
	v_mov_b32_e32 v199, s12
	ds_read_b128 v[200:203], v199 offset:1424
	ds_read_b128 v[204:207], v199 offset:1440
	;; [unrolled: 1-line block ×4, first 2 shown]
	scratch_load_dwordx4 v[216:219], off, s15
	s_add_i32 s15, s14, 0x1b0
	s_addk_i32 s12, 0x80
	s_waitcnt vmcnt(0) lgkmcnt(3)
	v_mul_f64 v[64:65], v[202:203], v[218:219]
	v_fma_f64 v[64:65], v[200:201], v[216:217], -v[64:65]
	v_mul_f64 v[200:201], v[200:201], v[218:219]
	v_fmac_f64_e32 v[200:201], v[202:203], v[216:217]
	v_add_f64 v[64:65], v[2:3], v[64:65]
	v_add_f64 v[200:201], v[4:5], v[200:201]
	scratch_load_dwordx4 v[2:5], off, s15
	s_add_i32 s15, s14, 0x1c0
	s_waitcnt vmcnt(0) lgkmcnt(2)
	v_mul_f64 v[202:203], v[206:207], v[4:5]
	v_mul_f64 v[4:5], v[204:205], v[4:5]
	v_fmac_f64_e32 v[4:5], v[206:207], v[2:3]
	v_fma_f64 v[202:203], v[204:205], v[2:3], -v[202:203]
	v_add_f64 v[200:201], v[200:201], v[4:5]
	scratch_load_dwordx4 v[2:5], off, s15
	v_add_f64 v[64:65], v[64:65], v[202:203]
	s_add_i32 s15, s14, 0x1d0
	s_waitcnt vmcnt(0) lgkmcnt(1)
	v_mul_f64 v[202:203], v[210:211], v[4:5]
	v_mul_f64 v[4:5], v[208:209], v[4:5]
	v_fmac_f64_e32 v[4:5], v[210:211], v[2:3]
	v_fma_f64 v[202:203], v[208:209], v[2:3], -v[202:203]
	v_add_f64 v[200:201], v[200:201], v[4:5]
	scratch_load_dwordx4 v[2:5], off, s15
	v_add_f64 v[64:65], v[64:65], v[202:203]
	s_add_i32 s15, s14, 0x1e0
	s_waitcnt vmcnt(0) lgkmcnt(0)
	v_mul_f64 v[202:203], v[214:215], v[4:5]
	v_mul_f64 v[4:5], v[212:213], v[4:5]
	v_fma_f64 v[202:203], v[212:213], v[2:3], -v[202:203]
	v_fmac_f64_e32 v[4:5], v[214:215], v[2:3]
	v_add_f64 v[64:65], v[64:65], v[202:203]
	v_add_f64 v[204:205], v[200:201], v[4:5]
	scratch_load_dwordx4 v[200:203], off, s15
	ds_read_b128 v[2:5], v199 offset:1488
	s_add_i32 s15, s14, 0x1f0
	s_waitcnt vmcnt(0) lgkmcnt(0)
	v_mul_f64 v[206:207], v[4:5], v[202:203]
	v_fma_f64 v[206:207], v[2:3], v[200:201], -v[206:207]
	v_mul_f64 v[2:3], v[2:3], v[202:203]
	v_fmac_f64_e32 v[2:3], v[4:5], v[200:201]
	scratch_load_dwordx4 v[200:203], off, s15
	v_add_f64 v[204:205], v[204:205], v[2:3]
	ds_read_b128 v[2:5], v199 offset:1504
	v_add_f64 v[64:65], v[64:65], v[206:207]
	s_add_i32 s15, s14, 0x200
	s_addk_i32 s14, 0x210
	s_waitcnt vmcnt(0) lgkmcnt(0)
	v_mul_f64 v[206:207], v[4:5], v[202:203]
	v_fma_f64 v[206:207], v[2:3], v[200:201], -v[206:207]
	v_mul_f64 v[2:3], v[2:3], v[202:203]
	v_fmac_f64_e32 v[2:3], v[4:5], v[200:201]
	scratch_load_dwordx4 v[200:203], off, s15
	v_add_f64 v[204:205], v[204:205], v[2:3]
	ds_read_b128 v[2:5], v199 offset:1520
	v_add_f64 v[64:65], v[64:65], v[206:207]
	s_waitcnt vmcnt(0) lgkmcnt(0)
	v_mul_f64 v[206:207], v[4:5], v[202:203]
	v_fma_f64 v[206:207], v[2:3], v[200:201], -v[206:207]
	v_mul_f64 v[2:3], v[2:3], v[202:203]
	v_fmac_f64_e32 v[2:3], v[4:5], v[200:201]
	scratch_load_dwordx4 v[200:203], off, s14
	v_add_f64 v[204:205], v[204:205], v[2:3]
	ds_read_b128 v[2:5], v199 offset:1536
	v_add_f64 v[64:65], v[64:65], v[206:207]
	s_add_i32 s14, s13, 8
	v_cmp_eq_u32_e32 vcc, s14, v7
	s_add_i32 s13, s13, 34
	s_or_b64 s[10:11], vcc, s[10:11]
	v_mov_b32_e32 v199, s13
	s_mov_b32 s13, s14
	s_waitcnt vmcnt(0) lgkmcnt(0)
	v_mul_f64 v[206:207], v[4:5], v[202:203]
	v_mul_f64 v[202:203], v[2:3], v[202:203]
	v_fma_f64 v[206:207], v[2:3], v[200:201], -v[206:207]
	v_fmac_f64_e32 v[202:203], v[4:5], v[200:201]
	v_add_f64 v[2:3], v[64:65], v[206:207]
	v_add_f64 v[4:5], v[204:205], v[202:203]
	s_andn2_b64 exec, exec, s[10:11]
	s_cbranch_execnz .LBB126_501
; %bb.502:
	s_or_b64 exec, exec, s[10:11]
.LBB126_503:
	s_or_b64 exec, exec, s[0:1]
	v_and_b32_e32 v6, 7, v6
	v_cmp_ne_u32_e32 vcc, 0, v6
	s_and_saveexec_b64 s[0:1], vcc
	s_cbranch_execz .LBB126_507
; %bb.504:
	v_lshlrev_b32_e32 v64, 4, v199
	v_add_u32_e32 v7, 0x3f0, v64
	v_add_u32_e32 v198, 0, v64
	s_mov_b64 s[10:11], 0
.LBB126_505:                            ; =>This Inner Loop Header: Depth=1
	scratch_load_dwordx4 v[200:203], v198, off
	ds_read_b128 v[204:207], v7
	v_add_u32_e32 v6, -1, v6
	v_cmp_eq_u32_e32 vcc, 0, v6
	v_add_u32_e32 v7, 16, v7
	v_add_u32_e32 v198, 16, v198
	s_or_b64 s[10:11], vcc, s[10:11]
	s_waitcnt vmcnt(0) lgkmcnt(0)
	v_mul_f64 v[64:65], v[206:207], v[202:203]
	v_mul_f64 v[202:203], v[204:205], v[202:203]
	v_fma_f64 v[64:65], v[204:205], v[200:201], -v[64:65]
	v_fmac_f64_e32 v[202:203], v[206:207], v[200:201]
	v_add_f64 v[2:3], v[2:3], v[64:65]
	v_add_f64 v[4:5], v[4:5], v[202:203]
	s_andn2_b64 exec, exec, s[10:11]
	s_cbranch_execnz .LBB126_505
; %bb.506:
	s_or_b64 exec, exec, s[10:11]
.LBB126_507:
	s_or_b64 exec, exec, s[0:1]
.LBB126_508:
	s_or_b64 exec, exec, s[8:9]
	v_mov_b32_e32 v6, 0
	ds_read_b128 v[198:201], v6 offset:400
	s_waitcnt lgkmcnt(0)
	v_mul_f64 v[6:7], v[4:5], v[200:201]
	v_mul_f64 v[202:203], v[2:3], v[200:201]
	v_fma_f64 v[200:201], v[2:3], v[198:199], -v[6:7]
	v_fmac_f64_e32 v[202:203], v[4:5], v[198:199]
	scratch_store_dwordx4 off, v[200:203], off offset:400
.LBB126_509:
	s_or_b64 exec, exec, s[4:5]
	scratch_load_dwordx4 v[2:5], v174, off
	v_cmp_lt_u32_e64 s[0:1], 24, v0
	s_waitcnt vmcnt(0)
	ds_write_b128 v9, v[2:5]
	s_waitcnt lgkmcnt(0)
	; wave barrier
	s_waitcnt lgkmcnt(0)
	s_and_saveexec_b64 s[4:5], s[0:1]
	s_cbranch_execz .LBB126_523
; %bb.510:
	ds_read_b128 v[2:5], v9
	s_andn2_b64 vcc, exec, s[6:7]
	s_cbranch_vccnz .LBB126_512
; %bb.511:
	scratch_load_dwordx4 v[198:201], v8, off
	s_waitcnt vmcnt(0) lgkmcnt(0)
	v_mul_f64 v[64:65], v[2:3], v[200:201]
	v_mul_f64 v[6:7], v[4:5], v[200:201]
	v_fmac_f64_e32 v[64:65], v[4:5], v[198:199]
	v_fma_f64 v[2:3], v[2:3], v[198:199], -v[6:7]
	v_mov_b64_e32 v[4:5], v[64:65]
.LBB126_512:
	s_and_saveexec_b64 s[8:9], s[2:3]
	s_cbranch_execz .LBB126_522
; %bb.513:
	v_subrev_u32_e32 v7, 26, v0
	v_subrev_u32_e32 v6, 25, v0
	v_cmp_lt_u32_e32 vcc, 6, v7
	v_mov_b32_e32 v199, 25
	s_and_saveexec_b64 s[2:3], vcc
	s_cbranch_execz .LBB126_517
; %bb.514:
	v_and_b32_e32 v7, -8, v6
	s_mov_b32 s12, 0
	s_mov_b64 s[10:11], 0
	v_mov_b32_e32 v198, 0
	s_mov_b32 s13, 0
.LBB126_515:                            ; =>This Inner Loop Header: Depth=1
	v_readfirstlane_b32 s14, v198
	s_add_i32 s14, s14, s12
	s_add_i32 s15, s14, 0x190
	v_mov_b32_e32 v199, s12
	ds_read_b128 v[200:203], v199 offset:1408
	ds_read_b128 v[204:207], v199 offset:1424
	ds_read_b128 v[208:211], v199 offset:1440
	ds_read_b128 v[212:215], v199 offset:1456
	scratch_load_dwordx4 v[216:219], off, s15
	s_add_i32 s15, s14, 0x1a0
	s_addk_i32 s12, 0x80
	s_waitcnt vmcnt(0) lgkmcnt(3)
	v_mul_f64 v[64:65], v[202:203], v[218:219]
	v_fma_f64 v[64:65], v[200:201], v[216:217], -v[64:65]
	v_mul_f64 v[200:201], v[200:201], v[218:219]
	v_fmac_f64_e32 v[200:201], v[202:203], v[216:217]
	v_add_f64 v[64:65], v[2:3], v[64:65]
	v_add_f64 v[200:201], v[4:5], v[200:201]
	scratch_load_dwordx4 v[2:5], off, s15
	s_add_i32 s15, s14, 0x1b0
	s_waitcnt vmcnt(0) lgkmcnt(2)
	v_mul_f64 v[202:203], v[206:207], v[4:5]
	v_mul_f64 v[4:5], v[204:205], v[4:5]
	v_fmac_f64_e32 v[4:5], v[206:207], v[2:3]
	v_fma_f64 v[202:203], v[204:205], v[2:3], -v[202:203]
	v_add_f64 v[200:201], v[200:201], v[4:5]
	scratch_load_dwordx4 v[2:5], off, s15
	v_add_f64 v[64:65], v[64:65], v[202:203]
	s_add_i32 s15, s14, 0x1c0
	s_waitcnt vmcnt(0) lgkmcnt(1)
	v_mul_f64 v[202:203], v[210:211], v[4:5]
	v_mul_f64 v[4:5], v[208:209], v[4:5]
	v_fmac_f64_e32 v[4:5], v[210:211], v[2:3]
	v_fma_f64 v[202:203], v[208:209], v[2:3], -v[202:203]
	v_add_f64 v[200:201], v[200:201], v[4:5]
	scratch_load_dwordx4 v[2:5], off, s15
	v_add_f64 v[64:65], v[64:65], v[202:203]
	s_add_i32 s15, s14, 0x1d0
	s_waitcnt vmcnt(0) lgkmcnt(0)
	v_mul_f64 v[202:203], v[214:215], v[4:5]
	v_mul_f64 v[4:5], v[212:213], v[4:5]
	v_fma_f64 v[202:203], v[212:213], v[2:3], -v[202:203]
	v_fmac_f64_e32 v[4:5], v[214:215], v[2:3]
	v_add_f64 v[64:65], v[64:65], v[202:203]
	v_add_f64 v[204:205], v[200:201], v[4:5]
	scratch_load_dwordx4 v[200:203], off, s15
	ds_read_b128 v[2:5], v199 offset:1472
	s_add_i32 s15, s14, 0x1e0
	s_waitcnt vmcnt(0) lgkmcnt(0)
	v_mul_f64 v[206:207], v[4:5], v[202:203]
	v_fma_f64 v[206:207], v[2:3], v[200:201], -v[206:207]
	v_mul_f64 v[2:3], v[2:3], v[202:203]
	v_fmac_f64_e32 v[2:3], v[4:5], v[200:201]
	scratch_load_dwordx4 v[200:203], off, s15
	v_add_f64 v[204:205], v[204:205], v[2:3]
	ds_read_b128 v[2:5], v199 offset:1488
	v_add_f64 v[64:65], v[64:65], v[206:207]
	s_add_i32 s15, s14, 0x1f0
	s_addk_i32 s14, 0x200
	s_waitcnt vmcnt(0) lgkmcnt(0)
	v_mul_f64 v[206:207], v[4:5], v[202:203]
	v_fma_f64 v[206:207], v[2:3], v[200:201], -v[206:207]
	v_mul_f64 v[2:3], v[2:3], v[202:203]
	v_fmac_f64_e32 v[2:3], v[4:5], v[200:201]
	scratch_load_dwordx4 v[200:203], off, s15
	v_add_f64 v[204:205], v[204:205], v[2:3]
	ds_read_b128 v[2:5], v199 offset:1504
	v_add_f64 v[64:65], v[64:65], v[206:207]
	s_waitcnt vmcnt(0) lgkmcnt(0)
	v_mul_f64 v[206:207], v[4:5], v[202:203]
	v_fma_f64 v[206:207], v[2:3], v[200:201], -v[206:207]
	v_mul_f64 v[2:3], v[2:3], v[202:203]
	v_fmac_f64_e32 v[2:3], v[4:5], v[200:201]
	scratch_load_dwordx4 v[200:203], off, s14
	v_add_f64 v[204:205], v[204:205], v[2:3]
	ds_read_b128 v[2:5], v199 offset:1520
	v_add_f64 v[64:65], v[64:65], v[206:207]
	s_add_i32 s14, s13, 8
	v_cmp_eq_u32_e32 vcc, s14, v7
	s_add_i32 s13, s13, 33
	s_or_b64 s[10:11], vcc, s[10:11]
	v_mov_b32_e32 v199, s13
	s_mov_b32 s13, s14
	s_waitcnt vmcnt(0) lgkmcnt(0)
	v_mul_f64 v[206:207], v[4:5], v[202:203]
	v_mul_f64 v[202:203], v[2:3], v[202:203]
	v_fma_f64 v[206:207], v[2:3], v[200:201], -v[206:207]
	v_fmac_f64_e32 v[202:203], v[4:5], v[200:201]
	v_add_f64 v[2:3], v[64:65], v[206:207]
	v_add_f64 v[4:5], v[204:205], v[202:203]
	s_andn2_b64 exec, exec, s[10:11]
	s_cbranch_execnz .LBB126_515
; %bb.516:
	s_or_b64 exec, exec, s[10:11]
.LBB126_517:
	s_or_b64 exec, exec, s[2:3]
	v_and_b32_e32 v6, 7, v6
	v_cmp_ne_u32_e32 vcc, 0, v6
	s_and_saveexec_b64 s[2:3], vcc
	s_cbranch_execz .LBB126_521
; %bb.518:
	v_lshlrev_b32_e32 v64, 4, v199
	v_add_u32_e32 v7, 0x3f0, v64
	v_add_u32_e32 v198, 0, v64
	s_mov_b64 s[10:11], 0
.LBB126_519:                            ; =>This Inner Loop Header: Depth=1
	scratch_load_dwordx4 v[200:203], v198, off
	ds_read_b128 v[204:207], v7
	v_add_u32_e32 v6, -1, v6
	v_cmp_eq_u32_e32 vcc, 0, v6
	v_add_u32_e32 v7, 16, v7
	v_add_u32_e32 v198, 16, v198
	s_or_b64 s[10:11], vcc, s[10:11]
	s_waitcnt vmcnt(0) lgkmcnt(0)
	v_mul_f64 v[64:65], v[206:207], v[202:203]
	v_mul_f64 v[202:203], v[204:205], v[202:203]
	v_fma_f64 v[64:65], v[204:205], v[200:201], -v[64:65]
	v_fmac_f64_e32 v[202:203], v[206:207], v[200:201]
	v_add_f64 v[2:3], v[2:3], v[64:65]
	v_add_f64 v[4:5], v[4:5], v[202:203]
	s_andn2_b64 exec, exec, s[10:11]
	s_cbranch_execnz .LBB126_519
; %bb.520:
	s_or_b64 exec, exec, s[10:11]
.LBB126_521:
	s_or_b64 exec, exec, s[2:3]
.LBB126_522:
	s_or_b64 exec, exec, s[8:9]
	v_mov_b32_e32 v6, 0
	ds_read_b128 v[198:201], v6 offset:384
	s_waitcnt lgkmcnt(0)
	v_mul_f64 v[6:7], v[4:5], v[200:201]
	v_mul_f64 v[202:203], v[2:3], v[200:201]
	v_fma_f64 v[200:201], v[2:3], v[198:199], -v[6:7]
	v_fmac_f64_e32 v[202:203], v[4:5], v[198:199]
	scratch_store_dwordx4 off, v[200:203], off offset:384
.LBB126_523:
	s_or_b64 exec, exec, s[4:5]
	scratch_load_dwordx4 v[2:5], v175, off
	v_cmp_lt_u32_e64 s[2:3], 23, v0
	s_waitcnt vmcnt(0)
	ds_write_b128 v9, v[2:5]
	s_waitcnt lgkmcnt(0)
	; wave barrier
	s_waitcnt lgkmcnt(0)
	s_and_saveexec_b64 s[4:5], s[2:3]
	s_cbranch_execz .LBB126_537
; %bb.524:
	ds_read_b128 v[2:5], v9
	s_andn2_b64 vcc, exec, s[6:7]
	s_cbranch_vccnz .LBB126_526
; %bb.525:
	scratch_load_dwordx4 v[198:201], v8, off
	s_waitcnt vmcnt(0) lgkmcnt(0)
	v_mul_f64 v[64:65], v[2:3], v[200:201]
	v_mul_f64 v[6:7], v[4:5], v[200:201]
	v_fmac_f64_e32 v[64:65], v[4:5], v[198:199]
	v_fma_f64 v[2:3], v[2:3], v[198:199], -v[6:7]
	v_mov_b64_e32 v[4:5], v[64:65]
.LBB126_526:
	s_and_saveexec_b64 s[8:9], s[0:1]
	s_cbranch_execz .LBB126_536
; %bb.527:
	v_subrev_u32_e32 v6, 25, v0
	v_cmp_lt_u32_e32 vcc, 6, v6
	v_mov_b32_e32 v6, 24
	s_and_saveexec_b64 s[0:1], vcc
	s_cbranch_execz .LBB126_531
; %bb.528:
	v_and_b32_e32 v6, 56, v0
	s_mov_b32 s12, 24
	s_mov_b32 s13, 0
	s_mov_b64 s[10:11], 0
	v_mov_b32_e32 v7, 0
.LBB126_529:                            ; =>This Inner Loop Header: Depth=1
	s_nop 0
	v_readfirstlane_b32 s14, v7
	s_add_i32 s14, s14, s13
	s_add_i32 s15, s14, 0x180
	v_mov_b32_e32 v218, s13
	ds_read_b128 v[198:201], v218 offset:1392
	ds_read_b128 v[202:205], v218 offset:1408
	;; [unrolled: 1-line block ×4, first 2 shown]
	scratch_load_dwordx4 v[214:217], off, s15
	s_add_i32 s15, s14, 0x190
	s_add_i32 s12, s12, 8
	s_addk_i32 s13, 0x80
	v_cmp_eq_u32_e32 vcc, s12, v6
	s_waitcnt vmcnt(0) lgkmcnt(3)
	v_mul_f64 v[64:65], v[200:201], v[216:217]
	v_fma_f64 v[64:65], v[198:199], v[214:215], -v[64:65]
	v_mul_f64 v[198:199], v[198:199], v[216:217]
	v_fmac_f64_e32 v[198:199], v[200:201], v[214:215]
	v_add_f64 v[64:65], v[2:3], v[64:65]
	v_add_f64 v[198:199], v[4:5], v[198:199]
	scratch_load_dwordx4 v[2:5], off, s15
	s_add_i32 s15, s14, 0x1a0
	s_waitcnt vmcnt(0) lgkmcnt(2)
	v_mul_f64 v[200:201], v[204:205], v[4:5]
	v_mul_f64 v[4:5], v[202:203], v[4:5]
	v_fmac_f64_e32 v[4:5], v[204:205], v[2:3]
	v_fma_f64 v[200:201], v[202:203], v[2:3], -v[200:201]
	v_add_f64 v[198:199], v[198:199], v[4:5]
	scratch_load_dwordx4 v[2:5], off, s15
	v_add_f64 v[64:65], v[64:65], v[200:201]
	s_add_i32 s15, s14, 0x1b0
	s_waitcnt vmcnt(0) lgkmcnt(1)
	v_mul_f64 v[200:201], v[208:209], v[4:5]
	v_mul_f64 v[4:5], v[206:207], v[4:5]
	v_fmac_f64_e32 v[4:5], v[208:209], v[2:3]
	v_fma_f64 v[200:201], v[206:207], v[2:3], -v[200:201]
	v_add_f64 v[198:199], v[198:199], v[4:5]
	scratch_load_dwordx4 v[2:5], off, s15
	v_add_f64 v[64:65], v[64:65], v[200:201]
	s_add_i32 s15, s14, 0x1c0
	s_waitcnt vmcnt(0) lgkmcnt(0)
	v_mul_f64 v[200:201], v[212:213], v[4:5]
	v_mul_f64 v[4:5], v[210:211], v[4:5]
	v_fma_f64 v[200:201], v[210:211], v[2:3], -v[200:201]
	v_fmac_f64_e32 v[4:5], v[212:213], v[2:3]
	v_add_f64 v[64:65], v[64:65], v[200:201]
	v_add_f64 v[202:203], v[198:199], v[4:5]
	scratch_load_dwordx4 v[198:201], off, s15
	ds_read_b128 v[2:5], v218 offset:1456
	s_add_i32 s15, s14, 0x1d0
	s_waitcnt vmcnt(0) lgkmcnt(0)
	v_mul_f64 v[204:205], v[4:5], v[200:201]
	v_fma_f64 v[204:205], v[2:3], v[198:199], -v[204:205]
	v_mul_f64 v[2:3], v[2:3], v[200:201]
	v_fmac_f64_e32 v[2:3], v[4:5], v[198:199]
	scratch_load_dwordx4 v[198:201], off, s15
	v_add_f64 v[202:203], v[202:203], v[2:3]
	ds_read_b128 v[2:5], v218 offset:1472
	v_add_f64 v[64:65], v[64:65], v[204:205]
	s_add_i32 s15, s14, 0x1e0
	s_addk_i32 s14, 0x1f0
	s_or_b64 s[10:11], vcc, s[10:11]
	s_waitcnt vmcnt(0) lgkmcnt(0)
	v_mul_f64 v[204:205], v[4:5], v[200:201]
	v_fma_f64 v[204:205], v[2:3], v[198:199], -v[204:205]
	v_mul_f64 v[2:3], v[2:3], v[200:201]
	v_fmac_f64_e32 v[2:3], v[4:5], v[198:199]
	scratch_load_dwordx4 v[198:201], off, s15
	v_add_f64 v[202:203], v[202:203], v[2:3]
	ds_read_b128 v[2:5], v218 offset:1488
	v_add_f64 v[64:65], v[64:65], v[204:205]
	s_waitcnt vmcnt(0) lgkmcnt(0)
	v_mul_f64 v[204:205], v[4:5], v[200:201]
	v_fma_f64 v[204:205], v[2:3], v[198:199], -v[204:205]
	v_mul_f64 v[2:3], v[2:3], v[200:201]
	v_fmac_f64_e32 v[2:3], v[4:5], v[198:199]
	scratch_load_dwordx4 v[198:201], off, s14
	v_add_f64 v[202:203], v[202:203], v[2:3]
	ds_read_b128 v[2:5], v218 offset:1504
	v_add_f64 v[64:65], v[64:65], v[204:205]
	s_waitcnt vmcnt(0) lgkmcnt(0)
	v_mul_f64 v[204:205], v[4:5], v[200:201]
	v_mul_f64 v[200:201], v[2:3], v[200:201]
	v_fma_f64 v[204:205], v[2:3], v[198:199], -v[204:205]
	v_fmac_f64_e32 v[200:201], v[4:5], v[198:199]
	v_add_f64 v[2:3], v[64:65], v[204:205]
	v_add_f64 v[4:5], v[202:203], v[200:201]
	s_andn2_b64 exec, exec, s[10:11]
	s_cbranch_execnz .LBB126_529
; %bb.530:
	s_or_b64 exec, exec, s[10:11]
.LBB126_531:
	s_or_b64 exec, exec, s[0:1]
	v_and_b32_e32 v7, 7, v0
	v_cmp_ne_u32_e32 vcc, 0, v7
	s_and_saveexec_b64 s[0:1], vcc
	s_cbranch_execz .LBB126_535
; %bb.532:
	v_lshlrev_b32_e32 v64, 4, v6
	v_add_u32_e32 v6, 0x3f0, v64
	v_add_u32_e32 v198, 0, v64
	s_mov_b64 s[10:11], 0
.LBB126_533:                            ; =>This Inner Loop Header: Depth=1
	scratch_load_dwordx4 v[200:203], v198, off
	ds_read_b128 v[204:207], v6
	v_add_u32_e32 v7, -1, v7
	v_cmp_eq_u32_e32 vcc, 0, v7
	v_add_u32_e32 v6, 16, v6
	v_add_u32_e32 v198, 16, v198
	s_or_b64 s[10:11], vcc, s[10:11]
	s_waitcnt vmcnt(0) lgkmcnt(0)
	v_mul_f64 v[64:65], v[206:207], v[202:203]
	v_mul_f64 v[202:203], v[204:205], v[202:203]
	v_fma_f64 v[64:65], v[204:205], v[200:201], -v[64:65]
	v_fmac_f64_e32 v[202:203], v[206:207], v[200:201]
	v_add_f64 v[2:3], v[2:3], v[64:65]
	v_add_f64 v[4:5], v[4:5], v[202:203]
	s_andn2_b64 exec, exec, s[10:11]
	s_cbranch_execnz .LBB126_533
; %bb.534:
	s_or_b64 exec, exec, s[10:11]
.LBB126_535:
	s_or_b64 exec, exec, s[0:1]
.LBB126_536:
	s_or_b64 exec, exec, s[8:9]
	v_mov_b32_e32 v6, 0
	ds_read_b128 v[198:201], v6 offset:368
	s_waitcnt lgkmcnt(0)
	v_mul_f64 v[6:7], v[4:5], v[200:201]
	v_mul_f64 v[202:203], v[2:3], v[200:201]
	v_fma_f64 v[200:201], v[2:3], v[198:199], -v[6:7]
	v_fmac_f64_e32 v[202:203], v[4:5], v[198:199]
	scratch_store_dwordx4 off, v[200:203], off offset:368
.LBB126_537:
	s_or_b64 exec, exec, s[4:5]
	scratch_load_dwordx4 v[2:5], v176, off
	v_cmp_lt_u32_e64 s[0:1], 22, v0
	s_waitcnt vmcnt(0)
	ds_write_b128 v9, v[2:5]
	s_waitcnt lgkmcnt(0)
	; wave barrier
	s_waitcnt lgkmcnt(0)
	s_and_saveexec_b64 s[4:5], s[0:1]
	s_cbranch_execz .LBB126_551
; %bb.538:
	ds_read_b128 v[2:5], v9
	s_andn2_b64 vcc, exec, s[6:7]
	s_cbranch_vccnz .LBB126_540
; %bb.539:
	scratch_load_dwordx4 v[198:201], v8, off
	s_waitcnt vmcnt(0) lgkmcnt(0)
	v_mul_f64 v[64:65], v[2:3], v[200:201]
	v_mul_f64 v[6:7], v[4:5], v[200:201]
	v_fmac_f64_e32 v[64:65], v[4:5], v[198:199]
	v_fma_f64 v[2:3], v[2:3], v[198:199], -v[6:7]
	v_mov_b64_e32 v[4:5], v[64:65]
.LBB126_540:
	s_and_saveexec_b64 s[8:9], s[2:3]
	s_cbranch_execz .LBB126_550
; %bb.541:
	v_subrev_u32_e32 v7, 24, v0
	v_subrev_u32_e32 v6, 23, v0
	v_cmp_lt_u32_e32 vcc, 6, v7
	v_mov_b32_e32 v199, 23
	s_and_saveexec_b64 s[2:3], vcc
	s_cbranch_execz .LBB126_545
; %bb.542:
	v_and_b32_e32 v7, -8, v6
	s_mov_b32 s12, 0
	s_mov_b64 s[10:11], 0
	v_mov_b32_e32 v198, 0
	s_mov_b32 s13, 0
.LBB126_543:                            ; =>This Inner Loop Header: Depth=1
	v_readfirstlane_b32 s14, v198
	s_add_i32 s14, s14, s12
	s_add_i32 s15, s14, 0x170
	v_mov_b32_e32 v199, s12
	ds_read_b128 v[200:203], v199 offset:1376
	ds_read_b128 v[204:207], v199 offset:1392
	;; [unrolled: 1-line block ×4, first 2 shown]
	scratch_load_dwordx4 v[216:219], off, s15
	s_add_i32 s15, s14, 0x180
	s_addk_i32 s12, 0x80
	s_waitcnt vmcnt(0) lgkmcnt(3)
	v_mul_f64 v[64:65], v[202:203], v[218:219]
	v_fma_f64 v[64:65], v[200:201], v[216:217], -v[64:65]
	v_mul_f64 v[200:201], v[200:201], v[218:219]
	v_fmac_f64_e32 v[200:201], v[202:203], v[216:217]
	v_add_f64 v[64:65], v[2:3], v[64:65]
	v_add_f64 v[200:201], v[4:5], v[200:201]
	scratch_load_dwordx4 v[2:5], off, s15
	s_add_i32 s15, s14, 0x190
	s_waitcnt vmcnt(0) lgkmcnt(2)
	v_mul_f64 v[202:203], v[206:207], v[4:5]
	v_mul_f64 v[4:5], v[204:205], v[4:5]
	v_fmac_f64_e32 v[4:5], v[206:207], v[2:3]
	v_fma_f64 v[202:203], v[204:205], v[2:3], -v[202:203]
	v_add_f64 v[200:201], v[200:201], v[4:5]
	scratch_load_dwordx4 v[2:5], off, s15
	v_add_f64 v[64:65], v[64:65], v[202:203]
	s_add_i32 s15, s14, 0x1a0
	s_waitcnt vmcnt(0) lgkmcnt(1)
	v_mul_f64 v[202:203], v[210:211], v[4:5]
	v_mul_f64 v[4:5], v[208:209], v[4:5]
	v_fmac_f64_e32 v[4:5], v[210:211], v[2:3]
	v_fma_f64 v[202:203], v[208:209], v[2:3], -v[202:203]
	v_add_f64 v[200:201], v[200:201], v[4:5]
	scratch_load_dwordx4 v[2:5], off, s15
	v_add_f64 v[64:65], v[64:65], v[202:203]
	s_add_i32 s15, s14, 0x1b0
	s_waitcnt vmcnt(0) lgkmcnt(0)
	v_mul_f64 v[202:203], v[214:215], v[4:5]
	v_mul_f64 v[4:5], v[212:213], v[4:5]
	v_fma_f64 v[202:203], v[212:213], v[2:3], -v[202:203]
	v_fmac_f64_e32 v[4:5], v[214:215], v[2:3]
	v_add_f64 v[64:65], v[64:65], v[202:203]
	v_add_f64 v[204:205], v[200:201], v[4:5]
	scratch_load_dwordx4 v[200:203], off, s15
	ds_read_b128 v[2:5], v199 offset:1440
	s_add_i32 s15, s14, 0x1c0
	s_waitcnt vmcnt(0) lgkmcnt(0)
	v_mul_f64 v[206:207], v[4:5], v[202:203]
	v_fma_f64 v[206:207], v[2:3], v[200:201], -v[206:207]
	v_mul_f64 v[2:3], v[2:3], v[202:203]
	v_fmac_f64_e32 v[2:3], v[4:5], v[200:201]
	scratch_load_dwordx4 v[200:203], off, s15
	v_add_f64 v[204:205], v[204:205], v[2:3]
	ds_read_b128 v[2:5], v199 offset:1456
	v_add_f64 v[64:65], v[64:65], v[206:207]
	s_add_i32 s15, s14, 0x1d0
	s_addk_i32 s14, 0x1e0
	s_waitcnt vmcnt(0) lgkmcnt(0)
	v_mul_f64 v[206:207], v[4:5], v[202:203]
	v_fma_f64 v[206:207], v[2:3], v[200:201], -v[206:207]
	v_mul_f64 v[2:3], v[2:3], v[202:203]
	v_fmac_f64_e32 v[2:3], v[4:5], v[200:201]
	scratch_load_dwordx4 v[200:203], off, s15
	v_add_f64 v[204:205], v[204:205], v[2:3]
	ds_read_b128 v[2:5], v199 offset:1472
	v_add_f64 v[64:65], v[64:65], v[206:207]
	s_waitcnt vmcnt(0) lgkmcnt(0)
	v_mul_f64 v[206:207], v[4:5], v[202:203]
	v_fma_f64 v[206:207], v[2:3], v[200:201], -v[206:207]
	v_mul_f64 v[2:3], v[2:3], v[202:203]
	v_fmac_f64_e32 v[2:3], v[4:5], v[200:201]
	scratch_load_dwordx4 v[200:203], off, s14
	v_add_f64 v[204:205], v[204:205], v[2:3]
	ds_read_b128 v[2:5], v199 offset:1488
	v_add_f64 v[64:65], v[64:65], v[206:207]
	s_add_i32 s14, s13, 8
	v_cmp_eq_u32_e32 vcc, s14, v7
	s_add_i32 s13, s13, 31
	s_or_b64 s[10:11], vcc, s[10:11]
	v_mov_b32_e32 v199, s13
	s_mov_b32 s13, s14
	s_waitcnt vmcnt(0) lgkmcnt(0)
	v_mul_f64 v[206:207], v[4:5], v[202:203]
	v_mul_f64 v[202:203], v[2:3], v[202:203]
	v_fma_f64 v[206:207], v[2:3], v[200:201], -v[206:207]
	v_fmac_f64_e32 v[202:203], v[4:5], v[200:201]
	v_add_f64 v[2:3], v[64:65], v[206:207]
	v_add_f64 v[4:5], v[204:205], v[202:203]
	s_andn2_b64 exec, exec, s[10:11]
	s_cbranch_execnz .LBB126_543
; %bb.544:
	s_or_b64 exec, exec, s[10:11]
.LBB126_545:
	s_or_b64 exec, exec, s[2:3]
	v_and_b32_e32 v6, 7, v6
	v_cmp_ne_u32_e32 vcc, 0, v6
	s_and_saveexec_b64 s[2:3], vcc
	s_cbranch_execz .LBB126_549
; %bb.546:
	v_lshlrev_b32_e32 v64, 4, v199
	v_add_u32_e32 v7, 0x3f0, v64
	v_add_u32_e32 v198, 0, v64
	s_mov_b64 s[10:11], 0
.LBB126_547:                            ; =>This Inner Loop Header: Depth=1
	scratch_load_dwordx4 v[200:203], v198, off
	ds_read_b128 v[204:207], v7
	v_add_u32_e32 v6, -1, v6
	v_cmp_eq_u32_e32 vcc, 0, v6
	v_add_u32_e32 v7, 16, v7
	v_add_u32_e32 v198, 16, v198
	s_or_b64 s[10:11], vcc, s[10:11]
	s_waitcnt vmcnt(0) lgkmcnt(0)
	v_mul_f64 v[64:65], v[206:207], v[202:203]
	v_mul_f64 v[202:203], v[204:205], v[202:203]
	v_fma_f64 v[64:65], v[204:205], v[200:201], -v[64:65]
	v_fmac_f64_e32 v[202:203], v[206:207], v[200:201]
	v_add_f64 v[2:3], v[2:3], v[64:65]
	v_add_f64 v[4:5], v[4:5], v[202:203]
	s_andn2_b64 exec, exec, s[10:11]
	s_cbranch_execnz .LBB126_547
; %bb.548:
	s_or_b64 exec, exec, s[10:11]
.LBB126_549:
	s_or_b64 exec, exec, s[2:3]
.LBB126_550:
	s_or_b64 exec, exec, s[8:9]
	v_mov_b32_e32 v6, 0
	ds_read_b128 v[198:201], v6 offset:352
	s_waitcnt lgkmcnt(0)
	v_mul_f64 v[6:7], v[4:5], v[200:201]
	v_mul_f64 v[202:203], v[2:3], v[200:201]
	v_fma_f64 v[200:201], v[2:3], v[198:199], -v[6:7]
	v_fmac_f64_e32 v[202:203], v[4:5], v[198:199]
	scratch_store_dwordx4 off, v[200:203], off offset:352
.LBB126_551:
	s_or_b64 exec, exec, s[4:5]
	scratch_load_dwordx4 v[2:5], v177, off
	v_cmp_lt_u32_e64 s[2:3], 21, v0
	s_waitcnt vmcnt(0)
	ds_write_b128 v9, v[2:5]
	s_waitcnt lgkmcnt(0)
	; wave barrier
	s_waitcnt lgkmcnt(0)
	s_and_saveexec_b64 s[4:5], s[2:3]
	s_cbranch_execz .LBB126_565
; %bb.552:
	ds_read_b128 v[2:5], v9
	s_andn2_b64 vcc, exec, s[6:7]
	s_cbranch_vccnz .LBB126_554
; %bb.553:
	scratch_load_dwordx4 v[198:201], v8, off
	s_waitcnt vmcnt(0) lgkmcnt(0)
	v_mul_f64 v[64:65], v[2:3], v[200:201]
	v_mul_f64 v[6:7], v[4:5], v[200:201]
	v_fmac_f64_e32 v[64:65], v[4:5], v[198:199]
	v_fma_f64 v[2:3], v[2:3], v[198:199], -v[6:7]
	v_mov_b64_e32 v[4:5], v[64:65]
.LBB126_554:
	s_and_saveexec_b64 s[8:9], s[0:1]
	s_cbranch_execz .LBB126_564
; %bb.555:
	v_subrev_u32_e32 v7, 23, v0
	v_subrev_u32_e32 v6, 22, v0
	v_cmp_lt_u32_e32 vcc, 6, v7
	v_mov_b32_e32 v199, 22
	s_and_saveexec_b64 s[0:1], vcc
	s_cbranch_execz .LBB126_559
; %bb.556:
	v_and_b32_e32 v7, -8, v6
	s_mov_b32 s12, 0
	s_mov_b64 s[10:11], 0
	v_mov_b32_e32 v198, 0
	s_mov_b32 s13, 0
.LBB126_557:                            ; =>This Inner Loop Header: Depth=1
	v_readfirstlane_b32 s14, v198
	s_add_i32 s14, s14, s12
	s_add_i32 s15, s14, 0x160
	v_mov_b32_e32 v199, s12
	ds_read_b128 v[200:203], v199 offset:1360
	ds_read_b128 v[204:207], v199 offset:1376
	ds_read_b128 v[208:211], v199 offset:1392
	ds_read_b128 v[212:215], v199 offset:1408
	scratch_load_dwordx4 v[216:219], off, s15
	s_add_i32 s15, s14, 0x170
	s_addk_i32 s12, 0x80
	s_waitcnt vmcnt(0) lgkmcnt(3)
	v_mul_f64 v[64:65], v[202:203], v[218:219]
	v_fma_f64 v[64:65], v[200:201], v[216:217], -v[64:65]
	v_mul_f64 v[200:201], v[200:201], v[218:219]
	v_fmac_f64_e32 v[200:201], v[202:203], v[216:217]
	v_add_f64 v[64:65], v[2:3], v[64:65]
	v_add_f64 v[200:201], v[4:5], v[200:201]
	scratch_load_dwordx4 v[2:5], off, s15
	s_add_i32 s15, s14, 0x180
	s_waitcnt vmcnt(0) lgkmcnt(2)
	v_mul_f64 v[202:203], v[206:207], v[4:5]
	v_mul_f64 v[4:5], v[204:205], v[4:5]
	v_fmac_f64_e32 v[4:5], v[206:207], v[2:3]
	v_fma_f64 v[202:203], v[204:205], v[2:3], -v[202:203]
	v_add_f64 v[200:201], v[200:201], v[4:5]
	scratch_load_dwordx4 v[2:5], off, s15
	v_add_f64 v[64:65], v[64:65], v[202:203]
	s_add_i32 s15, s14, 0x190
	s_waitcnt vmcnt(0) lgkmcnt(1)
	v_mul_f64 v[202:203], v[210:211], v[4:5]
	v_mul_f64 v[4:5], v[208:209], v[4:5]
	v_fmac_f64_e32 v[4:5], v[210:211], v[2:3]
	v_fma_f64 v[202:203], v[208:209], v[2:3], -v[202:203]
	v_add_f64 v[200:201], v[200:201], v[4:5]
	scratch_load_dwordx4 v[2:5], off, s15
	v_add_f64 v[64:65], v[64:65], v[202:203]
	s_add_i32 s15, s14, 0x1a0
	s_waitcnt vmcnt(0) lgkmcnt(0)
	v_mul_f64 v[202:203], v[214:215], v[4:5]
	v_mul_f64 v[4:5], v[212:213], v[4:5]
	v_fma_f64 v[202:203], v[212:213], v[2:3], -v[202:203]
	v_fmac_f64_e32 v[4:5], v[214:215], v[2:3]
	v_add_f64 v[64:65], v[64:65], v[202:203]
	v_add_f64 v[204:205], v[200:201], v[4:5]
	scratch_load_dwordx4 v[200:203], off, s15
	ds_read_b128 v[2:5], v199 offset:1424
	s_add_i32 s15, s14, 0x1b0
	s_waitcnt vmcnt(0) lgkmcnt(0)
	v_mul_f64 v[206:207], v[4:5], v[202:203]
	v_fma_f64 v[206:207], v[2:3], v[200:201], -v[206:207]
	v_mul_f64 v[2:3], v[2:3], v[202:203]
	v_fmac_f64_e32 v[2:3], v[4:5], v[200:201]
	scratch_load_dwordx4 v[200:203], off, s15
	v_add_f64 v[204:205], v[204:205], v[2:3]
	ds_read_b128 v[2:5], v199 offset:1440
	v_add_f64 v[64:65], v[64:65], v[206:207]
	s_add_i32 s15, s14, 0x1c0
	s_addk_i32 s14, 0x1d0
	s_waitcnt vmcnt(0) lgkmcnt(0)
	v_mul_f64 v[206:207], v[4:5], v[202:203]
	v_fma_f64 v[206:207], v[2:3], v[200:201], -v[206:207]
	v_mul_f64 v[2:3], v[2:3], v[202:203]
	v_fmac_f64_e32 v[2:3], v[4:5], v[200:201]
	scratch_load_dwordx4 v[200:203], off, s15
	v_add_f64 v[204:205], v[204:205], v[2:3]
	ds_read_b128 v[2:5], v199 offset:1456
	v_add_f64 v[64:65], v[64:65], v[206:207]
	s_waitcnt vmcnt(0) lgkmcnt(0)
	v_mul_f64 v[206:207], v[4:5], v[202:203]
	v_fma_f64 v[206:207], v[2:3], v[200:201], -v[206:207]
	v_mul_f64 v[2:3], v[2:3], v[202:203]
	v_fmac_f64_e32 v[2:3], v[4:5], v[200:201]
	scratch_load_dwordx4 v[200:203], off, s14
	v_add_f64 v[204:205], v[204:205], v[2:3]
	ds_read_b128 v[2:5], v199 offset:1472
	v_add_f64 v[64:65], v[64:65], v[206:207]
	s_add_i32 s14, s13, 8
	v_cmp_eq_u32_e32 vcc, s14, v7
	s_add_i32 s13, s13, 30
	s_or_b64 s[10:11], vcc, s[10:11]
	v_mov_b32_e32 v199, s13
	s_mov_b32 s13, s14
	s_waitcnt vmcnt(0) lgkmcnt(0)
	v_mul_f64 v[206:207], v[4:5], v[202:203]
	v_mul_f64 v[202:203], v[2:3], v[202:203]
	v_fma_f64 v[206:207], v[2:3], v[200:201], -v[206:207]
	v_fmac_f64_e32 v[202:203], v[4:5], v[200:201]
	v_add_f64 v[2:3], v[64:65], v[206:207]
	v_add_f64 v[4:5], v[204:205], v[202:203]
	s_andn2_b64 exec, exec, s[10:11]
	s_cbranch_execnz .LBB126_557
; %bb.558:
	s_or_b64 exec, exec, s[10:11]
.LBB126_559:
	s_or_b64 exec, exec, s[0:1]
	v_and_b32_e32 v6, 7, v6
	v_cmp_ne_u32_e32 vcc, 0, v6
	s_and_saveexec_b64 s[0:1], vcc
	s_cbranch_execz .LBB126_563
; %bb.560:
	v_lshlrev_b32_e32 v64, 4, v199
	v_add_u32_e32 v7, 0x3f0, v64
	v_add_u32_e32 v198, 0, v64
	s_mov_b64 s[10:11], 0
.LBB126_561:                            ; =>This Inner Loop Header: Depth=1
	scratch_load_dwordx4 v[200:203], v198, off
	ds_read_b128 v[204:207], v7
	v_add_u32_e32 v6, -1, v6
	v_cmp_eq_u32_e32 vcc, 0, v6
	v_add_u32_e32 v7, 16, v7
	v_add_u32_e32 v198, 16, v198
	s_or_b64 s[10:11], vcc, s[10:11]
	s_waitcnt vmcnt(0) lgkmcnt(0)
	v_mul_f64 v[64:65], v[206:207], v[202:203]
	v_mul_f64 v[202:203], v[204:205], v[202:203]
	v_fma_f64 v[64:65], v[204:205], v[200:201], -v[64:65]
	v_fmac_f64_e32 v[202:203], v[206:207], v[200:201]
	v_add_f64 v[2:3], v[2:3], v[64:65]
	v_add_f64 v[4:5], v[4:5], v[202:203]
	s_andn2_b64 exec, exec, s[10:11]
	s_cbranch_execnz .LBB126_561
; %bb.562:
	s_or_b64 exec, exec, s[10:11]
.LBB126_563:
	s_or_b64 exec, exec, s[0:1]
.LBB126_564:
	s_or_b64 exec, exec, s[8:9]
	v_mov_b32_e32 v6, 0
	ds_read_b128 v[198:201], v6 offset:336
	s_waitcnt lgkmcnt(0)
	v_mul_f64 v[6:7], v[4:5], v[200:201]
	v_mul_f64 v[202:203], v[2:3], v[200:201]
	v_fma_f64 v[200:201], v[2:3], v[198:199], -v[6:7]
	v_fmac_f64_e32 v[202:203], v[4:5], v[198:199]
	scratch_store_dwordx4 off, v[200:203], off offset:336
.LBB126_565:
	s_or_b64 exec, exec, s[4:5]
	scratch_load_dwordx4 v[2:5], v178, off
	v_cmp_lt_u32_e64 s[0:1], 20, v0
	s_waitcnt vmcnt(0)
	ds_write_b128 v9, v[2:5]
	s_waitcnt lgkmcnt(0)
	; wave barrier
	s_waitcnt lgkmcnt(0)
	s_and_saveexec_b64 s[4:5], s[0:1]
	s_cbranch_execz .LBB126_579
; %bb.566:
	ds_read_b128 v[2:5], v9
	s_andn2_b64 vcc, exec, s[6:7]
	s_cbranch_vccnz .LBB126_568
; %bb.567:
	scratch_load_dwordx4 v[198:201], v8, off
	s_waitcnt vmcnt(0) lgkmcnt(0)
	v_mul_f64 v[64:65], v[2:3], v[200:201]
	v_mul_f64 v[6:7], v[4:5], v[200:201]
	v_fmac_f64_e32 v[64:65], v[4:5], v[198:199]
	v_fma_f64 v[2:3], v[2:3], v[198:199], -v[6:7]
	v_mov_b64_e32 v[4:5], v[64:65]
.LBB126_568:
	s_and_saveexec_b64 s[8:9], s[2:3]
	s_cbranch_execz .LBB126_578
; %bb.569:
	v_subrev_u32_e32 v7, 22, v0
	v_subrev_u32_e32 v6, 21, v0
	v_cmp_lt_u32_e32 vcc, 6, v7
	v_mov_b32_e32 v199, 21
	s_and_saveexec_b64 s[2:3], vcc
	s_cbranch_execz .LBB126_573
; %bb.570:
	v_and_b32_e32 v7, -8, v6
	s_mov_b32 s12, 0
	s_mov_b64 s[10:11], 0
	v_mov_b32_e32 v198, 0
	s_mov_b32 s13, 0
.LBB126_571:                            ; =>This Inner Loop Header: Depth=1
	v_readfirstlane_b32 s14, v198
	s_add_i32 s14, s14, s12
	s_add_i32 s15, s14, 0x150
	v_mov_b32_e32 v199, s12
	ds_read_b128 v[200:203], v199 offset:1344
	ds_read_b128 v[204:207], v199 offset:1360
	;; [unrolled: 1-line block ×4, first 2 shown]
	scratch_load_dwordx4 v[216:219], off, s15
	s_add_i32 s15, s14, 0x160
	s_addk_i32 s12, 0x80
	s_waitcnt vmcnt(0) lgkmcnt(3)
	v_mul_f64 v[64:65], v[202:203], v[218:219]
	v_fma_f64 v[64:65], v[200:201], v[216:217], -v[64:65]
	v_mul_f64 v[200:201], v[200:201], v[218:219]
	v_fmac_f64_e32 v[200:201], v[202:203], v[216:217]
	v_add_f64 v[64:65], v[2:3], v[64:65]
	v_add_f64 v[200:201], v[4:5], v[200:201]
	scratch_load_dwordx4 v[2:5], off, s15
	s_add_i32 s15, s14, 0x170
	s_waitcnt vmcnt(0) lgkmcnt(2)
	v_mul_f64 v[202:203], v[206:207], v[4:5]
	v_mul_f64 v[4:5], v[204:205], v[4:5]
	v_fmac_f64_e32 v[4:5], v[206:207], v[2:3]
	v_fma_f64 v[202:203], v[204:205], v[2:3], -v[202:203]
	v_add_f64 v[200:201], v[200:201], v[4:5]
	scratch_load_dwordx4 v[2:5], off, s15
	v_add_f64 v[64:65], v[64:65], v[202:203]
	s_add_i32 s15, s14, 0x180
	s_waitcnt vmcnt(0) lgkmcnt(1)
	v_mul_f64 v[202:203], v[210:211], v[4:5]
	v_mul_f64 v[4:5], v[208:209], v[4:5]
	v_fmac_f64_e32 v[4:5], v[210:211], v[2:3]
	v_fma_f64 v[202:203], v[208:209], v[2:3], -v[202:203]
	v_add_f64 v[200:201], v[200:201], v[4:5]
	scratch_load_dwordx4 v[2:5], off, s15
	v_add_f64 v[64:65], v[64:65], v[202:203]
	s_add_i32 s15, s14, 0x190
	s_waitcnt vmcnt(0) lgkmcnt(0)
	v_mul_f64 v[202:203], v[214:215], v[4:5]
	v_mul_f64 v[4:5], v[212:213], v[4:5]
	v_fma_f64 v[202:203], v[212:213], v[2:3], -v[202:203]
	v_fmac_f64_e32 v[4:5], v[214:215], v[2:3]
	v_add_f64 v[64:65], v[64:65], v[202:203]
	v_add_f64 v[204:205], v[200:201], v[4:5]
	scratch_load_dwordx4 v[200:203], off, s15
	ds_read_b128 v[2:5], v199 offset:1408
	s_add_i32 s15, s14, 0x1a0
	s_waitcnt vmcnt(0) lgkmcnt(0)
	v_mul_f64 v[206:207], v[4:5], v[202:203]
	v_fma_f64 v[206:207], v[2:3], v[200:201], -v[206:207]
	v_mul_f64 v[2:3], v[2:3], v[202:203]
	v_fmac_f64_e32 v[2:3], v[4:5], v[200:201]
	scratch_load_dwordx4 v[200:203], off, s15
	v_add_f64 v[204:205], v[204:205], v[2:3]
	ds_read_b128 v[2:5], v199 offset:1424
	v_add_f64 v[64:65], v[64:65], v[206:207]
	s_add_i32 s15, s14, 0x1b0
	s_addk_i32 s14, 0x1c0
	s_waitcnt vmcnt(0) lgkmcnt(0)
	v_mul_f64 v[206:207], v[4:5], v[202:203]
	v_fma_f64 v[206:207], v[2:3], v[200:201], -v[206:207]
	v_mul_f64 v[2:3], v[2:3], v[202:203]
	v_fmac_f64_e32 v[2:3], v[4:5], v[200:201]
	scratch_load_dwordx4 v[200:203], off, s15
	v_add_f64 v[204:205], v[204:205], v[2:3]
	ds_read_b128 v[2:5], v199 offset:1440
	v_add_f64 v[64:65], v[64:65], v[206:207]
	s_waitcnt vmcnt(0) lgkmcnt(0)
	v_mul_f64 v[206:207], v[4:5], v[202:203]
	v_fma_f64 v[206:207], v[2:3], v[200:201], -v[206:207]
	v_mul_f64 v[2:3], v[2:3], v[202:203]
	v_fmac_f64_e32 v[2:3], v[4:5], v[200:201]
	scratch_load_dwordx4 v[200:203], off, s14
	v_add_f64 v[204:205], v[204:205], v[2:3]
	ds_read_b128 v[2:5], v199 offset:1456
	v_add_f64 v[64:65], v[64:65], v[206:207]
	s_add_i32 s14, s13, 8
	v_cmp_eq_u32_e32 vcc, s14, v7
	s_add_i32 s13, s13, 29
	s_or_b64 s[10:11], vcc, s[10:11]
	v_mov_b32_e32 v199, s13
	s_mov_b32 s13, s14
	s_waitcnt vmcnt(0) lgkmcnt(0)
	v_mul_f64 v[206:207], v[4:5], v[202:203]
	v_mul_f64 v[202:203], v[2:3], v[202:203]
	v_fma_f64 v[206:207], v[2:3], v[200:201], -v[206:207]
	v_fmac_f64_e32 v[202:203], v[4:5], v[200:201]
	v_add_f64 v[2:3], v[64:65], v[206:207]
	v_add_f64 v[4:5], v[204:205], v[202:203]
	s_andn2_b64 exec, exec, s[10:11]
	s_cbranch_execnz .LBB126_571
; %bb.572:
	s_or_b64 exec, exec, s[10:11]
.LBB126_573:
	s_or_b64 exec, exec, s[2:3]
	v_and_b32_e32 v6, 7, v6
	v_cmp_ne_u32_e32 vcc, 0, v6
	s_and_saveexec_b64 s[2:3], vcc
	s_cbranch_execz .LBB126_577
; %bb.574:
	v_lshlrev_b32_e32 v64, 4, v199
	v_add_u32_e32 v7, 0x3f0, v64
	v_add_u32_e32 v198, 0, v64
	s_mov_b64 s[10:11], 0
.LBB126_575:                            ; =>This Inner Loop Header: Depth=1
	scratch_load_dwordx4 v[200:203], v198, off
	ds_read_b128 v[204:207], v7
	v_add_u32_e32 v6, -1, v6
	v_cmp_eq_u32_e32 vcc, 0, v6
	v_add_u32_e32 v7, 16, v7
	v_add_u32_e32 v198, 16, v198
	s_or_b64 s[10:11], vcc, s[10:11]
	s_waitcnt vmcnt(0) lgkmcnt(0)
	v_mul_f64 v[64:65], v[206:207], v[202:203]
	v_mul_f64 v[202:203], v[204:205], v[202:203]
	v_fma_f64 v[64:65], v[204:205], v[200:201], -v[64:65]
	v_fmac_f64_e32 v[202:203], v[206:207], v[200:201]
	v_add_f64 v[2:3], v[2:3], v[64:65]
	v_add_f64 v[4:5], v[4:5], v[202:203]
	s_andn2_b64 exec, exec, s[10:11]
	s_cbranch_execnz .LBB126_575
; %bb.576:
	s_or_b64 exec, exec, s[10:11]
.LBB126_577:
	s_or_b64 exec, exec, s[2:3]
.LBB126_578:
	s_or_b64 exec, exec, s[8:9]
	v_mov_b32_e32 v6, 0
	ds_read_b128 v[198:201], v6 offset:320
	s_waitcnt lgkmcnt(0)
	v_mul_f64 v[6:7], v[4:5], v[200:201]
	v_mul_f64 v[202:203], v[2:3], v[200:201]
	v_fma_f64 v[200:201], v[2:3], v[198:199], -v[6:7]
	v_fmac_f64_e32 v[202:203], v[4:5], v[198:199]
	scratch_store_dwordx4 off, v[200:203], off offset:320
.LBB126_579:
	s_or_b64 exec, exec, s[4:5]
	scratch_load_dwordx4 v[2:5], v179, off
	v_cmp_lt_u32_e64 s[2:3], 19, v0
	s_waitcnt vmcnt(0)
	ds_write_b128 v9, v[2:5]
	s_waitcnt lgkmcnt(0)
	; wave barrier
	s_waitcnt lgkmcnt(0)
	s_and_saveexec_b64 s[4:5], s[2:3]
	s_cbranch_execz .LBB126_593
; %bb.580:
	ds_read_b128 v[2:5], v9
	s_andn2_b64 vcc, exec, s[6:7]
	s_cbranch_vccnz .LBB126_582
; %bb.581:
	scratch_load_dwordx4 v[198:201], v8, off
	s_waitcnt vmcnt(0) lgkmcnt(0)
	v_mul_f64 v[64:65], v[2:3], v[200:201]
	v_mul_f64 v[6:7], v[4:5], v[200:201]
	v_fmac_f64_e32 v[64:65], v[4:5], v[198:199]
	v_fma_f64 v[2:3], v[2:3], v[198:199], -v[6:7]
	v_mov_b64_e32 v[4:5], v[64:65]
.LBB126_582:
	s_and_saveexec_b64 s[8:9], s[0:1]
	s_cbranch_execz .LBB126_592
; %bb.583:
	v_subrev_u32_e32 v7, 21, v0
	v_subrev_u32_e32 v6, 20, v0
	v_cmp_lt_u32_e32 vcc, 6, v7
	v_mov_b32_e32 v199, 20
	s_and_saveexec_b64 s[0:1], vcc
	s_cbranch_execz .LBB126_587
; %bb.584:
	v_and_b32_e32 v7, -8, v6
	s_mov_b32 s12, 0
	s_mov_b64 s[10:11], 0
	v_mov_b32_e32 v198, 0
	s_mov_b32 s13, 0
.LBB126_585:                            ; =>This Inner Loop Header: Depth=1
	v_readfirstlane_b32 s14, v198
	s_add_i32 s14, s14, s12
	s_add_i32 s15, s14, 0x140
	v_mov_b32_e32 v199, s12
	ds_read_b128 v[200:203], v199 offset:1328
	ds_read_b128 v[204:207], v199 offset:1344
	;; [unrolled: 1-line block ×4, first 2 shown]
	scratch_load_dwordx4 v[216:219], off, s15
	s_add_i32 s15, s14, 0x150
	s_addk_i32 s12, 0x80
	s_waitcnt vmcnt(0) lgkmcnt(3)
	v_mul_f64 v[64:65], v[202:203], v[218:219]
	v_fma_f64 v[64:65], v[200:201], v[216:217], -v[64:65]
	v_mul_f64 v[200:201], v[200:201], v[218:219]
	v_fmac_f64_e32 v[200:201], v[202:203], v[216:217]
	v_add_f64 v[64:65], v[2:3], v[64:65]
	v_add_f64 v[200:201], v[4:5], v[200:201]
	scratch_load_dwordx4 v[2:5], off, s15
	s_add_i32 s15, s14, 0x160
	s_waitcnt vmcnt(0) lgkmcnt(2)
	v_mul_f64 v[202:203], v[206:207], v[4:5]
	v_mul_f64 v[4:5], v[204:205], v[4:5]
	v_fmac_f64_e32 v[4:5], v[206:207], v[2:3]
	v_fma_f64 v[202:203], v[204:205], v[2:3], -v[202:203]
	v_add_f64 v[200:201], v[200:201], v[4:5]
	scratch_load_dwordx4 v[2:5], off, s15
	v_add_f64 v[64:65], v[64:65], v[202:203]
	s_add_i32 s15, s14, 0x170
	s_waitcnt vmcnt(0) lgkmcnt(1)
	v_mul_f64 v[202:203], v[210:211], v[4:5]
	v_mul_f64 v[4:5], v[208:209], v[4:5]
	v_fmac_f64_e32 v[4:5], v[210:211], v[2:3]
	v_fma_f64 v[202:203], v[208:209], v[2:3], -v[202:203]
	v_add_f64 v[200:201], v[200:201], v[4:5]
	scratch_load_dwordx4 v[2:5], off, s15
	v_add_f64 v[64:65], v[64:65], v[202:203]
	s_add_i32 s15, s14, 0x180
	s_waitcnt vmcnt(0) lgkmcnt(0)
	v_mul_f64 v[202:203], v[214:215], v[4:5]
	v_mul_f64 v[4:5], v[212:213], v[4:5]
	v_fma_f64 v[202:203], v[212:213], v[2:3], -v[202:203]
	v_fmac_f64_e32 v[4:5], v[214:215], v[2:3]
	v_add_f64 v[64:65], v[64:65], v[202:203]
	v_add_f64 v[204:205], v[200:201], v[4:5]
	scratch_load_dwordx4 v[200:203], off, s15
	ds_read_b128 v[2:5], v199 offset:1392
	s_add_i32 s15, s14, 0x190
	s_waitcnt vmcnt(0) lgkmcnt(0)
	v_mul_f64 v[206:207], v[4:5], v[202:203]
	v_fma_f64 v[206:207], v[2:3], v[200:201], -v[206:207]
	v_mul_f64 v[2:3], v[2:3], v[202:203]
	v_fmac_f64_e32 v[2:3], v[4:5], v[200:201]
	scratch_load_dwordx4 v[200:203], off, s15
	v_add_f64 v[204:205], v[204:205], v[2:3]
	ds_read_b128 v[2:5], v199 offset:1408
	v_add_f64 v[64:65], v[64:65], v[206:207]
	s_add_i32 s15, s14, 0x1a0
	s_addk_i32 s14, 0x1b0
	s_waitcnt vmcnt(0) lgkmcnt(0)
	v_mul_f64 v[206:207], v[4:5], v[202:203]
	v_fma_f64 v[206:207], v[2:3], v[200:201], -v[206:207]
	v_mul_f64 v[2:3], v[2:3], v[202:203]
	v_fmac_f64_e32 v[2:3], v[4:5], v[200:201]
	scratch_load_dwordx4 v[200:203], off, s15
	v_add_f64 v[204:205], v[204:205], v[2:3]
	ds_read_b128 v[2:5], v199 offset:1424
	v_add_f64 v[64:65], v[64:65], v[206:207]
	s_waitcnt vmcnt(0) lgkmcnt(0)
	v_mul_f64 v[206:207], v[4:5], v[202:203]
	v_fma_f64 v[206:207], v[2:3], v[200:201], -v[206:207]
	v_mul_f64 v[2:3], v[2:3], v[202:203]
	v_fmac_f64_e32 v[2:3], v[4:5], v[200:201]
	scratch_load_dwordx4 v[200:203], off, s14
	v_add_f64 v[204:205], v[204:205], v[2:3]
	ds_read_b128 v[2:5], v199 offset:1440
	v_add_f64 v[64:65], v[64:65], v[206:207]
	s_add_i32 s14, s13, 8
	v_cmp_eq_u32_e32 vcc, s14, v7
	s_add_i32 s13, s13, 28
	s_or_b64 s[10:11], vcc, s[10:11]
	v_mov_b32_e32 v199, s13
	s_mov_b32 s13, s14
	s_waitcnt vmcnt(0) lgkmcnt(0)
	v_mul_f64 v[206:207], v[4:5], v[202:203]
	v_mul_f64 v[202:203], v[2:3], v[202:203]
	v_fma_f64 v[206:207], v[2:3], v[200:201], -v[206:207]
	v_fmac_f64_e32 v[202:203], v[4:5], v[200:201]
	v_add_f64 v[2:3], v[64:65], v[206:207]
	v_add_f64 v[4:5], v[204:205], v[202:203]
	s_andn2_b64 exec, exec, s[10:11]
	s_cbranch_execnz .LBB126_585
; %bb.586:
	s_or_b64 exec, exec, s[10:11]
.LBB126_587:
	s_or_b64 exec, exec, s[0:1]
	v_and_b32_e32 v6, 7, v6
	v_cmp_ne_u32_e32 vcc, 0, v6
	s_and_saveexec_b64 s[0:1], vcc
	s_cbranch_execz .LBB126_591
; %bb.588:
	v_lshlrev_b32_e32 v64, 4, v199
	v_add_u32_e32 v7, 0x3f0, v64
	v_add_u32_e32 v198, 0, v64
	s_mov_b64 s[10:11], 0
.LBB126_589:                            ; =>This Inner Loop Header: Depth=1
	scratch_load_dwordx4 v[200:203], v198, off
	ds_read_b128 v[204:207], v7
	v_add_u32_e32 v6, -1, v6
	v_cmp_eq_u32_e32 vcc, 0, v6
	v_add_u32_e32 v7, 16, v7
	v_add_u32_e32 v198, 16, v198
	s_or_b64 s[10:11], vcc, s[10:11]
	s_waitcnt vmcnt(0) lgkmcnt(0)
	v_mul_f64 v[64:65], v[206:207], v[202:203]
	v_mul_f64 v[202:203], v[204:205], v[202:203]
	v_fma_f64 v[64:65], v[204:205], v[200:201], -v[64:65]
	v_fmac_f64_e32 v[202:203], v[206:207], v[200:201]
	v_add_f64 v[2:3], v[2:3], v[64:65]
	v_add_f64 v[4:5], v[4:5], v[202:203]
	s_andn2_b64 exec, exec, s[10:11]
	s_cbranch_execnz .LBB126_589
; %bb.590:
	s_or_b64 exec, exec, s[10:11]
.LBB126_591:
	s_or_b64 exec, exec, s[0:1]
.LBB126_592:
	s_or_b64 exec, exec, s[8:9]
	v_mov_b32_e32 v6, 0
	ds_read_b128 v[198:201], v6 offset:304
	s_waitcnt lgkmcnt(0)
	v_mul_f64 v[6:7], v[4:5], v[200:201]
	v_mul_f64 v[202:203], v[2:3], v[200:201]
	v_fma_f64 v[200:201], v[2:3], v[198:199], -v[6:7]
	v_fmac_f64_e32 v[202:203], v[4:5], v[198:199]
	scratch_store_dwordx4 off, v[200:203], off offset:304
.LBB126_593:
	s_or_b64 exec, exec, s[4:5]
	scratch_load_dwordx4 v[2:5], v180, off
	v_cmp_lt_u32_e64 s[0:1], 18, v0
	s_waitcnt vmcnt(0)
	ds_write_b128 v9, v[2:5]
	s_waitcnt lgkmcnt(0)
	; wave barrier
	s_waitcnt lgkmcnt(0)
	s_and_saveexec_b64 s[4:5], s[0:1]
	s_cbranch_execz .LBB126_607
; %bb.594:
	ds_read_b128 v[2:5], v9
	s_andn2_b64 vcc, exec, s[6:7]
	s_cbranch_vccnz .LBB126_596
; %bb.595:
	scratch_load_dwordx4 v[198:201], v8, off
	s_waitcnt vmcnt(0) lgkmcnt(0)
	v_mul_f64 v[64:65], v[2:3], v[200:201]
	v_mul_f64 v[6:7], v[4:5], v[200:201]
	v_fmac_f64_e32 v[64:65], v[4:5], v[198:199]
	v_fma_f64 v[2:3], v[2:3], v[198:199], -v[6:7]
	v_mov_b64_e32 v[4:5], v[64:65]
.LBB126_596:
	s_and_saveexec_b64 s[8:9], s[2:3]
	s_cbranch_execz .LBB126_606
; %bb.597:
	v_subrev_u32_e32 v7, 20, v0
	v_subrev_u32_e32 v6, 19, v0
	v_cmp_lt_u32_e32 vcc, 6, v7
	v_mov_b32_e32 v199, 19
	s_and_saveexec_b64 s[2:3], vcc
	s_cbranch_execz .LBB126_601
; %bb.598:
	v_and_b32_e32 v7, -8, v6
	s_mov_b32 s12, 0
	s_mov_b64 s[10:11], 0
	v_mov_b32_e32 v198, 0
	s_mov_b32 s13, 0
.LBB126_599:                            ; =>This Inner Loop Header: Depth=1
	v_readfirstlane_b32 s14, v198
	s_add_i32 s14, s14, s12
	s_add_i32 s15, s14, 0x130
	v_mov_b32_e32 v199, s12
	ds_read_b128 v[200:203], v199 offset:1312
	ds_read_b128 v[204:207], v199 offset:1328
	;; [unrolled: 1-line block ×4, first 2 shown]
	scratch_load_dwordx4 v[216:219], off, s15
	s_add_i32 s15, s14, 0x140
	s_addk_i32 s12, 0x80
	s_waitcnt vmcnt(0) lgkmcnt(3)
	v_mul_f64 v[64:65], v[202:203], v[218:219]
	v_fma_f64 v[64:65], v[200:201], v[216:217], -v[64:65]
	v_mul_f64 v[200:201], v[200:201], v[218:219]
	v_fmac_f64_e32 v[200:201], v[202:203], v[216:217]
	v_add_f64 v[64:65], v[2:3], v[64:65]
	v_add_f64 v[200:201], v[4:5], v[200:201]
	scratch_load_dwordx4 v[2:5], off, s15
	s_add_i32 s15, s14, 0x150
	s_waitcnt vmcnt(0) lgkmcnt(2)
	v_mul_f64 v[202:203], v[206:207], v[4:5]
	v_mul_f64 v[4:5], v[204:205], v[4:5]
	v_fmac_f64_e32 v[4:5], v[206:207], v[2:3]
	v_fma_f64 v[202:203], v[204:205], v[2:3], -v[202:203]
	v_add_f64 v[200:201], v[200:201], v[4:5]
	scratch_load_dwordx4 v[2:5], off, s15
	v_add_f64 v[64:65], v[64:65], v[202:203]
	s_add_i32 s15, s14, 0x160
	s_waitcnt vmcnt(0) lgkmcnt(1)
	v_mul_f64 v[202:203], v[210:211], v[4:5]
	v_mul_f64 v[4:5], v[208:209], v[4:5]
	v_fmac_f64_e32 v[4:5], v[210:211], v[2:3]
	v_fma_f64 v[202:203], v[208:209], v[2:3], -v[202:203]
	v_add_f64 v[200:201], v[200:201], v[4:5]
	scratch_load_dwordx4 v[2:5], off, s15
	v_add_f64 v[64:65], v[64:65], v[202:203]
	s_add_i32 s15, s14, 0x170
	s_waitcnt vmcnt(0) lgkmcnt(0)
	v_mul_f64 v[202:203], v[214:215], v[4:5]
	v_mul_f64 v[4:5], v[212:213], v[4:5]
	v_fma_f64 v[202:203], v[212:213], v[2:3], -v[202:203]
	v_fmac_f64_e32 v[4:5], v[214:215], v[2:3]
	v_add_f64 v[64:65], v[64:65], v[202:203]
	v_add_f64 v[204:205], v[200:201], v[4:5]
	scratch_load_dwordx4 v[200:203], off, s15
	ds_read_b128 v[2:5], v199 offset:1376
	s_add_i32 s15, s14, 0x180
	s_waitcnt vmcnt(0) lgkmcnt(0)
	v_mul_f64 v[206:207], v[4:5], v[202:203]
	v_fma_f64 v[206:207], v[2:3], v[200:201], -v[206:207]
	v_mul_f64 v[2:3], v[2:3], v[202:203]
	v_fmac_f64_e32 v[2:3], v[4:5], v[200:201]
	scratch_load_dwordx4 v[200:203], off, s15
	v_add_f64 v[204:205], v[204:205], v[2:3]
	ds_read_b128 v[2:5], v199 offset:1392
	v_add_f64 v[64:65], v[64:65], v[206:207]
	s_add_i32 s15, s14, 0x190
	s_addk_i32 s14, 0x1a0
	s_waitcnt vmcnt(0) lgkmcnt(0)
	v_mul_f64 v[206:207], v[4:5], v[202:203]
	v_fma_f64 v[206:207], v[2:3], v[200:201], -v[206:207]
	v_mul_f64 v[2:3], v[2:3], v[202:203]
	v_fmac_f64_e32 v[2:3], v[4:5], v[200:201]
	scratch_load_dwordx4 v[200:203], off, s15
	v_add_f64 v[204:205], v[204:205], v[2:3]
	ds_read_b128 v[2:5], v199 offset:1408
	v_add_f64 v[64:65], v[64:65], v[206:207]
	s_waitcnt vmcnt(0) lgkmcnt(0)
	v_mul_f64 v[206:207], v[4:5], v[202:203]
	v_fma_f64 v[206:207], v[2:3], v[200:201], -v[206:207]
	v_mul_f64 v[2:3], v[2:3], v[202:203]
	v_fmac_f64_e32 v[2:3], v[4:5], v[200:201]
	scratch_load_dwordx4 v[200:203], off, s14
	v_add_f64 v[204:205], v[204:205], v[2:3]
	ds_read_b128 v[2:5], v199 offset:1424
	v_add_f64 v[64:65], v[64:65], v[206:207]
	s_add_i32 s14, s13, 8
	v_cmp_eq_u32_e32 vcc, s14, v7
	s_add_i32 s13, s13, 27
	s_or_b64 s[10:11], vcc, s[10:11]
	v_mov_b32_e32 v199, s13
	s_mov_b32 s13, s14
	s_waitcnt vmcnt(0) lgkmcnt(0)
	v_mul_f64 v[206:207], v[4:5], v[202:203]
	v_mul_f64 v[202:203], v[2:3], v[202:203]
	v_fma_f64 v[206:207], v[2:3], v[200:201], -v[206:207]
	v_fmac_f64_e32 v[202:203], v[4:5], v[200:201]
	v_add_f64 v[2:3], v[64:65], v[206:207]
	v_add_f64 v[4:5], v[204:205], v[202:203]
	s_andn2_b64 exec, exec, s[10:11]
	s_cbranch_execnz .LBB126_599
; %bb.600:
	s_or_b64 exec, exec, s[10:11]
.LBB126_601:
	s_or_b64 exec, exec, s[2:3]
	v_and_b32_e32 v6, 7, v6
	v_cmp_ne_u32_e32 vcc, 0, v6
	s_and_saveexec_b64 s[2:3], vcc
	s_cbranch_execz .LBB126_605
; %bb.602:
	v_lshlrev_b32_e32 v64, 4, v199
	v_add_u32_e32 v7, 0x3f0, v64
	v_add_u32_e32 v198, 0, v64
	s_mov_b64 s[10:11], 0
.LBB126_603:                            ; =>This Inner Loop Header: Depth=1
	scratch_load_dwordx4 v[200:203], v198, off
	ds_read_b128 v[204:207], v7
	v_add_u32_e32 v6, -1, v6
	v_cmp_eq_u32_e32 vcc, 0, v6
	v_add_u32_e32 v7, 16, v7
	v_add_u32_e32 v198, 16, v198
	s_or_b64 s[10:11], vcc, s[10:11]
	s_waitcnt vmcnt(0) lgkmcnt(0)
	v_mul_f64 v[64:65], v[206:207], v[202:203]
	v_mul_f64 v[202:203], v[204:205], v[202:203]
	v_fma_f64 v[64:65], v[204:205], v[200:201], -v[64:65]
	v_fmac_f64_e32 v[202:203], v[206:207], v[200:201]
	v_add_f64 v[2:3], v[2:3], v[64:65]
	v_add_f64 v[4:5], v[4:5], v[202:203]
	s_andn2_b64 exec, exec, s[10:11]
	s_cbranch_execnz .LBB126_603
; %bb.604:
	s_or_b64 exec, exec, s[10:11]
.LBB126_605:
	s_or_b64 exec, exec, s[2:3]
.LBB126_606:
	s_or_b64 exec, exec, s[8:9]
	v_mov_b32_e32 v6, 0
	ds_read_b128 v[198:201], v6 offset:288
	s_waitcnt lgkmcnt(0)
	v_mul_f64 v[6:7], v[4:5], v[200:201]
	v_mul_f64 v[202:203], v[2:3], v[200:201]
	v_fma_f64 v[200:201], v[2:3], v[198:199], -v[6:7]
	v_fmac_f64_e32 v[202:203], v[4:5], v[198:199]
	scratch_store_dwordx4 off, v[200:203], off offset:288
.LBB126_607:
	s_or_b64 exec, exec, s[4:5]
	scratch_load_dwordx4 v[2:5], v181, off
	v_cmp_lt_u32_e64 s[2:3], 17, v0
	s_waitcnt vmcnt(0)
	ds_write_b128 v9, v[2:5]
	s_waitcnt lgkmcnt(0)
	; wave barrier
	s_waitcnt lgkmcnt(0)
	s_and_saveexec_b64 s[4:5], s[2:3]
	s_cbranch_execz .LBB126_621
; %bb.608:
	ds_read_b128 v[2:5], v9
	s_andn2_b64 vcc, exec, s[6:7]
	s_cbranch_vccnz .LBB126_610
; %bb.609:
	scratch_load_dwordx4 v[198:201], v8, off
	s_waitcnt vmcnt(0) lgkmcnt(0)
	v_mul_f64 v[64:65], v[2:3], v[200:201]
	v_mul_f64 v[6:7], v[4:5], v[200:201]
	v_fmac_f64_e32 v[64:65], v[4:5], v[198:199]
	v_fma_f64 v[2:3], v[2:3], v[198:199], -v[6:7]
	v_mov_b64_e32 v[4:5], v[64:65]
.LBB126_610:
	s_and_saveexec_b64 s[8:9], s[0:1]
	s_cbranch_execz .LBB126_620
; %bb.611:
	v_subrev_u32_e32 v7, 19, v0
	v_subrev_u32_e32 v6, 18, v0
	v_cmp_lt_u32_e32 vcc, 6, v7
	v_mov_b32_e32 v199, 18
	s_and_saveexec_b64 s[0:1], vcc
	s_cbranch_execz .LBB126_615
; %bb.612:
	v_and_b32_e32 v7, -8, v6
	s_mov_b32 s12, 0
	s_mov_b64 s[10:11], 0
	v_mov_b32_e32 v198, 0
	s_mov_b32 s13, 0
.LBB126_613:                            ; =>This Inner Loop Header: Depth=1
	v_readfirstlane_b32 s14, v198
	s_add_i32 s14, s14, s12
	s_add_i32 s15, s14, 0x120
	v_mov_b32_e32 v199, s12
	ds_read_b128 v[200:203], v199 offset:1296
	ds_read_b128 v[204:207], v199 offset:1312
	;; [unrolled: 1-line block ×4, first 2 shown]
	scratch_load_dwordx4 v[216:219], off, s15
	s_add_i32 s15, s14, 0x130
	s_addk_i32 s12, 0x80
	s_waitcnt vmcnt(0) lgkmcnt(3)
	v_mul_f64 v[64:65], v[202:203], v[218:219]
	v_fma_f64 v[64:65], v[200:201], v[216:217], -v[64:65]
	v_mul_f64 v[200:201], v[200:201], v[218:219]
	v_fmac_f64_e32 v[200:201], v[202:203], v[216:217]
	v_add_f64 v[64:65], v[2:3], v[64:65]
	v_add_f64 v[200:201], v[4:5], v[200:201]
	scratch_load_dwordx4 v[2:5], off, s15
	s_add_i32 s15, s14, 0x140
	s_waitcnt vmcnt(0) lgkmcnt(2)
	v_mul_f64 v[202:203], v[206:207], v[4:5]
	v_mul_f64 v[4:5], v[204:205], v[4:5]
	v_fmac_f64_e32 v[4:5], v[206:207], v[2:3]
	v_fma_f64 v[202:203], v[204:205], v[2:3], -v[202:203]
	v_add_f64 v[200:201], v[200:201], v[4:5]
	scratch_load_dwordx4 v[2:5], off, s15
	v_add_f64 v[64:65], v[64:65], v[202:203]
	s_add_i32 s15, s14, 0x150
	s_waitcnt vmcnt(0) lgkmcnt(1)
	v_mul_f64 v[202:203], v[210:211], v[4:5]
	v_mul_f64 v[4:5], v[208:209], v[4:5]
	v_fmac_f64_e32 v[4:5], v[210:211], v[2:3]
	v_fma_f64 v[202:203], v[208:209], v[2:3], -v[202:203]
	v_add_f64 v[200:201], v[200:201], v[4:5]
	scratch_load_dwordx4 v[2:5], off, s15
	v_add_f64 v[64:65], v[64:65], v[202:203]
	s_add_i32 s15, s14, 0x160
	s_waitcnt vmcnt(0) lgkmcnt(0)
	v_mul_f64 v[202:203], v[214:215], v[4:5]
	v_mul_f64 v[4:5], v[212:213], v[4:5]
	v_fma_f64 v[202:203], v[212:213], v[2:3], -v[202:203]
	v_fmac_f64_e32 v[4:5], v[214:215], v[2:3]
	v_add_f64 v[64:65], v[64:65], v[202:203]
	v_add_f64 v[204:205], v[200:201], v[4:5]
	scratch_load_dwordx4 v[200:203], off, s15
	ds_read_b128 v[2:5], v199 offset:1360
	s_add_i32 s15, s14, 0x170
	s_waitcnt vmcnt(0) lgkmcnt(0)
	v_mul_f64 v[206:207], v[4:5], v[202:203]
	v_fma_f64 v[206:207], v[2:3], v[200:201], -v[206:207]
	v_mul_f64 v[2:3], v[2:3], v[202:203]
	v_fmac_f64_e32 v[2:3], v[4:5], v[200:201]
	scratch_load_dwordx4 v[200:203], off, s15
	v_add_f64 v[204:205], v[204:205], v[2:3]
	ds_read_b128 v[2:5], v199 offset:1376
	v_add_f64 v[64:65], v[64:65], v[206:207]
	s_add_i32 s15, s14, 0x180
	s_addk_i32 s14, 0x190
	s_waitcnt vmcnt(0) lgkmcnt(0)
	v_mul_f64 v[206:207], v[4:5], v[202:203]
	v_fma_f64 v[206:207], v[2:3], v[200:201], -v[206:207]
	v_mul_f64 v[2:3], v[2:3], v[202:203]
	v_fmac_f64_e32 v[2:3], v[4:5], v[200:201]
	scratch_load_dwordx4 v[200:203], off, s15
	v_add_f64 v[204:205], v[204:205], v[2:3]
	ds_read_b128 v[2:5], v199 offset:1392
	v_add_f64 v[64:65], v[64:65], v[206:207]
	s_waitcnt vmcnt(0) lgkmcnt(0)
	v_mul_f64 v[206:207], v[4:5], v[202:203]
	v_fma_f64 v[206:207], v[2:3], v[200:201], -v[206:207]
	v_mul_f64 v[2:3], v[2:3], v[202:203]
	v_fmac_f64_e32 v[2:3], v[4:5], v[200:201]
	scratch_load_dwordx4 v[200:203], off, s14
	v_add_f64 v[204:205], v[204:205], v[2:3]
	ds_read_b128 v[2:5], v199 offset:1408
	v_add_f64 v[64:65], v[64:65], v[206:207]
	s_add_i32 s14, s13, 8
	v_cmp_eq_u32_e32 vcc, s14, v7
	s_add_i32 s13, s13, 26
	s_or_b64 s[10:11], vcc, s[10:11]
	v_mov_b32_e32 v199, s13
	s_mov_b32 s13, s14
	s_waitcnt vmcnt(0) lgkmcnt(0)
	v_mul_f64 v[206:207], v[4:5], v[202:203]
	v_mul_f64 v[202:203], v[2:3], v[202:203]
	v_fma_f64 v[206:207], v[2:3], v[200:201], -v[206:207]
	v_fmac_f64_e32 v[202:203], v[4:5], v[200:201]
	v_add_f64 v[2:3], v[64:65], v[206:207]
	v_add_f64 v[4:5], v[204:205], v[202:203]
	s_andn2_b64 exec, exec, s[10:11]
	s_cbranch_execnz .LBB126_613
; %bb.614:
	s_or_b64 exec, exec, s[10:11]
.LBB126_615:
	s_or_b64 exec, exec, s[0:1]
	v_and_b32_e32 v6, 7, v6
	v_cmp_ne_u32_e32 vcc, 0, v6
	s_and_saveexec_b64 s[0:1], vcc
	s_cbranch_execz .LBB126_619
; %bb.616:
	v_lshlrev_b32_e32 v64, 4, v199
	v_add_u32_e32 v7, 0x3f0, v64
	v_add_u32_e32 v198, 0, v64
	s_mov_b64 s[10:11], 0
.LBB126_617:                            ; =>This Inner Loop Header: Depth=1
	scratch_load_dwordx4 v[200:203], v198, off
	ds_read_b128 v[204:207], v7
	v_add_u32_e32 v6, -1, v6
	v_cmp_eq_u32_e32 vcc, 0, v6
	v_add_u32_e32 v7, 16, v7
	v_add_u32_e32 v198, 16, v198
	s_or_b64 s[10:11], vcc, s[10:11]
	s_waitcnt vmcnt(0) lgkmcnt(0)
	v_mul_f64 v[64:65], v[206:207], v[202:203]
	v_mul_f64 v[202:203], v[204:205], v[202:203]
	v_fma_f64 v[64:65], v[204:205], v[200:201], -v[64:65]
	v_fmac_f64_e32 v[202:203], v[206:207], v[200:201]
	v_add_f64 v[2:3], v[2:3], v[64:65]
	v_add_f64 v[4:5], v[4:5], v[202:203]
	s_andn2_b64 exec, exec, s[10:11]
	s_cbranch_execnz .LBB126_617
; %bb.618:
	s_or_b64 exec, exec, s[10:11]
.LBB126_619:
	s_or_b64 exec, exec, s[0:1]
.LBB126_620:
	s_or_b64 exec, exec, s[8:9]
	v_mov_b32_e32 v6, 0
	ds_read_b128 v[198:201], v6 offset:272
	s_waitcnt lgkmcnt(0)
	v_mul_f64 v[6:7], v[4:5], v[200:201]
	v_mul_f64 v[202:203], v[2:3], v[200:201]
	v_fma_f64 v[200:201], v[2:3], v[198:199], -v[6:7]
	v_fmac_f64_e32 v[202:203], v[4:5], v[198:199]
	scratch_store_dwordx4 off, v[200:203], off offset:272
.LBB126_621:
	s_or_b64 exec, exec, s[4:5]
	scratch_load_dwordx4 v[2:5], v182, off
	v_cmp_lt_u32_e64 s[0:1], 16, v0
	s_waitcnt vmcnt(0)
	ds_write_b128 v9, v[2:5]
	s_waitcnt lgkmcnt(0)
	; wave barrier
	s_waitcnt lgkmcnt(0)
	s_and_saveexec_b64 s[4:5], s[0:1]
	s_cbranch_execz .LBB126_635
; %bb.622:
	ds_read_b128 v[2:5], v9
	s_andn2_b64 vcc, exec, s[6:7]
	s_cbranch_vccnz .LBB126_624
; %bb.623:
	scratch_load_dwordx4 v[198:201], v8, off
	s_waitcnt vmcnt(0) lgkmcnt(0)
	v_mul_f64 v[64:65], v[2:3], v[200:201]
	v_mul_f64 v[6:7], v[4:5], v[200:201]
	v_fmac_f64_e32 v[64:65], v[4:5], v[198:199]
	v_fma_f64 v[2:3], v[2:3], v[198:199], -v[6:7]
	v_mov_b64_e32 v[4:5], v[64:65]
.LBB126_624:
	s_and_saveexec_b64 s[8:9], s[2:3]
	s_cbranch_execz .LBB126_634
; %bb.625:
	v_subrev_u32_e32 v7, 18, v0
	v_subrev_u32_e32 v6, 17, v0
	v_cmp_lt_u32_e32 vcc, 6, v7
	v_mov_b32_e32 v199, 17
	s_and_saveexec_b64 s[2:3], vcc
	s_cbranch_execz .LBB126_629
; %bb.626:
	v_and_b32_e32 v7, -8, v6
	s_mov_b32 s12, 0
	s_mov_b64 s[10:11], 0
	v_mov_b32_e32 v198, 0
	s_mov_b32 s13, 0
.LBB126_627:                            ; =>This Inner Loop Header: Depth=1
	v_readfirstlane_b32 s14, v198
	s_add_i32 s14, s14, s12
	s_add_i32 s15, s14, 0x110
	v_mov_b32_e32 v199, s12
	ds_read_b128 v[200:203], v199 offset:1280
	ds_read_b128 v[204:207], v199 offset:1296
	;; [unrolled: 1-line block ×4, first 2 shown]
	scratch_load_dwordx4 v[216:219], off, s15
	s_add_i32 s15, s14, 0x120
	s_addk_i32 s12, 0x80
	s_waitcnt vmcnt(0) lgkmcnt(3)
	v_mul_f64 v[64:65], v[202:203], v[218:219]
	v_fma_f64 v[64:65], v[200:201], v[216:217], -v[64:65]
	v_mul_f64 v[200:201], v[200:201], v[218:219]
	v_fmac_f64_e32 v[200:201], v[202:203], v[216:217]
	v_add_f64 v[64:65], v[2:3], v[64:65]
	v_add_f64 v[200:201], v[4:5], v[200:201]
	scratch_load_dwordx4 v[2:5], off, s15
	s_add_i32 s15, s14, 0x130
	s_waitcnt vmcnt(0) lgkmcnt(2)
	v_mul_f64 v[202:203], v[206:207], v[4:5]
	v_mul_f64 v[4:5], v[204:205], v[4:5]
	v_fmac_f64_e32 v[4:5], v[206:207], v[2:3]
	v_fma_f64 v[202:203], v[204:205], v[2:3], -v[202:203]
	v_add_f64 v[200:201], v[200:201], v[4:5]
	scratch_load_dwordx4 v[2:5], off, s15
	v_add_f64 v[64:65], v[64:65], v[202:203]
	s_add_i32 s15, s14, 0x140
	s_waitcnt vmcnt(0) lgkmcnt(1)
	v_mul_f64 v[202:203], v[210:211], v[4:5]
	v_mul_f64 v[4:5], v[208:209], v[4:5]
	v_fmac_f64_e32 v[4:5], v[210:211], v[2:3]
	v_fma_f64 v[202:203], v[208:209], v[2:3], -v[202:203]
	v_add_f64 v[200:201], v[200:201], v[4:5]
	scratch_load_dwordx4 v[2:5], off, s15
	v_add_f64 v[64:65], v[64:65], v[202:203]
	s_add_i32 s15, s14, 0x150
	s_waitcnt vmcnt(0) lgkmcnt(0)
	v_mul_f64 v[202:203], v[214:215], v[4:5]
	v_mul_f64 v[4:5], v[212:213], v[4:5]
	v_fma_f64 v[202:203], v[212:213], v[2:3], -v[202:203]
	v_fmac_f64_e32 v[4:5], v[214:215], v[2:3]
	v_add_f64 v[64:65], v[64:65], v[202:203]
	v_add_f64 v[204:205], v[200:201], v[4:5]
	scratch_load_dwordx4 v[200:203], off, s15
	ds_read_b128 v[2:5], v199 offset:1344
	s_add_i32 s15, s14, 0x160
	s_waitcnt vmcnt(0) lgkmcnt(0)
	v_mul_f64 v[206:207], v[4:5], v[202:203]
	v_fma_f64 v[206:207], v[2:3], v[200:201], -v[206:207]
	v_mul_f64 v[2:3], v[2:3], v[202:203]
	v_fmac_f64_e32 v[2:3], v[4:5], v[200:201]
	scratch_load_dwordx4 v[200:203], off, s15
	v_add_f64 v[204:205], v[204:205], v[2:3]
	ds_read_b128 v[2:5], v199 offset:1360
	v_add_f64 v[64:65], v[64:65], v[206:207]
	s_add_i32 s15, s14, 0x170
	s_addk_i32 s14, 0x180
	s_waitcnt vmcnt(0) lgkmcnt(0)
	v_mul_f64 v[206:207], v[4:5], v[202:203]
	v_fma_f64 v[206:207], v[2:3], v[200:201], -v[206:207]
	v_mul_f64 v[2:3], v[2:3], v[202:203]
	v_fmac_f64_e32 v[2:3], v[4:5], v[200:201]
	scratch_load_dwordx4 v[200:203], off, s15
	v_add_f64 v[204:205], v[204:205], v[2:3]
	ds_read_b128 v[2:5], v199 offset:1376
	v_add_f64 v[64:65], v[64:65], v[206:207]
	s_waitcnt vmcnt(0) lgkmcnt(0)
	v_mul_f64 v[206:207], v[4:5], v[202:203]
	v_fma_f64 v[206:207], v[2:3], v[200:201], -v[206:207]
	v_mul_f64 v[2:3], v[2:3], v[202:203]
	v_fmac_f64_e32 v[2:3], v[4:5], v[200:201]
	scratch_load_dwordx4 v[200:203], off, s14
	v_add_f64 v[204:205], v[204:205], v[2:3]
	ds_read_b128 v[2:5], v199 offset:1392
	v_add_f64 v[64:65], v[64:65], v[206:207]
	s_add_i32 s14, s13, 8
	v_cmp_eq_u32_e32 vcc, s14, v7
	s_add_i32 s13, s13, 25
	s_or_b64 s[10:11], vcc, s[10:11]
	v_mov_b32_e32 v199, s13
	s_mov_b32 s13, s14
	s_waitcnt vmcnt(0) lgkmcnt(0)
	v_mul_f64 v[206:207], v[4:5], v[202:203]
	v_mul_f64 v[202:203], v[2:3], v[202:203]
	v_fma_f64 v[206:207], v[2:3], v[200:201], -v[206:207]
	v_fmac_f64_e32 v[202:203], v[4:5], v[200:201]
	v_add_f64 v[2:3], v[64:65], v[206:207]
	v_add_f64 v[4:5], v[204:205], v[202:203]
	s_andn2_b64 exec, exec, s[10:11]
	s_cbranch_execnz .LBB126_627
; %bb.628:
	s_or_b64 exec, exec, s[10:11]
.LBB126_629:
	s_or_b64 exec, exec, s[2:3]
	v_and_b32_e32 v6, 7, v6
	v_cmp_ne_u32_e32 vcc, 0, v6
	s_and_saveexec_b64 s[2:3], vcc
	s_cbranch_execz .LBB126_633
; %bb.630:
	v_lshlrev_b32_e32 v64, 4, v199
	v_add_u32_e32 v7, 0x3f0, v64
	v_add_u32_e32 v198, 0, v64
	s_mov_b64 s[10:11], 0
.LBB126_631:                            ; =>This Inner Loop Header: Depth=1
	scratch_load_dwordx4 v[200:203], v198, off
	ds_read_b128 v[204:207], v7
	v_add_u32_e32 v6, -1, v6
	v_cmp_eq_u32_e32 vcc, 0, v6
	v_add_u32_e32 v7, 16, v7
	v_add_u32_e32 v198, 16, v198
	s_or_b64 s[10:11], vcc, s[10:11]
	s_waitcnt vmcnt(0) lgkmcnt(0)
	v_mul_f64 v[64:65], v[206:207], v[202:203]
	v_mul_f64 v[202:203], v[204:205], v[202:203]
	v_fma_f64 v[64:65], v[204:205], v[200:201], -v[64:65]
	v_fmac_f64_e32 v[202:203], v[206:207], v[200:201]
	v_add_f64 v[2:3], v[2:3], v[64:65]
	v_add_f64 v[4:5], v[4:5], v[202:203]
	s_andn2_b64 exec, exec, s[10:11]
	s_cbranch_execnz .LBB126_631
; %bb.632:
	s_or_b64 exec, exec, s[10:11]
.LBB126_633:
	s_or_b64 exec, exec, s[2:3]
.LBB126_634:
	s_or_b64 exec, exec, s[8:9]
	v_mov_b32_e32 v6, 0
	ds_read_b128 v[198:201], v6 offset:256
	s_waitcnt lgkmcnt(0)
	v_mul_f64 v[6:7], v[4:5], v[200:201]
	v_mul_f64 v[202:203], v[2:3], v[200:201]
	v_fma_f64 v[200:201], v[2:3], v[198:199], -v[6:7]
	v_fmac_f64_e32 v[202:203], v[4:5], v[198:199]
	scratch_store_dwordx4 off, v[200:203], off offset:256
.LBB126_635:
	s_or_b64 exec, exec, s[4:5]
	scratch_load_dwordx4 v[2:5], v183, off
	v_cmp_lt_u32_e64 s[2:3], 15, v0
	s_waitcnt vmcnt(0)
	ds_write_b128 v9, v[2:5]
	s_waitcnt lgkmcnt(0)
	; wave barrier
	s_waitcnt lgkmcnt(0)
	s_and_saveexec_b64 s[4:5], s[2:3]
	s_cbranch_execz .LBB126_649
; %bb.636:
	ds_read_b128 v[2:5], v9
	s_andn2_b64 vcc, exec, s[6:7]
	s_cbranch_vccnz .LBB126_638
; %bb.637:
	scratch_load_dwordx4 v[198:201], v8, off
	s_waitcnt vmcnt(0) lgkmcnt(0)
	v_mul_f64 v[64:65], v[2:3], v[200:201]
	v_mul_f64 v[6:7], v[4:5], v[200:201]
	v_fmac_f64_e32 v[64:65], v[4:5], v[198:199]
	v_fma_f64 v[2:3], v[2:3], v[198:199], -v[6:7]
	v_mov_b64_e32 v[4:5], v[64:65]
.LBB126_638:
	s_and_saveexec_b64 s[8:9], s[0:1]
	s_cbranch_execz .LBB126_648
; %bb.639:
	v_subrev_u32_e32 v6, 17, v0
	v_cmp_lt_u32_e32 vcc, 6, v6
	v_mov_b32_e32 v6, 16
	s_and_saveexec_b64 s[0:1], vcc
	s_cbranch_execz .LBB126_643
; %bb.640:
	v_and_b32_e32 v6, 56, v0
	s_mov_b32 s12, 16
	s_mov_b32 s13, 0
	s_mov_b64 s[10:11], 0
	v_mov_b32_e32 v7, 0
.LBB126_641:                            ; =>This Inner Loop Header: Depth=1
	s_nop 0
	v_readfirstlane_b32 s14, v7
	s_add_i32 s14, s14, s13
	s_add_i32 s15, s14, 0x100
	v_mov_b32_e32 v218, s13
	ds_read_b128 v[198:201], v218 offset:1264
	ds_read_b128 v[202:205], v218 offset:1280
	;; [unrolled: 1-line block ×4, first 2 shown]
	scratch_load_dwordx4 v[214:217], off, s15
	s_add_i32 s15, s14, 0x110
	s_add_i32 s12, s12, 8
	s_addk_i32 s13, 0x80
	v_cmp_eq_u32_e32 vcc, s12, v6
	s_waitcnt vmcnt(0) lgkmcnt(3)
	v_mul_f64 v[64:65], v[200:201], v[216:217]
	v_fma_f64 v[64:65], v[198:199], v[214:215], -v[64:65]
	v_mul_f64 v[198:199], v[198:199], v[216:217]
	v_fmac_f64_e32 v[198:199], v[200:201], v[214:215]
	v_add_f64 v[64:65], v[2:3], v[64:65]
	v_add_f64 v[198:199], v[4:5], v[198:199]
	scratch_load_dwordx4 v[2:5], off, s15
	s_add_i32 s15, s14, 0x120
	s_waitcnt vmcnt(0) lgkmcnt(2)
	v_mul_f64 v[200:201], v[204:205], v[4:5]
	v_mul_f64 v[4:5], v[202:203], v[4:5]
	v_fmac_f64_e32 v[4:5], v[204:205], v[2:3]
	v_fma_f64 v[200:201], v[202:203], v[2:3], -v[200:201]
	v_add_f64 v[198:199], v[198:199], v[4:5]
	scratch_load_dwordx4 v[2:5], off, s15
	v_add_f64 v[64:65], v[64:65], v[200:201]
	s_add_i32 s15, s14, 0x130
	s_waitcnt vmcnt(0) lgkmcnt(1)
	v_mul_f64 v[200:201], v[208:209], v[4:5]
	v_mul_f64 v[4:5], v[206:207], v[4:5]
	v_fmac_f64_e32 v[4:5], v[208:209], v[2:3]
	v_fma_f64 v[200:201], v[206:207], v[2:3], -v[200:201]
	v_add_f64 v[198:199], v[198:199], v[4:5]
	scratch_load_dwordx4 v[2:5], off, s15
	v_add_f64 v[64:65], v[64:65], v[200:201]
	s_add_i32 s15, s14, 0x140
	s_waitcnt vmcnt(0) lgkmcnt(0)
	v_mul_f64 v[200:201], v[212:213], v[4:5]
	v_mul_f64 v[4:5], v[210:211], v[4:5]
	v_fma_f64 v[200:201], v[210:211], v[2:3], -v[200:201]
	v_fmac_f64_e32 v[4:5], v[212:213], v[2:3]
	v_add_f64 v[64:65], v[64:65], v[200:201]
	v_add_f64 v[202:203], v[198:199], v[4:5]
	scratch_load_dwordx4 v[198:201], off, s15
	ds_read_b128 v[2:5], v218 offset:1328
	s_add_i32 s15, s14, 0x150
	s_waitcnt vmcnt(0) lgkmcnt(0)
	v_mul_f64 v[204:205], v[4:5], v[200:201]
	v_fma_f64 v[204:205], v[2:3], v[198:199], -v[204:205]
	v_mul_f64 v[2:3], v[2:3], v[200:201]
	v_fmac_f64_e32 v[2:3], v[4:5], v[198:199]
	scratch_load_dwordx4 v[198:201], off, s15
	v_add_f64 v[202:203], v[202:203], v[2:3]
	ds_read_b128 v[2:5], v218 offset:1344
	v_add_f64 v[64:65], v[64:65], v[204:205]
	s_add_i32 s15, s14, 0x160
	s_addk_i32 s14, 0x170
	s_or_b64 s[10:11], vcc, s[10:11]
	s_waitcnt vmcnt(0) lgkmcnt(0)
	v_mul_f64 v[204:205], v[4:5], v[200:201]
	v_fma_f64 v[204:205], v[2:3], v[198:199], -v[204:205]
	v_mul_f64 v[2:3], v[2:3], v[200:201]
	v_fmac_f64_e32 v[2:3], v[4:5], v[198:199]
	scratch_load_dwordx4 v[198:201], off, s15
	v_add_f64 v[202:203], v[202:203], v[2:3]
	ds_read_b128 v[2:5], v218 offset:1360
	v_add_f64 v[64:65], v[64:65], v[204:205]
	s_waitcnt vmcnt(0) lgkmcnt(0)
	v_mul_f64 v[204:205], v[4:5], v[200:201]
	v_fma_f64 v[204:205], v[2:3], v[198:199], -v[204:205]
	v_mul_f64 v[2:3], v[2:3], v[200:201]
	v_fmac_f64_e32 v[2:3], v[4:5], v[198:199]
	scratch_load_dwordx4 v[198:201], off, s14
	v_add_f64 v[202:203], v[202:203], v[2:3]
	ds_read_b128 v[2:5], v218 offset:1376
	v_add_f64 v[64:65], v[64:65], v[204:205]
	s_waitcnt vmcnt(0) lgkmcnt(0)
	v_mul_f64 v[204:205], v[4:5], v[200:201]
	v_mul_f64 v[200:201], v[2:3], v[200:201]
	v_fma_f64 v[204:205], v[2:3], v[198:199], -v[204:205]
	v_fmac_f64_e32 v[200:201], v[4:5], v[198:199]
	v_add_f64 v[2:3], v[64:65], v[204:205]
	v_add_f64 v[4:5], v[202:203], v[200:201]
	s_andn2_b64 exec, exec, s[10:11]
	s_cbranch_execnz .LBB126_641
; %bb.642:
	s_or_b64 exec, exec, s[10:11]
.LBB126_643:
	s_or_b64 exec, exec, s[0:1]
	v_and_b32_e32 v7, 7, v0
	v_cmp_ne_u32_e32 vcc, 0, v7
	s_and_saveexec_b64 s[0:1], vcc
	s_cbranch_execz .LBB126_647
; %bb.644:
	v_lshlrev_b32_e32 v64, 4, v6
	v_add_u32_e32 v6, 0x3f0, v64
	v_add_u32_e32 v198, 0, v64
	s_mov_b64 s[10:11], 0
.LBB126_645:                            ; =>This Inner Loop Header: Depth=1
	scratch_load_dwordx4 v[200:203], v198, off
	ds_read_b128 v[204:207], v6
	v_add_u32_e32 v7, -1, v7
	v_cmp_eq_u32_e32 vcc, 0, v7
	v_add_u32_e32 v6, 16, v6
	v_add_u32_e32 v198, 16, v198
	s_or_b64 s[10:11], vcc, s[10:11]
	s_waitcnt vmcnt(0) lgkmcnt(0)
	v_mul_f64 v[64:65], v[206:207], v[202:203]
	v_mul_f64 v[202:203], v[204:205], v[202:203]
	v_fma_f64 v[64:65], v[204:205], v[200:201], -v[64:65]
	v_fmac_f64_e32 v[202:203], v[206:207], v[200:201]
	v_add_f64 v[2:3], v[2:3], v[64:65]
	v_add_f64 v[4:5], v[4:5], v[202:203]
	s_andn2_b64 exec, exec, s[10:11]
	s_cbranch_execnz .LBB126_645
; %bb.646:
	s_or_b64 exec, exec, s[10:11]
.LBB126_647:
	s_or_b64 exec, exec, s[0:1]
.LBB126_648:
	s_or_b64 exec, exec, s[8:9]
	v_mov_b32_e32 v6, 0
	ds_read_b128 v[198:201], v6 offset:240
	s_waitcnt lgkmcnt(0)
	v_mul_f64 v[6:7], v[4:5], v[200:201]
	v_mul_f64 v[202:203], v[2:3], v[200:201]
	v_fma_f64 v[200:201], v[2:3], v[198:199], -v[6:7]
	v_fmac_f64_e32 v[202:203], v[4:5], v[198:199]
	scratch_store_dwordx4 off, v[200:203], off offset:240
.LBB126_649:
	s_or_b64 exec, exec, s[4:5]
	scratch_load_dwordx4 v[2:5], v184, off
	v_cmp_lt_u32_e64 s[0:1], 14, v0
	s_waitcnt vmcnt(0)
	ds_write_b128 v9, v[2:5]
	s_waitcnt lgkmcnt(0)
	; wave barrier
	s_waitcnt lgkmcnt(0)
	s_and_saveexec_b64 s[4:5], s[0:1]
	s_cbranch_execz .LBB126_663
; %bb.650:
	ds_read_b128 v[2:5], v9
	s_andn2_b64 vcc, exec, s[6:7]
	s_cbranch_vccnz .LBB126_652
; %bb.651:
	scratch_load_dwordx4 v[198:201], v8, off
	s_waitcnt vmcnt(0) lgkmcnt(0)
	v_mul_f64 v[64:65], v[2:3], v[200:201]
	v_mul_f64 v[6:7], v[4:5], v[200:201]
	v_fmac_f64_e32 v[64:65], v[4:5], v[198:199]
	v_fma_f64 v[2:3], v[2:3], v[198:199], -v[6:7]
	v_mov_b64_e32 v[4:5], v[64:65]
.LBB126_652:
	s_and_saveexec_b64 s[8:9], s[2:3]
	s_cbranch_execz .LBB126_662
; %bb.653:
	v_add_u32_e32 v7, -16, v0
	v_add_u32_e32 v6, -15, v0
	v_cmp_lt_u32_e32 vcc, 6, v7
	v_mov_b32_e32 v199, 15
	s_and_saveexec_b64 s[2:3], vcc
	s_cbranch_execz .LBB126_657
; %bb.654:
	v_and_b32_e32 v7, -8, v6
	s_mov_b32 s12, 0
	s_mov_b64 s[10:11], 0
	v_mov_b32_e32 v198, 0
	s_mov_b32 s13, 0
.LBB126_655:                            ; =>This Inner Loop Header: Depth=1
	v_readfirstlane_b32 s14, v198
	s_add_i32 s14, s14, s12
	s_add_i32 s15, s14, 0xf0
	v_mov_b32_e32 v199, s12
	ds_read_b128 v[200:203], v199 offset:1248
	ds_read_b128 v[204:207], v199 offset:1264
	;; [unrolled: 1-line block ×4, first 2 shown]
	scratch_load_dwordx4 v[216:219], off, s15
	s_add_i32 s15, s14, 0x100
	s_addk_i32 s12, 0x80
	s_waitcnt vmcnt(0) lgkmcnt(3)
	v_mul_f64 v[64:65], v[202:203], v[218:219]
	v_fma_f64 v[64:65], v[200:201], v[216:217], -v[64:65]
	v_mul_f64 v[200:201], v[200:201], v[218:219]
	v_fmac_f64_e32 v[200:201], v[202:203], v[216:217]
	v_add_f64 v[64:65], v[2:3], v[64:65]
	v_add_f64 v[200:201], v[4:5], v[200:201]
	scratch_load_dwordx4 v[2:5], off, s15
	s_add_i32 s15, s14, 0x110
	s_waitcnt vmcnt(0) lgkmcnt(2)
	v_mul_f64 v[202:203], v[206:207], v[4:5]
	v_mul_f64 v[4:5], v[204:205], v[4:5]
	v_fmac_f64_e32 v[4:5], v[206:207], v[2:3]
	v_fma_f64 v[202:203], v[204:205], v[2:3], -v[202:203]
	v_add_f64 v[200:201], v[200:201], v[4:5]
	scratch_load_dwordx4 v[2:5], off, s15
	v_add_f64 v[64:65], v[64:65], v[202:203]
	s_add_i32 s15, s14, 0x120
	s_waitcnt vmcnt(0) lgkmcnt(1)
	v_mul_f64 v[202:203], v[210:211], v[4:5]
	v_mul_f64 v[4:5], v[208:209], v[4:5]
	v_fmac_f64_e32 v[4:5], v[210:211], v[2:3]
	v_fma_f64 v[202:203], v[208:209], v[2:3], -v[202:203]
	v_add_f64 v[200:201], v[200:201], v[4:5]
	scratch_load_dwordx4 v[2:5], off, s15
	v_add_f64 v[64:65], v[64:65], v[202:203]
	s_add_i32 s15, s14, 0x130
	s_waitcnt vmcnt(0) lgkmcnt(0)
	v_mul_f64 v[202:203], v[214:215], v[4:5]
	v_mul_f64 v[4:5], v[212:213], v[4:5]
	v_fma_f64 v[202:203], v[212:213], v[2:3], -v[202:203]
	v_fmac_f64_e32 v[4:5], v[214:215], v[2:3]
	v_add_f64 v[64:65], v[64:65], v[202:203]
	v_add_f64 v[204:205], v[200:201], v[4:5]
	scratch_load_dwordx4 v[200:203], off, s15
	ds_read_b128 v[2:5], v199 offset:1312
	s_add_i32 s15, s14, 0x140
	s_waitcnt vmcnt(0) lgkmcnt(0)
	v_mul_f64 v[206:207], v[4:5], v[202:203]
	v_fma_f64 v[206:207], v[2:3], v[200:201], -v[206:207]
	v_mul_f64 v[2:3], v[2:3], v[202:203]
	v_fmac_f64_e32 v[2:3], v[4:5], v[200:201]
	scratch_load_dwordx4 v[200:203], off, s15
	v_add_f64 v[204:205], v[204:205], v[2:3]
	ds_read_b128 v[2:5], v199 offset:1328
	v_add_f64 v[64:65], v[64:65], v[206:207]
	s_add_i32 s15, s14, 0x150
	s_addk_i32 s14, 0x160
	s_waitcnt vmcnt(0) lgkmcnt(0)
	v_mul_f64 v[206:207], v[4:5], v[202:203]
	v_fma_f64 v[206:207], v[2:3], v[200:201], -v[206:207]
	v_mul_f64 v[2:3], v[2:3], v[202:203]
	v_fmac_f64_e32 v[2:3], v[4:5], v[200:201]
	scratch_load_dwordx4 v[200:203], off, s15
	v_add_f64 v[204:205], v[204:205], v[2:3]
	ds_read_b128 v[2:5], v199 offset:1344
	v_add_f64 v[64:65], v[64:65], v[206:207]
	s_waitcnt vmcnt(0) lgkmcnt(0)
	v_mul_f64 v[206:207], v[4:5], v[202:203]
	v_fma_f64 v[206:207], v[2:3], v[200:201], -v[206:207]
	v_mul_f64 v[2:3], v[2:3], v[202:203]
	v_fmac_f64_e32 v[2:3], v[4:5], v[200:201]
	scratch_load_dwordx4 v[200:203], off, s14
	v_add_f64 v[204:205], v[204:205], v[2:3]
	ds_read_b128 v[2:5], v199 offset:1360
	v_add_f64 v[64:65], v[64:65], v[206:207]
	s_add_i32 s14, s13, 8
	v_cmp_eq_u32_e32 vcc, s14, v7
	s_add_i32 s13, s13, 23
	s_or_b64 s[10:11], vcc, s[10:11]
	v_mov_b32_e32 v199, s13
	s_mov_b32 s13, s14
	s_waitcnt vmcnt(0) lgkmcnt(0)
	v_mul_f64 v[206:207], v[4:5], v[202:203]
	v_mul_f64 v[202:203], v[2:3], v[202:203]
	v_fma_f64 v[206:207], v[2:3], v[200:201], -v[206:207]
	v_fmac_f64_e32 v[202:203], v[4:5], v[200:201]
	v_add_f64 v[2:3], v[64:65], v[206:207]
	v_add_f64 v[4:5], v[204:205], v[202:203]
	s_andn2_b64 exec, exec, s[10:11]
	s_cbranch_execnz .LBB126_655
; %bb.656:
	s_or_b64 exec, exec, s[10:11]
.LBB126_657:
	s_or_b64 exec, exec, s[2:3]
	v_and_b32_e32 v6, 7, v6
	v_cmp_ne_u32_e32 vcc, 0, v6
	s_and_saveexec_b64 s[2:3], vcc
	s_cbranch_execz .LBB126_661
; %bb.658:
	v_lshlrev_b32_e32 v64, 4, v199
	v_add_u32_e32 v7, 0x3f0, v64
	v_add_u32_e32 v198, 0, v64
	s_mov_b64 s[10:11], 0
.LBB126_659:                            ; =>This Inner Loop Header: Depth=1
	scratch_load_dwordx4 v[200:203], v198, off
	ds_read_b128 v[204:207], v7
	v_add_u32_e32 v6, -1, v6
	v_cmp_eq_u32_e32 vcc, 0, v6
	v_add_u32_e32 v7, 16, v7
	v_add_u32_e32 v198, 16, v198
	s_or_b64 s[10:11], vcc, s[10:11]
	s_waitcnt vmcnt(0) lgkmcnt(0)
	v_mul_f64 v[64:65], v[206:207], v[202:203]
	v_mul_f64 v[202:203], v[204:205], v[202:203]
	v_fma_f64 v[64:65], v[204:205], v[200:201], -v[64:65]
	v_fmac_f64_e32 v[202:203], v[206:207], v[200:201]
	v_add_f64 v[2:3], v[2:3], v[64:65]
	v_add_f64 v[4:5], v[4:5], v[202:203]
	s_andn2_b64 exec, exec, s[10:11]
	s_cbranch_execnz .LBB126_659
; %bb.660:
	s_or_b64 exec, exec, s[10:11]
.LBB126_661:
	s_or_b64 exec, exec, s[2:3]
.LBB126_662:
	s_or_b64 exec, exec, s[8:9]
	v_mov_b32_e32 v6, 0
	ds_read_b128 v[198:201], v6 offset:224
	s_waitcnt lgkmcnt(0)
	v_mul_f64 v[6:7], v[4:5], v[200:201]
	v_mul_f64 v[202:203], v[2:3], v[200:201]
	v_fma_f64 v[200:201], v[2:3], v[198:199], -v[6:7]
	v_fmac_f64_e32 v[202:203], v[4:5], v[198:199]
	scratch_store_dwordx4 off, v[200:203], off offset:224
.LBB126_663:
	s_or_b64 exec, exec, s[4:5]
	scratch_load_dwordx4 v[2:5], v185, off
	v_cmp_lt_u32_e64 s[2:3], 13, v0
	s_waitcnt vmcnt(0)
	ds_write_b128 v9, v[2:5]
	s_waitcnt lgkmcnt(0)
	; wave barrier
	s_waitcnt lgkmcnt(0)
	s_and_saveexec_b64 s[4:5], s[2:3]
	s_cbranch_execz .LBB126_677
; %bb.664:
	ds_read_b128 v[2:5], v9
	s_andn2_b64 vcc, exec, s[6:7]
	s_cbranch_vccnz .LBB126_666
; %bb.665:
	scratch_load_dwordx4 v[198:201], v8, off
	s_waitcnt vmcnt(0) lgkmcnt(0)
	v_mul_f64 v[64:65], v[2:3], v[200:201]
	v_mul_f64 v[6:7], v[4:5], v[200:201]
	v_fmac_f64_e32 v[64:65], v[4:5], v[198:199]
	v_fma_f64 v[2:3], v[2:3], v[198:199], -v[6:7]
	v_mov_b64_e32 v[4:5], v[64:65]
.LBB126_666:
	s_and_saveexec_b64 s[8:9], s[0:1]
	s_cbranch_execz .LBB126_676
; %bb.667:
	v_add_u32_e32 v7, -15, v0
	v_add_u32_e32 v6, -14, v0
	v_cmp_lt_u32_e32 vcc, 6, v7
	v_mov_b32_e32 v199, 14
	s_and_saveexec_b64 s[0:1], vcc
	s_cbranch_execz .LBB126_671
; %bb.668:
	v_and_b32_e32 v7, -8, v6
	s_mov_b32 s12, 0
	s_mov_b64 s[10:11], 0
	v_mov_b32_e32 v198, 0
	s_mov_b32 s13, 0
.LBB126_669:                            ; =>This Inner Loop Header: Depth=1
	v_readfirstlane_b32 s14, v198
	s_add_i32 s14, s14, s12
	s_add_i32 s15, s14, 0xe0
	v_mov_b32_e32 v199, s12
	ds_read_b128 v[200:203], v199 offset:1232
	ds_read_b128 v[204:207], v199 offset:1248
	;; [unrolled: 1-line block ×4, first 2 shown]
	scratch_load_dwordx4 v[216:219], off, s15
	s_add_i32 s15, s14, 0xf0
	s_addk_i32 s12, 0x80
	s_waitcnt vmcnt(0) lgkmcnt(3)
	v_mul_f64 v[64:65], v[202:203], v[218:219]
	v_fma_f64 v[64:65], v[200:201], v[216:217], -v[64:65]
	v_mul_f64 v[200:201], v[200:201], v[218:219]
	v_fmac_f64_e32 v[200:201], v[202:203], v[216:217]
	v_add_f64 v[64:65], v[2:3], v[64:65]
	v_add_f64 v[200:201], v[4:5], v[200:201]
	scratch_load_dwordx4 v[2:5], off, s15
	s_add_i32 s15, s14, 0x100
	s_waitcnt vmcnt(0) lgkmcnt(2)
	v_mul_f64 v[202:203], v[206:207], v[4:5]
	v_mul_f64 v[4:5], v[204:205], v[4:5]
	v_fmac_f64_e32 v[4:5], v[206:207], v[2:3]
	v_fma_f64 v[202:203], v[204:205], v[2:3], -v[202:203]
	v_add_f64 v[200:201], v[200:201], v[4:5]
	scratch_load_dwordx4 v[2:5], off, s15
	v_add_f64 v[64:65], v[64:65], v[202:203]
	s_add_i32 s15, s14, 0x110
	s_waitcnt vmcnt(0) lgkmcnt(1)
	v_mul_f64 v[202:203], v[210:211], v[4:5]
	v_mul_f64 v[4:5], v[208:209], v[4:5]
	v_fmac_f64_e32 v[4:5], v[210:211], v[2:3]
	v_fma_f64 v[202:203], v[208:209], v[2:3], -v[202:203]
	v_add_f64 v[200:201], v[200:201], v[4:5]
	scratch_load_dwordx4 v[2:5], off, s15
	v_add_f64 v[64:65], v[64:65], v[202:203]
	s_add_i32 s15, s14, 0x120
	s_waitcnt vmcnt(0) lgkmcnt(0)
	v_mul_f64 v[202:203], v[214:215], v[4:5]
	v_mul_f64 v[4:5], v[212:213], v[4:5]
	v_fma_f64 v[202:203], v[212:213], v[2:3], -v[202:203]
	v_fmac_f64_e32 v[4:5], v[214:215], v[2:3]
	v_add_f64 v[64:65], v[64:65], v[202:203]
	v_add_f64 v[204:205], v[200:201], v[4:5]
	scratch_load_dwordx4 v[200:203], off, s15
	ds_read_b128 v[2:5], v199 offset:1296
	s_add_i32 s15, s14, 0x130
	s_waitcnt vmcnt(0) lgkmcnt(0)
	v_mul_f64 v[206:207], v[4:5], v[202:203]
	v_fma_f64 v[206:207], v[2:3], v[200:201], -v[206:207]
	v_mul_f64 v[2:3], v[2:3], v[202:203]
	v_fmac_f64_e32 v[2:3], v[4:5], v[200:201]
	scratch_load_dwordx4 v[200:203], off, s15
	v_add_f64 v[204:205], v[204:205], v[2:3]
	ds_read_b128 v[2:5], v199 offset:1312
	v_add_f64 v[64:65], v[64:65], v[206:207]
	s_add_i32 s15, s14, 0x140
	s_addk_i32 s14, 0x150
	s_waitcnt vmcnt(0) lgkmcnt(0)
	v_mul_f64 v[206:207], v[4:5], v[202:203]
	v_fma_f64 v[206:207], v[2:3], v[200:201], -v[206:207]
	v_mul_f64 v[2:3], v[2:3], v[202:203]
	v_fmac_f64_e32 v[2:3], v[4:5], v[200:201]
	scratch_load_dwordx4 v[200:203], off, s15
	v_add_f64 v[204:205], v[204:205], v[2:3]
	ds_read_b128 v[2:5], v199 offset:1328
	v_add_f64 v[64:65], v[64:65], v[206:207]
	s_waitcnt vmcnt(0) lgkmcnt(0)
	v_mul_f64 v[206:207], v[4:5], v[202:203]
	v_fma_f64 v[206:207], v[2:3], v[200:201], -v[206:207]
	v_mul_f64 v[2:3], v[2:3], v[202:203]
	v_fmac_f64_e32 v[2:3], v[4:5], v[200:201]
	scratch_load_dwordx4 v[200:203], off, s14
	v_add_f64 v[204:205], v[204:205], v[2:3]
	ds_read_b128 v[2:5], v199 offset:1344
	v_add_f64 v[64:65], v[64:65], v[206:207]
	s_add_i32 s14, s13, 8
	v_cmp_eq_u32_e32 vcc, s14, v7
	s_add_i32 s13, s13, 22
	s_or_b64 s[10:11], vcc, s[10:11]
	v_mov_b32_e32 v199, s13
	s_mov_b32 s13, s14
	s_waitcnt vmcnt(0) lgkmcnt(0)
	v_mul_f64 v[206:207], v[4:5], v[202:203]
	v_mul_f64 v[202:203], v[2:3], v[202:203]
	v_fma_f64 v[206:207], v[2:3], v[200:201], -v[206:207]
	v_fmac_f64_e32 v[202:203], v[4:5], v[200:201]
	v_add_f64 v[2:3], v[64:65], v[206:207]
	v_add_f64 v[4:5], v[204:205], v[202:203]
	s_andn2_b64 exec, exec, s[10:11]
	s_cbranch_execnz .LBB126_669
; %bb.670:
	s_or_b64 exec, exec, s[10:11]
.LBB126_671:
	s_or_b64 exec, exec, s[0:1]
	v_and_b32_e32 v6, 7, v6
	v_cmp_ne_u32_e32 vcc, 0, v6
	s_and_saveexec_b64 s[0:1], vcc
	s_cbranch_execz .LBB126_675
; %bb.672:
	v_lshlrev_b32_e32 v64, 4, v199
	v_add_u32_e32 v7, 0x3f0, v64
	v_add_u32_e32 v198, 0, v64
	s_mov_b64 s[10:11], 0
.LBB126_673:                            ; =>This Inner Loop Header: Depth=1
	scratch_load_dwordx4 v[200:203], v198, off
	ds_read_b128 v[204:207], v7
	v_add_u32_e32 v6, -1, v6
	v_cmp_eq_u32_e32 vcc, 0, v6
	v_add_u32_e32 v7, 16, v7
	v_add_u32_e32 v198, 16, v198
	s_or_b64 s[10:11], vcc, s[10:11]
	s_waitcnt vmcnt(0) lgkmcnt(0)
	v_mul_f64 v[64:65], v[206:207], v[202:203]
	v_mul_f64 v[202:203], v[204:205], v[202:203]
	v_fma_f64 v[64:65], v[204:205], v[200:201], -v[64:65]
	v_fmac_f64_e32 v[202:203], v[206:207], v[200:201]
	v_add_f64 v[2:3], v[2:3], v[64:65]
	v_add_f64 v[4:5], v[4:5], v[202:203]
	s_andn2_b64 exec, exec, s[10:11]
	s_cbranch_execnz .LBB126_673
; %bb.674:
	s_or_b64 exec, exec, s[10:11]
.LBB126_675:
	s_or_b64 exec, exec, s[0:1]
.LBB126_676:
	s_or_b64 exec, exec, s[8:9]
	v_mov_b32_e32 v6, 0
	ds_read_b128 v[198:201], v6 offset:208
	s_waitcnt lgkmcnt(0)
	v_mul_f64 v[6:7], v[4:5], v[200:201]
	v_mul_f64 v[202:203], v[2:3], v[200:201]
	v_fma_f64 v[200:201], v[2:3], v[198:199], -v[6:7]
	v_fmac_f64_e32 v[202:203], v[4:5], v[198:199]
	scratch_store_dwordx4 off, v[200:203], off offset:208
.LBB126_677:
	s_or_b64 exec, exec, s[4:5]
	scratch_load_dwordx4 v[2:5], v186, off
	v_cmp_lt_u32_e64 s[0:1], 12, v0
	s_waitcnt vmcnt(0)
	ds_write_b128 v9, v[2:5]
	s_waitcnt lgkmcnt(0)
	; wave barrier
	s_waitcnt lgkmcnt(0)
	s_and_saveexec_b64 s[4:5], s[0:1]
	s_cbranch_execz .LBB126_691
; %bb.678:
	ds_read_b128 v[2:5], v9
	s_andn2_b64 vcc, exec, s[6:7]
	s_cbranch_vccnz .LBB126_680
; %bb.679:
	scratch_load_dwordx4 v[198:201], v8, off
	s_waitcnt vmcnt(0) lgkmcnt(0)
	v_mul_f64 v[64:65], v[2:3], v[200:201]
	v_mul_f64 v[6:7], v[4:5], v[200:201]
	v_fmac_f64_e32 v[64:65], v[4:5], v[198:199]
	v_fma_f64 v[2:3], v[2:3], v[198:199], -v[6:7]
	v_mov_b64_e32 v[4:5], v[64:65]
.LBB126_680:
	s_and_saveexec_b64 s[8:9], s[2:3]
	s_cbranch_execz .LBB126_690
; %bb.681:
	v_add_u32_e32 v7, -14, v0
	v_add_u32_e32 v6, -13, v0
	v_cmp_lt_u32_e32 vcc, 6, v7
	v_mov_b32_e32 v199, 13
	s_and_saveexec_b64 s[2:3], vcc
	s_cbranch_execz .LBB126_685
; %bb.682:
	v_and_b32_e32 v7, -8, v6
	s_mov_b32 s12, 0
	s_mov_b64 s[10:11], 0
	v_mov_b32_e32 v198, 0
	s_mov_b32 s13, 0
.LBB126_683:                            ; =>This Inner Loop Header: Depth=1
	v_readfirstlane_b32 s14, v198
	s_add_i32 s14, s14, s12
	s_add_i32 s15, s14, 0xd0
	v_mov_b32_e32 v199, s12
	ds_read_b128 v[200:203], v199 offset:1216
	ds_read_b128 v[204:207], v199 offset:1232
	;; [unrolled: 1-line block ×4, first 2 shown]
	scratch_load_dwordx4 v[216:219], off, s15
	s_add_i32 s15, s14, 0xe0
	s_addk_i32 s12, 0x80
	s_waitcnt vmcnt(0) lgkmcnt(3)
	v_mul_f64 v[64:65], v[202:203], v[218:219]
	v_fma_f64 v[64:65], v[200:201], v[216:217], -v[64:65]
	v_mul_f64 v[200:201], v[200:201], v[218:219]
	v_fmac_f64_e32 v[200:201], v[202:203], v[216:217]
	v_add_f64 v[64:65], v[2:3], v[64:65]
	v_add_f64 v[200:201], v[4:5], v[200:201]
	scratch_load_dwordx4 v[2:5], off, s15
	s_add_i32 s15, s14, 0xf0
	s_waitcnt vmcnt(0) lgkmcnt(2)
	v_mul_f64 v[202:203], v[206:207], v[4:5]
	v_mul_f64 v[4:5], v[204:205], v[4:5]
	v_fmac_f64_e32 v[4:5], v[206:207], v[2:3]
	v_fma_f64 v[202:203], v[204:205], v[2:3], -v[202:203]
	v_add_f64 v[200:201], v[200:201], v[4:5]
	scratch_load_dwordx4 v[2:5], off, s15
	v_add_f64 v[64:65], v[64:65], v[202:203]
	s_add_i32 s15, s14, 0x100
	s_waitcnt vmcnt(0) lgkmcnt(1)
	v_mul_f64 v[202:203], v[210:211], v[4:5]
	v_mul_f64 v[4:5], v[208:209], v[4:5]
	v_fmac_f64_e32 v[4:5], v[210:211], v[2:3]
	v_fma_f64 v[202:203], v[208:209], v[2:3], -v[202:203]
	v_add_f64 v[200:201], v[200:201], v[4:5]
	scratch_load_dwordx4 v[2:5], off, s15
	v_add_f64 v[64:65], v[64:65], v[202:203]
	s_add_i32 s15, s14, 0x110
	s_waitcnt vmcnt(0) lgkmcnt(0)
	v_mul_f64 v[202:203], v[214:215], v[4:5]
	v_mul_f64 v[4:5], v[212:213], v[4:5]
	v_fma_f64 v[202:203], v[212:213], v[2:3], -v[202:203]
	v_fmac_f64_e32 v[4:5], v[214:215], v[2:3]
	v_add_f64 v[64:65], v[64:65], v[202:203]
	v_add_f64 v[204:205], v[200:201], v[4:5]
	scratch_load_dwordx4 v[200:203], off, s15
	ds_read_b128 v[2:5], v199 offset:1280
	s_add_i32 s15, s14, 0x120
	s_waitcnt vmcnt(0) lgkmcnt(0)
	v_mul_f64 v[206:207], v[4:5], v[202:203]
	v_fma_f64 v[206:207], v[2:3], v[200:201], -v[206:207]
	v_mul_f64 v[2:3], v[2:3], v[202:203]
	v_fmac_f64_e32 v[2:3], v[4:5], v[200:201]
	scratch_load_dwordx4 v[200:203], off, s15
	v_add_f64 v[204:205], v[204:205], v[2:3]
	ds_read_b128 v[2:5], v199 offset:1296
	v_add_f64 v[64:65], v[64:65], v[206:207]
	s_add_i32 s15, s14, 0x130
	s_addk_i32 s14, 0x140
	s_waitcnt vmcnt(0) lgkmcnt(0)
	v_mul_f64 v[206:207], v[4:5], v[202:203]
	v_fma_f64 v[206:207], v[2:3], v[200:201], -v[206:207]
	v_mul_f64 v[2:3], v[2:3], v[202:203]
	v_fmac_f64_e32 v[2:3], v[4:5], v[200:201]
	scratch_load_dwordx4 v[200:203], off, s15
	v_add_f64 v[204:205], v[204:205], v[2:3]
	ds_read_b128 v[2:5], v199 offset:1312
	v_add_f64 v[64:65], v[64:65], v[206:207]
	s_waitcnt vmcnt(0) lgkmcnt(0)
	v_mul_f64 v[206:207], v[4:5], v[202:203]
	v_fma_f64 v[206:207], v[2:3], v[200:201], -v[206:207]
	v_mul_f64 v[2:3], v[2:3], v[202:203]
	v_fmac_f64_e32 v[2:3], v[4:5], v[200:201]
	scratch_load_dwordx4 v[200:203], off, s14
	v_add_f64 v[204:205], v[204:205], v[2:3]
	ds_read_b128 v[2:5], v199 offset:1328
	v_add_f64 v[64:65], v[64:65], v[206:207]
	s_add_i32 s14, s13, 8
	v_cmp_eq_u32_e32 vcc, s14, v7
	s_add_i32 s13, s13, 21
	s_or_b64 s[10:11], vcc, s[10:11]
	v_mov_b32_e32 v199, s13
	s_mov_b32 s13, s14
	s_waitcnt vmcnt(0) lgkmcnt(0)
	v_mul_f64 v[206:207], v[4:5], v[202:203]
	v_mul_f64 v[202:203], v[2:3], v[202:203]
	v_fma_f64 v[206:207], v[2:3], v[200:201], -v[206:207]
	v_fmac_f64_e32 v[202:203], v[4:5], v[200:201]
	v_add_f64 v[2:3], v[64:65], v[206:207]
	v_add_f64 v[4:5], v[204:205], v[202:203]
	s_andn2_b64 exec, exec, s[10:11]
	s_cbranch_execnz .LBB126_683
; %bb.684:
	s_or_b64 exec, exec, s[10:11]
.LBB126_685:
	s_or_b64 exec, exec, s[2:3]
	v_and_b32_e32 v6, 7, v6
	v_cmp_ne_u32_e32 vcc, 0, v6
	s_and_saveexec_b64 s[2:3], vcc
	s_cbranch_execz .LBB126_689
; %bb.686:
	v_lshlrev_b32_e32 v64, 4, v199
	v_add_u32_e32 v7, 0x3f0, v64
	v_add_u32_e32 v198, 0, v64
	s_mov_b64 s[10:11], 0
.LBB126_687:                            ; =>This Inner Loop Header: Depth=1
	scratch_load_dwordx4 v[200:203], v198, off
	ds_read_b128 v[204:207], v7
	v_add_u32_e32 v6, -1, v6
	v_cmp_eq_u32_e32 vcc, 0, v6
	v_add_u32_e32 v7, 16, v7
	v_add_u32_e32 v198, 16, v198
	s_or_b64 s[10:11], vcc, s[10:11]
	s_waitcnt vmcnt(0) lgkmcnt(0)
	v_mul_f64 v[64:65], v[206:207], v[202:203]
	v_mul_f64 v[202:203], v[204:205], v[202:203]
	v_fma_f64 v[64:65], v[204:205], v[200:201], -v[64:65]
	v_fmac_f64_e32 v[202:203], v[206:207], v[200:201]
	v_add_f64 v[2:3], v[2:3], v[64:65]
	v_add_f64 v[4:5], v[4:5], v[202:203]
	s_andn2_b64 exec, exec, s[10:11]
	s_cbranch_execnz .LBB126_687
; %bb.688:
	s_or_b64 exec, exec, s[10:11]
.LBB126_689:
	s_or_b64 exec, exec, s[2:3]
.LBB126_690:
	s_or_b64 exec, exec, s[8:9]
	v_mov_b32_e32 v6, 0
	ds_read_b128 v[198:201], v6 offset:192
	s_waitcnt lgkmcnt(0)
	v_mul_f64 v[6:7], v[4:5], v[200:201]
	v_mul_f64 v[202:203], v[2:3], v[200:201]
	v_fma_f64 v[200:201], v[2:3], v[198:199], -v[6:7]
	v_fmac_f64_e32 v[202:203], v[4:5], v[198:199]
	scratch_store_dwordx4 off, v[200:203], off offset:192
.LBB126_691:
	s_or_b64 exec, exec, s[4:5]
	scratch_load_dwordx4 v[2:5], v187, off
	v_cmp_lt_u32_e64 s[2:3], 11, v0
	s_waitcnt vmcnt(0)
	ds_write_b128 v9, v[2:5]
	s_waitcnt lgkmcnt(0)
	; wave barrier
	s_waitcnt lgkmcnt(0)
	s_and_saveexec_b64 s[4:5], s[2:3]
	s_cbranch_execz .LBB126_705
; %bb.692:
	ds_read_b128 v[2:5], v9
	s_andn2_b64 vcc, exec, s[6:7]
	s_cbranch_vccnz .LBB126_694
; %bb.693:
	scratch_load_dwordx4 v[198:201], v8, off
	s_waitcnt vmcnt(0) lgkmcnt(0)
	v_mul_f64 v[64:65], v[2:3], v[200:201]
	v_mul_f64 v[6:7], v[4:5], v[200:201]
	v_fmac_f64_e32 v[64:65], v[4:5], v[198:199]
	v_fma_f64 v[2:3], v[2:3], v[198:199], -v[6:7]
	v_mov_b64_e32 v[4:5], v[64:65]
.LBB126_694:
	s_and_saveexec_b64 s[8:9], s[0:1]
	s_cbranch_execz .LBB126_704
; %bb.695:
	v_add_u32_e32 v7, -13, v0
	v_add_u32_e32 v6, -12, v0
	v_cmp_lt_u32_e32 vcc, 6, v7
	v_mov_b32_e32 v199, 12
	s_and_saveexec_b64 s[0:1], vcc
	s_cbranch_execz .LBB126_699
; %bb.696:
	v_and_b32_e32 v7, -8, v6
	s_mov_b32 s12, 0
	s_mov_b64 s[10:11], 0
	v_mov_b32_e32 v198, 0
	s_mov_b32 s13, 0
.LBB126_697:                            ; =>This Inner Loop Header: Depth=1
	v_readfirstlane_b32 s14, v198
	s_add_i32 s14, s14, s12
	s_add_i32 s15, s14, 0xc0
	v_mov_b32_e32 v199, s12
	ds_read_b128 v[200:203], v199 offset:1200
	ds_read_b128 v[204:207], v199 offset:1216
	;; [unrolled: 1-line block ×4, first 2 shown]
	scratch_load_dwordx4 v[216:219], off, s15
	s_add_i32 s15, s14, 0xd0
	s_addk_i32 s12, 0x80
	s_waitcnt vmcnt(0) lgkmcnt(3)
	v_mul_f64 v[64:65], v[202:203], v[218:219]
	v_fma_f64 v[64:65], v[200:201], v[216:217], -v[64:65]
	v_mul_f64 v[200:201], v[200:201], v[218:219]
	v_fmac_f64_e32 v[200:201], v[202:203], v[216:217]
	v_add_f64 v[64:65], v[2:3], v[64:65]
	v_add_f64 v[200:201], v[4:5], v[200:201]
	scratch_load_dwordx4 v[2:5], off, s15
	s_add_i32 s15, s14, 0xe0
	s_waitcnt vmcnt(0) lgkmcnt(2)
	v_mul_f64 v[202:203], v[206:207], v[4:5]
	v_mul_f64 v[4:5], v[204:205], v[4:5]
	v_fmac_f64_e32 v[4:5], v[206:207], v[2:3]
	v_fma_f64 v[202:203], v[204:205], v[2:3], -v[202:203]
	v_add_f64 v[200:201], v[200:201], v[4:5]
	scratch_load_dwordx4 v[2:5], off, s15
	v_add_f64 v[64:65], v[64:65], v[202:203]
	s_add_i32 s15, s14, 0xf0
	s_waitcnt vmcnt(0) lgkmcnt(1)
	v_mul_f64 v[202:203], v[210:211], v[4:5]
	v_mul_f64 v[4:5], v[208:209], v[4:5]
	v_fmac_f64_e32 v[4:5], v[210:211], v[2:3]
	v_fma_f64 v[202:203], v[208:209], v[2:3], -v[202:203]
	v_add_f64 v[200:201], v[200:201], v[4:5]
	scratch_load_dwordx4 v[2:5], off, s15
	v_add_f64 v[64:65], v[64:65], v[202:203]
	s_add_i32 s15, s14, 0x100
	s_waitcnt vmcnt(0) lgkmcnt(0)
	v_mul_f64 v[202:203], v[214:215], v[4:5]
	v_mul_f64 v[4:5], v[212:213], v[4:5]
	v_fma_f64 v[202:203], v[212:213], v[2:3], -v[202:203]
	v_fmac_f64_e32 v[4:5], v[214:215], v[2:3]
	v_add_f64 v[64:65], v[64:65], v[202:203]
	v_add_f64 v[204:205], v[200:201], v[4:5]
	scratch_load_dwordx4 v[200:203], off, s15
	ds_read_b128 v[2:5], v199 offset:1264
	s_add_i32 s15, s14, 0x110
	s_waitcnt vmcnt(0) lgkmcnt(0)
	v_mul_f64 v[206:207], v[4:5], v[202:203]
	v_fma_f64 v[206:207], v[2:3], v[200:201], -v[206:207]
	v_mul_f64 v[2:3], v[2:3], v[202:203]
	v_fmac_f64_e32 v[2:3], v[4:5], v[200:201]
	scratch_load_dwordx4 v[200:203], off, s15
	v_add_f64 v[204:205], v[204:205], v[2:3]
	ds_read_b128 v[2:5], v199 offset:1280
	v_add_f64 v[64:65], v[64:65], v[206:207]
	s_add_i32 s15, s14, 0x120
	s_addk_i32 s14, 0x130
	s_waitcnt vmcnt(0) lgkmcnt(0)
	v_mul_f64 v[206:207], v[4:5], v[202:203]
	v_fma_f64 v[206:207], v[2:3], v[200:201], -v[206:207]
	v_mul_f64 v[2:3], v[2:3], v[202:203]
	v_fmac_f64_e32 v[2:3], v[4:5], v[200:201]
	scratch_load_dwordx4 v[200:203], off, s15
	v_add_f64 v[204:205], v[204:205], v[2:3]
	ds_read_b128 v[2:5], v199 offset:1296
	v_add_f64 v[64:65], v[64:65], v[206:207]
	s_waitcnt vmcnt(0) lgkmcnt(0)
	v_mul_f64 v[206:207], v[4:5], v[202:203]
	v_fma_f64 v[206:207], v[2:3], v[200:201], -v[206:207]
	v_mul_f64 v[2:3], v[2:3], v[202:203]
	v_fmac_f64_e32 v[2:3], v[4:5], v[200:201]
	scratch_load_dwordx4 v[200:203], off, s14
	v_add_f64 v[204:205], v[204:205], v[2:3]
	ds_read_b128 v[2:5], v199 offset:1312
	v_add_f64 v[64:65], v[64:65], v[206:207]
	s_add_i32 s14, s13, 8
	v_cmp_eq_u32_e32 vcc, s14, v7
	s_add_i32 s13, s13, 20
	s_or_b64 s[10:11], vcc, s[10:11]
	v_mov_b32_e32 v199, s13
	s_mov_b32 s13, s14
	s_waitcnt vmcnt(0) lgkmcnt(0)
	v_mul_f64 v[206:207], v[4:5], v[202:203]
	v_mul_f64 v[202:203], v[2:3], v[202:203]
	v_fma_f64 v[206:207], v[2:3], v[200:201], -v[206:207]
	v_fmac_f64_e32 v[202:203], v[4:5], v[200:201]
	v_add_f64 v[2:3], v[64:65], v[206:207]
	v_add_f64 v[4:5], v[204:205], v[202:203]
	s_andn2_b64 exec, exec, s[10:11]
	s_cbranch_execnz .LBB126_697
; %bb.698:
	s_or_b64 exec, exec, s[10:11]
.LBB126_699:
	s_or_b64 exec, exec, s[0:1]
	v_and_b32_e32 v6, 7, v6
	v_cmp_ne_u32_e32 vcc, 0, v6
	s_and_saveexec_b64 s[0:1], vcc
	s_cbranch_execz .LBB126_703
; %bb.700:
	v_lshlrev_b32_e32 v64, 4, v199
	v_add_u32_e32 v7, 0x3f0, v64
	v_add_u32_e32 v198, 0, v64
	s_mov_b64 s[10:11], 0
.LBB126_701:                            ; =>This Inner Loop Header: Depth=1
	scratch_load_dwordx4 v[200:203], v198, off
	ds_read_b128 v[204:207], v7
	v_add_u32_e32 v6, -1, v6
	v_cmp_eq_u32_e32 vcc, 0, v6
	v_add_u32_e32 v7, 16, v7
	v_add_u32_e32 v198, 16, v198
	s_or_b64 s[10:11], vcc, s[10:11]
	s_waitcnt vmcnt(0) lgkmcnt(0)
	v_mul_f64 v[64:65], v[206:207], v[202:203]
	v_mul_f64 v[202:203], v[204:205], v[202:203]
	v_fma_f64 v[64:65], v[204:205], v[200:201], -v[64:65]
	v_fmac_f64_e32 v[202:203], v[206:207], v[200:201]
	v_add_f64 v[2:3], v[2:3], v[64:65]
	v_add_f64 v[4:5], v[4:5], v[202:203]
	s_andn2_b64 exec, exec, s[10:11]
	s_cbranch_execnz .LBB126_701
; %bb.702:
	s_or_b64 exec, exec, s[10:11]
.LBB126_703:
	s_or_b64 exec, exec, s[0:1]
.LBB126_704:
	s_or_b64 exec, exec, s[8:9]
	v_mov_b32_e32 v6, 0
	ds_read_b128 v[198:201], v6 offset:176
	s_waitcnt lgkmcnt(0)
	v_mul_f64 v[6:7], v[4:5], v[200:201]
	v_mul_f64 v[202:203], v[2:3], v[200:201]
	v_fma_f64 v[200:201], v[2:3], v[198:199], -v[6:7]
	v_fmac_f64_e32 v[202:203], v[4:5], v[198:199]
	scratch_store_dwordx4 off, v[200:203], off offset:176
.LBB126_705:
	s_or_b64 exec, exec, s[4:5]
	scratch_load_dwordx4 v[2:5], v188, off
	v_cmp_lt_u32_e64 s[0:1], 10, v0
	s_waitcnt vmcnt(0)
	ds_write_b128 v9, v[2:5]
	s_waitcnt lgkmcnt(0)
	; wave barrier
	s_waitcnt lgkmcnt(0)
	s_and_saveexec_b64 s[4:5], s[0:1]
	s_cbranch_execz .LBB126_719
; %bb.706:
	ds_read_b128 v[2:5], v9
	s_andn2_b64 vcc, exec, s[6:7]
	s_cbranch_vccnz .LBB126_708
; %bb.707:
	scratch_load_dwordx4 v[198:201], v8, off
	s_waitcnt vmcnt(0) lgkmcnt(0)
	v_mul_f64 v[64:65], v[2:3], v[200:201]
	v_mul_f64 v[6:7], v[4:5], v[200:201]
	v_fmac_f64_e32 v[64:65], v[4:5], v[198:199]
	v_fma_f64 v[2:3], v[2:3], v[198:199], -v[6:7]
	v_mov_b64_e32 v[4:5], v[64:65]
.LBB126_708:
	s_and_saveexec_b64 s[8:9], s[2:3]
	s_cbranch_execz .LBB126_718
; %bb.709:
	v_add_u32_e32 v7, -12, v0
	v_add_u32_e32 v6, -11, v0
	v_cmp_lt_u32_e32 vcc, 6, v7
	v_mov_b32_e32 v199, 11
	s_and_saveexec_b64 s[2:3], vcc
	s_cbranch_execz .LBB126_713
; %bb.710:
	v_and_b32_e32 v7, -8, v6
	s_mov_b32 s12, 0
	s_mov_b64 s[10:11], 0
	v_mov_b32_e32 v198, 0
	s_mov_b32 s13, 0
.LBB126_711:                            ; =>This Inner Loop Header: Depth=1
	v_readfirstlane_b32 s14, v198
	s_add_i32 s14, s14, s12
	s_add_i32 s15, s14, 0xb0
	v_mov_b32_e32 v199, s12
	ds_read_b128 v[200:203], v199 offset:1184
	ds_read_b128 v[204:207], v199 offset:1200
	;; [unrolled: 1-line block ×4, first 2 shown]
	scratch_load_dwordx4 v[216:219], off, s15
	s_add_i32 s15, s14, 0xc0
	s_addk_i32 s12, 0x80
	s_waitcnt vmcnt(0) lgkmcnt(3)
	v_mul_f64 v[64:65], v[202:203], v[218:219]
	v_fma_f64 v[64:65], v[200:201], v[216:217], -v[64:65]
	v_mul_f64 v[200:201], v[200:201], v[218:219]
	v_fmac_f64_e32 v[200:201], v[202:203], v[216:217]
	v_add_f64 v[64:65], v[2:3], v[64:65]
	v_add_f64 v[200:201], v[4:5], v[200:201]
	scratch_load_dwordx4 v[2:5], off, s15
	s_add_i32 s15, s14, 0xd0
	s_waitcnt vmcnt(0) lgkmcnt(2)
	v_mul_f64 v[202:203], v[206:207], v[4:5]
	v_mul_f64 v[4:5], v[204:205], v[4:5]
	v_fmac_f64_e32 v[4:5], v[206:207], v[2:3]
	v_fma_f64 v[202:203], v[204:205], v[2:3], -v[202:203]
	v_add_f64 v[200:201], v[200:201], v[4:5]
	scratch_load_dwordx4 v[2:5], off, s15
	v_add_f64 v[64:65], v[64:65], v[202:203]
	s_add_i32 s15, s14, 0xe0
	s_waitcnt vmcnt(0) lgkmcnt(1)
	v_mul_f64 v[202:203], v[210:211], v[4:5]
	v_mul_f64 v[4:5], v[208:209], v[4:5]
	v_fmac_f64_e32 v[4:5], v[210:211], v[2:3]
	v_fma_f64 v[202:203], v[208:209], v[2:3], -v[202:203]
	v_add_f64 v[200:201], v[200:201], v[4:5]
	scratch_load_dwordx4 v[2:5], off, s15
	v_add_f64 v[64:65], v[64:65], v[202:203]
	s_add_i32 s15, s14, 0xf0
	s_waitcnt vmcnt(0) lgkmcnt(0)
	v_mul_f64 v[202:203], v[214:215], v[4:5]
	v_mul_f64 v[4:5], v[212:213], v[4:5]
	v_fma_f64 v[202:203], v[212:213], v[2:3], -v[202:203]
	v_fmac_f64_e32 v[4:5], v[214:215], v[2:3]
	v_add_f64 v[64:65], v[64:65], v[202:203]
	v_add_f64 v[204:205], v[200:201], v[4:5]
	scratch_load_dwordx4 v[200:203], off, s15
	ds_read_b128 v[2:5], v199 offset:1248
	s_add_i32 s15, s14, 0x100
	s_waitcnt vmcnt(0) lgkmcnt(0)
	v_mul_f64 v[206:207], v[4:5], v[202:203]
	v_fma_f64 v[206:207], v[2:3], v[200:201], -v[206:207]
	v_mul_f64 v[2:3], v[2:3], v[202:203]
	v_fmac_f64_e32 v[2:3], v[4:5], v[200:201]
	scratch_load_dwordx4 v[200:203], off, s15
	v_add_f64 v[204:205], v[204:205], v[2:3]
	ds_read_b128 v[2:5], v199 offset:1264
	v_add_f64 v[64:65], v[64:65], v[206:207]
	s_add_i32 s15, s14, 0x110
	s_addk_i32 s14, 0x120
	s_waitcnt vmcnt(0) lgkmcnt(0)
	v_mul_f64 v[206:207], v[4:5], v[202:203]
	v_fma_f64 v[206:207], v[2:3], v[200:201], -v[206:207]
	v_mul_f64 v[2:3], v[2:3], v[202:203]
	v_fmac_f64_e32 v[2:3], v[4:5], v[200:201]
	scratch_load_dwordx4 v[200:203], off, s15
	v_add_f64 v[204:205], v[204:205], v[2:3]
	ds_read_b128 v[2:5], v199 offset:1280
	v_add_f64 v[64:65], v[64:65], v[206:207]
	s_waitcnt vmcnt(0) lgkmcnt(0)
	v_mul_f64 v[206:207], v[4:5], v[202:203]
	v_fma_f64 v[206:207], v[2:3], v[200:201], -v[206:207]
	v_mul_f64 v[2:3], v[2:3], v[202:203]
	v_fmac_f64_e32 v[2:3], v[4:5], v[200:201]
	scratch_load_dwordx4 v[200:203], off, s14
	v_add_f64 v[204:205], v[204:205], v[2:3]
	ds_read_b128 v[2:5], v199 offset:1296
	v_add_f64 v[64:65], v[64:65], v[206:207]
	s_add_i32 s14, s13, 8
	v_cmp_eq_u32_e32 vcc, s14, v7
	s_add_i32 s13, s13, 19
	s_or_b64 s[10:11], vcc, s[10:11]
	v_mov_b32_e32 v199, s13
	s_mov_b32 s13, s14
	s_waitcnt vmcnt(0) lgkmcnt(0)
	v_mul_f64 v[206:207], v[4:5], v[202:203]
	v_mul_f64 v[202:203], v[2:3], v[202:203]
	v_fma_f64 v[206:207], v[2:3], v[200:201], -v[206:207]
	v_fmac_f64_e32 v[202:203], v[4:5], v[200:201]
	v_add_f64 v[2:3], v[64:65], v[206:207]
	v_add_f64 v[4:5], v[204:205], v[202:203]
	s_andn2_b64 exec, exec, s[10:11]
	s_cbranch_execnz .LBB126_711
; %bb.712:
	s_or_b64 exec, exec, s[10:11]
.LBB126_713:
	s_or_b64 exec, exec, s[2:3]
	v_and_b32_e32 v6, 7, v6
	v_cmp_ne_u32_e32 vcc, 0, v6
	s_and_saveexec_b64 s[2:3], vcc
	s_cbranch_execz .LBB126_717
; %bb.714:
	v_lshlrev_b32_e32 v64, 4, v199
	v_add_u32_e32 v7, 0x3f0, v64
	v_add_u32_e32 v198, 0, v64
	s_mov_b64 s[10:11], 0
.LBB126_715:                            ; =>This Inner Loop Header: Depth=1
	scratch_load_dwordx4 v[200:203], v198, off
	ds_read_b128 v[204:207], v7
	v_add_u32_e32 v6, -1, v6
	v_cmp_eq_u32_e32 vcc, 0, v6
	v_add_u32_e32 v7, 16, v7
	v_add_u32_e32 v198, 16, v198
	s_or_b64 s[10:11], vcc, s[10:11]
	s_waitcnt vmcnt(0) lgkmcnt(0)
	v_mul_f64 v[64:65], v[206:207], v[202:203]
	v_mul_f64 v[202:203], v[204:205], v[202:203]
	v_fma_f64 v[64:65], v[204:205], v[200:201], -v[64:65]
	v_fmac_f64_e32 v[202:203], v[206:207], v[200:201]
	v_add_f64 v[2:3], v[2:3], v[64:65]
	v_add_f64 v[4:5], v[4:5], v[202:203]
	s_andn2_b64 exec, exec, s[10:11]
	s_cbranch_execnz .LBB126_715
; %bb.716:
	s_or_b64 exec, exec, s[10:11]
.LBB126_717:
	s_or_b64 exec, exec, s[2:3]
.LBB126_718:
	s_or_b64 exec, exec, s[8:9]
	v_mov_b32_e32 v6, 0
	ds_read_b128 v[198:201], v6 offset:160
	s_waitcnt lgkmcnt(0)
	v_mul_f64 v[6:7], v[4:5], v[200:201]
	v_mul_f64 v[202:203], v[2:3], v[200:201]
	v_fma_f64 v[200:201], v[2:3], v[198:199], -v[6:7]
	v_fmac_f64_e32 v[202:203], v[4:5], v[198:199]
	scratch_store_dwordx4 off, v[200:203], off offset:160
.LBB126_719:
	s_or_b64 exec, exec, s[4:5]
	scratch_load_dwordx4 v[2:5], v189, off
	v_cmp_lt_u32_e64 s[2:3], 9, v0
	s_waitcnt vmcnt(0)
	ds_write_b128 v9, v[2:5]
	s_waitcnt lgkmcnt(0)
	; wave barrier
	s_waitcnt lgkmcnt(0)
	s_and_saveexec_b64 s[4:5], s[2:3]
	s_cbranch_execz .LBB126_733
; %bb.720:
	ds_read_b128 v[2:5], v9
	s_andn2_b64 vcc, exec, s[6:7]
	s_cbranch_vccnz .LBB126_722
; %bb.721:
	scratch_load_dwordx4 v[198:201], v8, off
	s_waitcnt vmcnt(0) lgkmcnt(0)
	v_mul_f64 v[64:65], v[2:3], v[200:201]
	v_mul_f64 v[6:7], v[4:5], v[200:201]
	v_fmac_f64_e32 v[64:65], v[4:5], v[198:199]
	v_fma_f64 v[2:3], v[2:3], v[198:199], -v[6:7]
	v_mov_b64_e32 v[4:5], v[64:65]
.LBB126_722:
	s_and_saveexec_b64 s[8:9], s[0:1]
	s_cbranch_execz .LBB126_732
; %bb.723:
	v_add_u32_e32 v7, -11, v0
	v_add_u32_e32 v6, -10, v0
	v_cmp_lt_u32_e32 vcc, 6, v7
	v_mov_b32_e32 v199, 10
	s_and_saveexec_b64 s[0:1], vcc
	s_cbranch_execz .LBB126_727
; %bb.724:
	v_and_b32_e32 v7, -8, v6
	s_mov_b32 s12, 0
	s_mov_b64 s[10:11], 0
	v_mov_b32_e32 v198, 0
	s_mov_b32 s13, 0
.LBB126_725:                            ; =>This Inner Loop Header: Depth=1
	v_readfirstlane_b32 s14, v198
	s_add_i32 s14, s14, s12
	s_add_i32 s15, s14, 0xa0
	v_mov_b32_e32 v199, s12
	ds_read_b128 v[200:203], v199 offset:1168
	ds_read_b128 v[204:207], v199 offset:1184
	;; [unrolled: 1-line block ×4, first 2 shown]
	scratch_load_dwordx4 v[216:219], off, s15
	s_add_i32 s15, s14, 0xb0
	s_addk_i32 s12, 0x80
	s_waitcnt vmcnt(0) lgkmcnt(3)
	v_mul_f64 v[64:65], v[202:203], v[218:219]
	v_fma_f64 v[64:65], v[200:201], v[216:217], -v[64:65]
	v_mul_f64 v[200:201], v[200:201], v[218:219]
	v_fmac_f64_e32 v[200:201], v[202:203], v[216:217]
	v_add_f64 v[64:65], v[2:3], v[64:65]
	v_add_f64 v[200:201], v[4:5], v[200:201]
	scratch_load_dwordx4 v[2:5], off, s15
	s_add_i32 s15, s14, 0xc0
	s_waitcnt vmcnt(0) lgkmcnt(2)
	v_mul_f64 v[202:203], v[206:207], v[4:5]
	v_mul_f64 v[4:5], v[204:205], v[4:5]
	v_fmac_f64_e32 v[4:5], v[206:207], v[2:3]
	v_fma_f64 v[202:203], v[204:205], v[2:3], -v[202:203]
	v_add_f64 v[200:201], v[200:201], v[4:5]
	scratch_load_dwordx4 v[2:5], off, s15
	v_add_f64 v[64:65], v[64:65], v[202:203]
	s_add_i32 s15, s14, 0xd0
	s_waitcnt vmcnt(0) lgkmcnt(1)
	v_mul_f64 v[202:203], v[210:211], v[4:5]
	v_mul_f64 v[4:5], v[208:209], v[4:5]
	v_fmac_f64_e32 v[4:5], v[210:211], v[2:3]
	v_fma_f64 v[202:203], v[208:209], v[2:3], -v[202:203]
	v_add_f64 v[200:201], v[200:201], v[4:5]
	scratch_load_dwordx4 v[2:5], off, s15
	v_add_f64 v[64:65], v[64:65], v[202:203]
	s_add_i32 s15, s14, 0xe0
	s_waitcnt vmcnt(0) lgkmcnt(0)
	v_mul_f64 v[202:203], v[214:215], v[4:5]
	v_mul_f64 v[4:5], v[212:213], v[4:5]
	v_fma_f64 v[202:203], v[212:213], v[2:3], -v[202:203]
	v_fmac_f64_e32 v[4:5], v[214:215], v[2:3]
	v_add_f64 v[64:65], v[64:65], v[202:203]
	v_add_f64 v[204:205], v[200:201], v[4:5]
	scratch_load_dwordx4 v[200:203], off, s15
	ds_read_b128 v[2:5], v199 offset:1232
	s_add_i32 s15, s14, 0xf0
	s_waitcnt vmcnt(0) lgkmcnt(0)
	v_mul_f64 v[206:207], v[4:5], v[202:203]
	v_fma_f64 v[206:207], v[2:3], v[200:201], -v[206:207]
	v_mul_f64 v[2:3], v[2:3], v[202:203]
	v_fmac_f64_e32 v[2:3], v[4:5], v[200:201]
	scratch_load_dwordx4 v[200:203], off, s15
	v_add_f64 v[204:205], v[204:205], v[2:3]
	ds_read_b128 v[2:5], v199 offset:1248
	v_add_f64 v[64:65], v[64:65], v[206:207]
	s_add_i32 s15, s14, 0x100
	s_addk_i32 s14, 0x110
	s_waitcnt vmcnt(0) lgkmcnt(0)
	v_mul_f64 v[206:207], v[4:5], v[202:203]
	v_fma_f64 v[206:207], v[2:3], v[200:201], -v[206:207]
	v_mul_f64 v[2:3], v[2:3], v[202:203]
	v_fmac_f64_e32 v[2:3], v[4:5], v[200:201]
	scratch_load_dwordx4 v[200:203], off, s15
	v_add_f64 v[204:205], v[204:205], v[2:3]
	ds_read_b128 v[2:5], v199 offset:1264
	v_add_f64 v[64:65], v[64:65], v[206:207]
	s_waitcnt vmcnt(0) lgkmcnt(0)
	v_mul_f64 v[206:207], v[4:5], v[202:203]
	v_fma_f64 v[206:207], v[2:3], v[200:201], -v[206:207]
	v_mul_f64 v[2:3], v[2:3], v[202:203]
	v_fmac_f64_e32 v[2:3], v[4:5], v[200:201]
	scratch_load_dwordx4 v[200:203], off, s14
	v_add_f64 v[204:205], v[204:205], v[2:3]
	ds_read_b128 v[2:5], v199 offset:1280
	v_add_f64 v[64:65], v[64:65], v[206:207]
	s_add_i32 s14, s13, 8
	v_cmp_eq_u32_e32 vcc, s14, v7
	s_add_i32 s13, s13, 18
	s_or_b64 s[10:11], vcc, s[10:11]
	v_mov_b32_e32 v199, s13
	s_mov_b32 s13, s14
	s_waitcnt vmcnt(0) lgkmcnt(0)
	v_mul_f64 v[206:207], v[4:5], v[202:203]
	v_mul_f64 v[202:203], v[2:3], v[202:203]
	v_fma_f64 v[206:207], v[2:3], v[200:201], -v[206:207]
	v_fmac_f64_e32 v[202:203], v[4:5], v[200:201]
	v_add_f64 v[2:3], v[64:65], v[206:207]
	v_add_f64 v[4:5], v[204:205], v[202:203]
	s_andn2_b64 exec, exec, s[10:11]
	s_cbranch_execnz .LBB126_725
; %bb.726:
	s_or_b64 exec, exec, s[10:11]
.LBB126_727:
	s_or_b64 exec, exec, s[0:1]
	v_and_b32_e32 v6, 7, v6
	v_cmp_ne_u32_e32 vcc, 0, v6
	s_and_saveexec_b64 s[0:1], vcc
	s_cbranch_execz .LBB126_731
; %bb.728:
	v_lshlrev_b32_e32 v64, 4, v199
	v_add_u32_e32 v7, 0x3f0, v64
	v_add_u32_e32 v198, 0, v64
	s_mov_b64 s[10:11], 0
.LBB126_729:                            ; =>This Inner Loop Header: Depth=1
	scratch_load_dwordx4 v[200:203], v198, off
	ds_read_b128 v[204:207], v7
	v_add_u32_e32 v6, -1, v6
	v_cmp_eq_u32_e32 vcc, 0, v6
	v_add_u32_e32 v7, 16, v7
	v_add_u32_e32 v198, 16, v198
	s_or_b64 s[10:11], vcc, s[10:11]
	s_waitcnt vmcnt(0) lgkmcnt(0)
	v_mul_f64 v[64:65], v[206:207], v[202:203]
	v_mul_f64 v[202:203], v[204:205], v[202:203]
	v_fma_f64 v[64:65], v[204:205], v[200:201], -v[64:65]
	v_fmac_f64_e32 v[202:203], v[206:207], v[200:201]
	v_add_f64 v[2:3], v[2:3], v[64:65]
	v_add_f64 v[4:5], v[4:5], v[202:203]
	s_andn2_b64 exec, exec, s[10:11]
	s_cbranch_execnz .LBB126_729
; %bb.730:
	s_or_b64 exec, exec, s[10:11]
.LBB126_731:
	s_or_b64 exec, exec, s[0:1]
.LBB126_732:
	s_or_b64 exec, exec, s[8:9]
	v_mov_b32_e32 v6, 0
	ds_read_b128 v[198:201], v6 offset:144
	s_waitcnt lgkmcnt(0)
	v_mul_f64 v[6:7], v[4:5], v[200:201]
	v_mul_f64 v[202:203], v[2:3], v[200:201]
	v_fma_f64 v[200:201], v[2:3], v[198:199], -v[6:7]
	v_fmac_f64_e32 v[202:203], v[4:5], v[198:199]
	scratch_store_dwordx4 off, v[200:203], off offset:144
.LBB126_733:
	s_or_b64 exec, exec, s[4:5]
	scratch_load_dwordx4 v[2:5], v190, off
	v_cmp_lt_u32_e64 s[0:1], 8, v0
	s_waitcnt vmcnt(0)
	ds_write_b128 v9, v[2:5]
	s_waitcnt lgkmcnt(0)
	; wave barrier
	s_waitcnt lgkmcnt(0)
	s_and_saveexec_b64 s[4:5], s[0:1]
	s_cbranch_execz .LBB126_747
; %bb.734:
	ds_read_b128 v[2:5], v9
	s_andn2_b64 vcc, exec, s[6:7]
	s_cbranch_vccnz .LBB126_736
; %bb.735:
	scratch_load_dwordx4 v[198:201], v8, off
	s_waitcnt vmcnt(0) lgkmcnt(0)
	v_mul_f64 v[64:65], v[2:3], v[200:201]
	v_mul_f64 v[6:7], v[4:5], v[200:201]
	v_fmac_f64_e32 v[64:65], v[4:5], v[198:199]
	v_fma_f64 v[2:3], v[2:3], v[198:199], -v[6:7]
	v_mov_b64_e32 v[4:5], v[64:65]
.LBB126_736:
	s_and_saveexec_b64 s[8:9], s[2:3]
	s_cbranch_execz .LBB126_746
; %bb.737:
	v_add_u32_e32 v7, -10, v0
	v_add_u32_e32 v6, -9, v0
	v_cmp_lt_u32_e32 vcc, 6, v7
	v_mov_b32_e32 v199, 9
	s_and_saveexec_b64 s[2:3], vcc
	s_cbranch_execz .LBB126_741
; %bb.738:
	v_and_b32_e32 v7, -8, v6
	s_mov_b32 s12, 0
	s_mov_b64 s[10:11], 0
	v_mov_b32_e32 v198, 0
	s_mov_b32 s13, 0
.LBB126_739:                            ; =>This Inner Loop Header: Depth=1
	v_readfirstlane_b32 s14, v198
	s_add_i32 s14, s14, s12
	s_add_i32 s15, s14, 0x90
	v_mov_b32_e32 v199, s12
	ds_read_b128 v[200:203], v199 offset:1152
	ds_read_b128 v[204:207], v199 offset:1168
	;; [unrolled: 1-line block ×4, first 2 shown]
	scratch_load_dwordx4 v[216:219], off, s15
	s_add_i32 s15, s14, 0xa0
	s_addk_i32 s12, 0x80
	s_waitcnt vmcnt(0) lgkmcnt(3)
	v_mul_f64 v[64:65], v[202:203], v[218:219]
	v_fma_f64 v[64:65], v[200:201], v[216:217], -v[64:65]
	v_mul_f64 v[200:201], v[200:201], v[218:219]
	v_fmac_f64_e32 v[200:201], v[202:203], v[216:217]
	v_add_f64 v[64:65], v[2:3], v[64:65]
	v_add_f64 v[200:201], v[4:5], v[200:201]
	scratch_load_dwordx4 v[2:5], off, s15
	s_add_i32 s15, s14, 0xb0
	s_waitcnt vmcnt(0) lgkmcnt(2)
	v_mul_f64 v[202:203], v[206:207], v[4:5]
	v_mul_f64 v[4:5], v[204:205], v[4:5]
	v_fmac_f64_e32 v[4:5], v[206:207], v[2:3]
	v_fma_f64 v[202:203], v[204:205], v[2:3], -v[202:203]
	v_add_f64 v[200:201], v[200:201], v[4:5]
	scratch_load_dwordx4 v[2:5], off, s15
	v_add_f64 v[64:65], v[64:65], v[202:203]
	s_add_i32 s15, s14, 0xc0
	s_waitcnt vmcnt(0) lgkmcnt(1)
	v_mul_f64 v[202:203], v[210:211], v[4:5]
	v_mul_f64 v[4:5], v[208:209], v[4:5]
	v_fmac_f64_e32 v[4:5], v[210:211], v[2:3]
	v_fma_f64 v[202:203], v[208:209], v[2:3], -v[202:203]
	v_add_f64 v[200:201], v[200:201], v[4:5]
	scratch_load_dwordx4 v[2:5], off, s15
	v_add_f64 v[64:65], v[64:65], v[202:203]
	s_add_i32 s15, s14, 0xd0
	s_waitcnt vmcnt(0) lgkmcnt(0)
	v_mul_f64 v[202:203], v[214:215], v[4:5]
	v_mul_f64 v[4:5], v[212:213], v[4:5]
	v_fma_f64 v[202:203], v[212:213], v[2:3], -v[202:203]
	v_fmac_f64_e32 v[4:5], v[214:215], v[2:3]
	v_add_f64 v[64:65], v[64:65], v[202:203]
	v_add_f64 v[204:205], v[200:201], v[4:5]
	scratch_load_dwordx4 v[200:203], off, s15
	ds_read_b128 v[2:5], v199 offset:1216
	s_add_i32 s15, s14, 0xe0
	s_waitcnt vmcnt(0) lgkmcnt(0)
	v_mul_f64 v[206:207], v[4:5], v[202:203]
	v_fma_f64 v[206:207], v[2:3], v[200:201], -v[206:207]
	v_mul_f64 v[2:3], v[2:3], v[202:203]
	v_fmac_f64_e32 v[2:3], v[4:5], v[200:201]
	scratch_load_dwordx4 v[200:203], off, s15
	v_add_f64 v[204:205], v[204:205], v[2:3]
	ds_read_b128 v[2:5], v199 offset:1232
	v_add_f64 v[64:65], v[64:65], v[206:207]
	s_add_i32 s15, s14, 0xf0
	s_addk_i32 s14, 0x100
	s_waitcnt vmcnt(0) lgkmcnt(0)
	v_mul_f64 v[206:207], v[4:5], v[202:203]
	v_fma_f64 v[206:207], v[2:3], v[200:201], -v[206:207]
	v_mul_f64 v[2:3], v[2:3], v[202:203]
	v_fmac_f64_e32 v[2:3], v[4:5], v[200:201]
	scratch_load_dwordx4 v[200:203], off, s15
	v_add_f64 v[204:205], v[204:205], v[2:3]
	ds_read_b128 v[2:5], v199 offset:1248
	v_add_f64 v[64:65], v[64:65], v[206:207]
	s_waitcnt vmcnt(0) lgkmcnt(0)
	v_mul_f64 v[206:207], v[4:5], v[202:203]
	v_fma_f64 v[206:207], v[2:3], v[200:201], -v[206:207]
	v_mul_f64 v[2:3], v[2:3], v[202:203]
	v_fmac_f64_e32 v[2:3], v[4:5], v[200:201]
	scratch_load_dwordx4 v[200:203], off, s14
	v_add_f64 v[204:205], v[204:205], v[2:3]
	ds_read_b128 v[2:5], v199 offset:1264
	v_add_f64 v[64:65], v[64:65], v[206:207]
	s_add_i32 s14, s13, 8
	v_cmp_eq_u32_e32 vcc, s14, v7
	s_add_i32 s13, s13, 17
	s_or_b64 s[10:11], vcc, s[10:11]
	v_mov_b32_e32 v199, s13
	s_mov_b32 s13, s14
	s_waitcnt vmcnt(0) lgkmcnt(0)
	v_mul_f64 v[206:207], v[4:5], v[202:203]
	v_mul_f64 v[202:203], v[2:3], v[202:203]
	v_fma_f64 v[206:207], v[2:3], v[200:201], -v[206:207]
	v_fmac_f64_e32 v[202:203], v[4:5], v[200:201]
	v_add_f64 v[2:3], v[64:65], v[206:207]
	v_add_f64 v[4:5], v[204:205], v[202:203]
	s_andn2_b64 exec, exec, s[10:11]
	s_cbranch_execnz .LBB126_739
; %bb.740:
	s_or_b64 exec, exec, s[10:11]
.LBB126_741:
	s_or_b64 exec, exec, s[2:3]
	v_and_b32_e32 v6, 7, v6
	v_cmp_ne_u32_e32 vcc, 0, v6
	s_and_saveexec_b64 s[2:3], vcc
	s_cbranch_execz .LBB126_745
; %bb.742:
	v_lshlrev_b32_e32 v64, 4, v199
	v_add_u32_e32 v7, 0x3f0, v64
	v_add_u32_e32 v198, 0, v64
	s_mov_b64 s[10:11], 0
.LBB126_743:                            ; =>This Inner Loop Header: Depth=1
	scratch_load_dwordx4 v[200:203], v198, off
	ds_read_b128 v[204:207], v7
	v_add_u32_e32 v6, -1, v6
	v_cmp_eq_u32_e32 vcc, 0, v6
	v_add_u32_e32 v7, 16, v7
	v_add_u32_e32 v198, 16, v198
	s_or_b64 s[10:11], vcc, s[10:11]
	s_waitcnt vmcnt(0) lgkmcnt(0)
	v_mul_f64 v[64:65], v[206:207], v[202:203]
	v_mul_f64 v[202:203], v[204:205], v[202:203]
	v_fma_f64 v[64:65], v[204:205], v[200:201], -v[64:65]
	v_fmac_f64_e32 v[202:203], v[206:207], v[200:201]
	v_add_f64 v[2:3], v[2:3], v[64:65]
	v_add_f64 v[4:5], v[4:5], v[202:203]
	s_andn2_b64 exec, exec, s[10:11]
	s_cbranch_execnz .LBB126_743
; %bb.744:
	s_or_b64 exec, exec, s[10:11]
.LBB126_745:
	s_or_b64 exec, exec, s[2:3]
.LBB126_746:
	s_or_b64 exec, exec, s[8:9]
	v_mov_b32_e32 v6, 0
	ds_read_b128 v[198:201], v6 offset:128
	s_waitcnt lgkmcnt(0)
	v_mul_f64 v[6:7], v[4:5], v[200:201]
	v_mul_f64 v[202:203], v[2:3], v[200:201]
	v_fma_f64 v[200:201], v[2:3], v[198:199], -v[6:7]
	v_fmac_f64_e32 v[202:203], v[4:5], v[198:199]
	scratch_store_dwordx4 off, v[200:203], off offset:128
.LBB126_747:
	s_or_b64 exec, exec, s[4:5]
	scratch_load_dwordx4 v[2:5], v191, off
	v_cmp_lt_u32_e64 s[2:3], 7, v0
	s_waitcnt vmcnt(0)
	ds_write_b128 v9, v[2:5]
	s_waitcnt lgkmcnt(0)
	; wave barrier
	s_waitcnt lgkmcnt(0)
	s_and_saveexec_b64 s[4:5], s[2:3]
	s_cbranch_execz .LBB126_761
; %bb.748:
	ds_read_b128 v[2:5], v9
	s_andn2_b64 vcc, exec, s[6:7]
	s_cbranch_vccnz .LBB126_750
; %bb.749:
	scratch_load_dwordx4 v[198:201], v8, off
	s_waitcnt vmcnt(0) lgkmcnt(0)
	v_mul_f64 v[64:65], v[2:3], v[200:201]
	v_mul_f64 v[6:7], v[4:5], v[200:201]
	v_fmac_f64_e32 v[64:65], v[4:5], v[198:199]
	v_fma_f64 v[2:3], v[2:3], v[198:199], -v[6:7]
	v_mov_b64_e32 v[4:5], v[64:65]
.LBB126_750:
	s_and_saveexec_b64 s[8:9], s[0:1]
	s_cbranch_execz .LBB126_760
; %bb.751:
	v_add_u32_e32 v6, -9, v0
	v_cmp_lt_u32_e32 vcc, 6, v6
	v_mov_b32_e32 v6, 8
	s_and_saveexec_b64 s[0:1], vcc
	s_cbranch_execz .LBB126_755
; %bb.752:
	v_and_b32_e32 v6, 56, v0
	s_mov_b32 s12, 8
	s_mov_b32 s13, 0
	s_mov_b64 s[10:11], 0
	v_mov_b32_e32 v7, 0
.LBB126_753:                            ; =>This Inner Loop Header: Depth=1
	s_nop 0
	v_readfirstlane_b32 s14, v7
	s_add_i32 s14, s14, s13
	s_add_i32 s15, s14, 0x80
	v_mov_b32_e32 v218, s13
	ds_read_b128 v[198:201], v218 offset:1136
	ds_read_b128 v[202:205], v218 offset:1152
	;; [unrolled: 1-line block ×4, first 2 shown]
	scratch_load_dwordx4 v[214:217], off, s15
	s_add_i32 s15, s14, 0x90
	s_add_i32 s12, s12, 8
	s_addk_i32 s13, 0x80
	v_cmp_eq_u32_e32 vcc, s12, v6
	s_waitcnt vmcnt(0) lgkmcnt(3)
	v_mul_f64 v[64:65], v[200:201], v[216:217]
	v_fma_f64 v[64:65], v[198:199], v[214:215], -v[64:65]
	v_mul_f64 v[198:199], v[198:199], v[216:217]
	v_fmac_f64_e32 v[198:199], v[200:201], v[214:215]
	v_add_f64 v[64:65], v[2:3], v[64:65]
	v_add_f64 v[198:199], v[4:5], v[198:199]
	scratch_load_dwordx4 v[2:5], off, s15
	s_add_i32 s15, s14, 0xa0
	s_waitcnt vmcnt(0) lgkmcnt(2)
	v_mul_f64 v[200:201], v[204:205], v[4:5]
	v_mul_f64 v[4:5], v[202:203], v[4:5]
	v_fmac_f64_e32 v[4:5], v[204:205], v[2:3]
	v_fma_f64 v[200:201], v[202:203], v[2:3], -v[200:201]
	v_add_f64 v[198:199], v[198:199], v[4:5]
	scratch_load_dwordx4 v[2:5], off, s15
	v_add_f64 v[64:65], v[64:65], v[200:201]
	s_add_i32 s15, s14, 0xb0
	s_waitcnt vmcnt(0) lgkmcnt(1)
	v_mul_f64 v[200:201], v[208:209], v[4:5]
	v_mul_f64 v[4:5], v[206:207], v[4:5]
	v_fmac_f64_e32 v[4:5], v[208:209], v[2:3]
	v_fma_f64 v[200:201], v[206:207], v[2:3], -v[200:201]
	v_add_f64 v[198:199], v[198:199], v[4:5]
	scratch_load_dwordx4 v[2:5], off, s15
	v_add_f64 v[64:65], v[64:65], v[200:201]
	s_add_i32 s15, s14, 0xc0
	s_waitcnt vmcnt(0) lgkmcnt(0)
	v_mul_f64 v[200:201], v[212:213], v[4:5]
	v_mul_f64 v[4:5], v[210:211], v[4:5]
	v_fma_f64 v[200:201], v[210:211], v[2:3], -v[200:201]
	v_fmac_f64_e32 v[4:5], v[212:213], v[2:3]
	v_add_f64 v[64:65], v[64:65], v[200:201]
	v_add_f64 v[202:203], v[198:199], v[4:5]
	scratch_load_dwordx4 v[198:201], off, s15
	ds_read_b128 v[2:5], v218 offset:1200
	s_add_i32 s15, s14, 0xd0
	s_waitcnt vmcnt(0) lgkmcnt(0)
	v_mul_f64 v[204:205], v[4:5], v[200:201]
	v_fma_f64 v[204:205], v[2:3], v[198:199], -v[204:205]
	v_mul_f64 v[2:3], v[2:3], v[200:201]
	v_fmac_f64_e32 v[2:3], v[4:5], v[198:199]
	scratch_load_dwordx4 v[198:201], off, s15
	v_add_f64 v[202:203], v[202:203], v[2:3]
	ds_read_b128 v[2:5], v218 offset:1216
	v_add_f64 v[64:65], v[64:65], v[204:205]
	s_add_i32 s15, s14, 0xe0
	s_addk_i32 s14, 0xf0
	s_or_b64 s[10:11], vcc, s[10:11]
	s_waitcnt vmcnt(0) lgkmcnt(0)
	v_mul_f64 v[204:205], v[4:5], v[200:201]
	v_fma_f64 v[204:205], v[2:3], v[198:199], -v[204:205]
	v_mul_f64 v[2:3], v[2:3], v[200:201]
	v_fmac_f64_e32 v[2:3], v[4:5], v[198:199]
	scratch_load_dwordx4 v[198:201], off, s15
	v_add_f64 v[202:203], v[202:203], v[2:3]
	ds_read_b128 v[2:5], v218 offset:1232
	v_add_f64 v[64:65], v[64:65], v[204:205]
	s_waitcnt vmcnt(0) lgkmcnt(0)
	v_mul_f64 v[204:205], v[4:5], v[200:201]
	v_fma_f64 v[204:205], v[2:3], v[198:199], -v[204:205]
	v_mul_f64 v[2:3], v[2:3], v[200:201]
	v_fmac_f64_e32 v[2:3], v[4:5], v[198:199]
	scratch_load_dwordx4 v[198:201], off, s14
	v_add_f64 v[202:203], v[202:203], v[2:3]
	ds_read_b128 v[2:5], v218 offset:1248
	v_add_f64 v[64:65], v[64:65], v[204:205]
	s_waitcnt vmcnt(0) lgkmcnt(0)
	v_mul_f64 v[204:205], v[4:5], v[200:201]
	v_mul_f64 v[200:201], v[2:3], v[200:201]
	v_fma_f64 v[204:205], v[2:3], v[198:199], -v[204:205]
	v_fmac_f64_e32 v[200:201], v[4:5], v[198:199]
	v_add_f64 v[2:3], v[64:65], v[204:205]
	v_add_f64 v[4:5], v[202:203], v[200:201]
	s_andn2_b64 exec, exec, s[10:11]
	s_cbranch_execnz .LBB126_753
; %bb.754:
	s_or_b64 exec, exec, s[10:11]
.LBB126_755:
	s_or_b64 exec, exec, s[0:1]
	v_and_b32_e32 v7, 7, v0
	v_cmp_ne_u32_e32 vcc, 0, v7
	s_and_saveexec_b64 s[0:1], vcc
	s_cbranch_execz .LBB126_759
; %bb.756:
	v_lshlrev_b32_e32 v64, 4, v6
	v_add_u32_e32 v6, 0x3f0, v64
	v_add_u32_e32 v198, 0, v64
	s_mov_b64 s[10:11], 0
.LBB126_757:                            ; =>This Inner Loop Header: Depth=1
	scratch_load_dwordx4 v[200:203], v198, off
	ds_read_b128 v[204:207], v6
	v_add_u32_e32 v7, -1, v7
	v_cmp_eq_u32_e32 vcc, 0, v7
	v_add_u32_e32 v6, 16, v6
	v_add_u32_e32 v198, 16, v198
	s_or_b64 s[10:11], vcc, s[10:11]
	s_waitcnt vmcnt(0) lgkmcnt(0)
	v_mul_f64 v[64:65], v[206:207], v[202:203]
	v_mul_f64 v[202:203], v[204:205], v[202:203]
	v_fma_f64 v[64:65], v[204:205], v[200:201], -v[64:65]
	v_fmac_f64_e32 v[202:203], v[206:207], v[200:201]
	v_add_f64 v[2:3], v[2:3], v[64:65]
	v_add_f64 v[4:5], v[4:5], v[202:203]
	s_andn2_b64 exec, exec, s[10:11]
	s_cbranch_execnz .LBB126_757
; %bb.758:
	s_or_b64 exec, exec, s[10:11]
.LBB126_759:
	s_or_b64 exec, exec, s[0:1]
.LBB126_760:
	s_or_b64 exec, exec, s[8:9]
	v_mov_b32_e32 v6, 0
	ds_read_b128 v[198:201], v6 offset:112
	s_waitcnt lgkmcnt(0)
	v_mul_f64 v[6:7], v[4:5], v[200:201]
	v_mul_f64 v[202:203], v[2:3], v[200:201]
	v_fma_f64 v[200:201], v[2:3], v[198:199], -v[6:7]
	v_fmac_f64_e32 v[202:203], v[4:5], v[198:199]
	scratch_store_dwordx4 off, v[200:203], off offset:112
.LBB126_761:
	s_or_b64 exec, exec, s[4:5]
	scratch_load_dwordx4 v[2:5], v192, off
	v_cmp_lt_u32_e64 s[0:1], 6, v0
	s_waitcnt vmcnt(0)
	ds_write_b128 v9, v[2:5]
	s_waitcnt lgkmcnt(0)
	; wave barrier
	s_waitcnt lgkmcnt(0)
	s_and_saveexec_b64 s[4:5], s[0:1]
	s_cbranch_execz .LBB126_775
; %bb.762:
	ds_read_b128 v[2:5], v9
	s_andn2_b64 vcc, exec, s[6:7]
	s_cbranch_vccnz .LBB126_764
; %bb.763:
	scratch_load_dwordx4 v[198:201], v8, off
	s_waitcnt vmcnt(0) lgkmcnt(0)
	v_mul_f64 v[64:65], v[2:3], v[200:201]
	v_mul_f64 v[6:7], v[4:5], v[200:201]
	v_fmac_f64_e32 v[64:65], v[4:5], v[198:199]
	v_fma_f64 v[2:3], v[2:3], v[198:199], -v[6:7]
	v_mov_b64_e32 v[4:5], v[64:65]
.LBB126_764:
	s_and_saveexec_b64 s[8:9], s[2:3]
	s_cbranch_execz .LBB126_774
; %bb.765:
	v_add_u32_e32 v7, -8, v0
	v_add_u32_e32 v6, -7, v0
	v_cmp_lt_u32_e32 vcc, 6, v7
	v_mov_b32_e32 v199, 7
	s_and_saveexec_b64 s[2:3], vcc
	s_cbranch_execz .LBB126_769
; %bb.766:
	v_and_b32_e32 v7, -8, v6
	s_mov_b32 s12, 0
	s_mov_b64 s[10:11], 0
	v_mov_b32_e32 v198, 0
	s_mov_b32 s13, 0
.LBB126_767:                            ; =>This Inner Loop Header: Depth=1
	v_readfirstlane_b32 s14, v198
	s_add_i32 s14, s14, s12
	s_add_i32 s15, s14, 0x70
	v_mov_b32_e32 v199, s12
	ds_read_b128 v[200:203], v199 offset:1120
	ds_read_b128 v[204:207], v199 offset:1136
	;; [unrolled: 1-line block ×4, first 2 shown]
	scratch_load_dwordx4 v[216:219], off, s15
	s_add_i32 s15, s14, 0x80
	s_addk_i32 s12, 0x80
	s_waitcnt vmcnt(0) lgkmcnt(3)
	v_mul_f64 v[64:65], v[202:203], v[218:219]
	v_fma_f64 v[64:65], v[200:201], v[216:217], -v[64:65]
	v_mul_f64 v[200:201], v[200:201], v[218:219]
	v_fmac_f64_e32 v[200:201], v[202:203], v[216:217]
	v_add_f64 v[64:65], v[2:3], v[64:65]
	v_add_f64 v[200:201], v[4:5], v[200:201]
	scratch_load_dwordx4 v[2:5], off, s15
	s_add_i32 s15, s14, 0x90
	s_waitcnt vmcnt(0) lgkmcnt(2)
	v_mul_f64 v[202:203], v[206:207], v[4:5]
	v_mul_f64 v[4:5], v[204:205], v[4:5]
	v_fmac_f64_e32 v[4:5], v[206:207], v[2:3]
	v_fma_f64 v[202:203], v[204:205], v[2:3], -v[202:203]
	v_add_f64 v[200:201], v[200:201], v[4:5]
	scratch_load_dwordx4 v[2:5], off, s15
	v_add_f64 v[64:65], v[64:65], v[202:203]
	s_add_i32 s15, s14, 0xa0
	s_waitcnt vmcnt(0) lgkmcnt(1)
	v_mul_f64 v[202:203], v[210:211], v[4:5]
	v_mul_f64 v[4:5], v[208:209], v[4:5]
	v_fmac_f64_e32 v[4:5], v[210:211], v[2:3]
	v_fma_f64 v[202:203], v[208:209], v[2:3], -v[202:203]
	v_add_f64 v[200:201], v[200:201], v[4:5]
	scratch_load_dwordx4 v[2:5], off, s15
	v_add_f64 v[64:65], v[64:65], v[202:203]
	s_add_i32 s15, s14, 0xb0
	s_waitcnt vmcnt(0) lgkmcnt(0)
	v_mul_f64 v[202:203], v[214:215], v[4:5]
	v_mul_f64 v[4:5], v[212:213], v[4:5]
	v_fma_f64 v[202:203], v[212:213], v[2:3], -v[202:203]
	v_fmac_f64_e32 v[4:5], v[214:215], v[2:3]
	v_add_f64 v[64:65], v[64:65], v[202:203]
	v_add_f64 v[204:205], v[200:201], v[4:5]
	scratch_load_dwordx4 v[200:203], off, s15
	ds_read_b128 v[2:5], v199 offset:1184
	s_add_i32 s15, s14, 0xc0
	s_waitcnt vmcnt(0) lgkmcnt(0)
	v_mul_f64 v[206:207], v[4:5], v[202:203]
	v_fma_f64 v[206:207], v[2:3], v[200:201], -v[206:207]
	v_mul_f64 v[2:3], v[2:3], v[202:203]
	v_fmac_f64_e32 v[2:3], v[4:5], v[200:201]
	scratch_load_dwordx4 v[200:203], off, s15
	v_add_f64 v[204:205], v[204:205], v[2:3]
	ds_read_b128 v[2:5], v199 offset:1200
	v_add_f64 v[64:65], v[64:65], v[206:207]
	s_add_i32 s15, s14, 0xd0
	s_addk_i32 s14, 0xe0
	s_waitcnt vmcnt(0) lgkmcnt(0)
	v_mul_f64 v[206:207], v[4:5], v[202:203]
	v_fma_f64 v[206:207], v[2:3], v[200:201], -v[206:207]
	v_mul_f64 v[2:3], v[2:3], v[202:203]
	v_fmac_f64_e32 v[2:3], v[4:5], v[200:201]
	scratch_load_dwordx4 v[200:203], off, s15
	v_add_f64 v[204:205], v[204:205], v[2:3]
	ds_read_b128 v[2:5], v199 offset:1216
	v_add_f64 v[64:65], v[64:65], v[206:207]
	s_waitcnt vmcnt(0) lgkmcnt(0)
	v_mul_f64 v[206:207], v[4:5], v[202:203]
	v_fma_f64 v[206:207], v[2:3], v[200:201], -v[206:207]
	v_mul_f64 v[2:3], v[2:3], v[202:203]
	v_fmac_f64_e32 v[2:3], v[4:5], v[200:201]
	scratch_load_dwordx4 v[200:203], off, s14
	v_add_f64 v[204:205], v[204:205], v[2:3]
	ds_read_b128 v[2:5], v199 offset:1232
	v_add_f64 v[64:65], v[64:65], v[206:207]
	s_add_i32 s14, s13, 8
	v_cmp_eq_u32_e32 vcc, s14, v7
	s_add_i32 s13, s13, 15
	s_or_b64 s[10:11], vcc, s[10:11]
	v_mov_b32_e32 v199, s13
	s_mov_b32 s13, s14
	s_waitcnt vmcnt(0) lgkmcnt(0)
	v_mul_f64 v[206:207], v[4:5], v[202:203]
	v_mul_f64 v[202:203], v[2:3], v[202:203]
	v_fma_f64 v[206:207], v[2:3], v[200:201], -v[206:207]
	v_fmac_f64_e32 v[202:203], v[4:5], v[200:201]
	v_add_f64 v[2:3], v[64:65], v[206:207]
	v_add_f64 v[4:5], v[204:205], v[202:203]
	s_andn2_b64 exec, exec, s[10:11]
	s_cbranch_execnz .LBB126_767
; %bb.768:
	s_or_b64 exec, exec, s[10:11]
.LBB126_769:
	s_or_b64 exec, exec, s[2:3]
	v_and_b32_e32 v6, 7, v6
	v_cmp_ne_u32_e32 vcc, 0, v6
	s_and_saveexec_b64 s[2:3], vcc
	s_cbranch_execz .LBB126_773
; %bb.770:
	v_lshlrev_b32_e32 v64, 4, v199
	v_add_u32_e32 v7, 0x3f0, v64
	v_add_u32_e32 v198, 0, v64
	s_mov_b64 s[10:11], 0
.LBB126_771:                            ; =>This Inner Loop Header: Depth=1
	scratch_load_dwordx4 v[200:203], v198, off
	ds_read_b128 v[204:207], v7
	v_add_u32_e32 v6, -1, v6
	v_cmp_eq_u32_e32 vcc, 0, v6
	v_add_u32_e32 v7, 16, v7
	v_add_u32_e32 v198, 16, v198
	s_or_b64 s[10:11], vcc, s[10:11]
	s_waitcnt vmcnt(0) lgkmcnt(0)
	v_mul_f64 v[64:65], v[206:207], v[202:203]
	v_mul_f64 v[202:203], v[204:205], v[202:203]
	v_fma_f64 v[64:65], v[204:205], v[200:201], -v[64:65]
	v_fmac_f64_e32 v[202:203], v[206:207], v[200:201]
	v_add_f64 v[2:3], v[2:3], v[64:65]
	v_add_f64 v[4:5], v[4:5], v[202:203]
	s_andn2_b64 exec, exec, s[10:11]
	s_cbranch_execnz .LBB126_771
; %bb.772:
	s_or_b64 exec, exec, s[10:11]
.LBB126_773:
	s_or_b64 exec, exec, s[2:3]
.LBB126_774:
	s_or_b64 exec, exec, s[8:9]
	v_mov_b32_e32 v6, 0
	ds_read_b128 v[198:201], v6 offset:96
	s_waitcnt lgkmcnt(0)
	v_mul_f64 v[6:7], v[4:5], v[200:201]
	v_mul_f64 v[202:203], v[2:3], v[200:201]
	v_fma_f64 v[200:201], v[2:3], v[198:199], -v[6:7]
	v_fmac_f64_e32 v[202:203], v[4:5], v[198:199]
	scratch_store_dwordx4 off, v[200:203], off offset:96
.LBB126_775:
	s_or_b64 exec, exec, s[4:5]
	scratch_load_dwordx4 v[2:5], v193, off
	v_cmp_lt_u32_e64 s[2:3], 5, v0
	s_waitcnt vmcnt(0)
	ds_write_b128 v9, v[2:5]
	s_waitcnt lgkmcnt(0)
	; wave barrier
	s_waitcnt lgkmcnt(0)
	s_and_saveexec_b64 s[4:5], s[2:3]
	s_cbranch_execz .LBB126_789
; %bb.776:
	ds_read_b128 v[2:5], v9
	s_andn2_b64 vcc, exec, s[6:7]
	s_cbranch_vccnz .LBB126_778
; %bb.777:
	scratch_load_dwordx4 v[198:201], v8, off
	s_waitcnt vmcnt(0) lgkmcnt(0)
	v_mul_f64 v[64:65], v[2:3], v[200:201]
	v_mul_f64 v[6:7], v[4:5], v[200:201]
	v_fmac_f64_e32 v[64:65], v[4:5], v[198:199]
	v_fma_f64 v[2:3], v[2:3], v[198:199], -v[6:7]
	v_mov_b64_e32 v[4:5], v[64:65]
.LBB126_778:
	s_and_saveexec_b64 s[8:9], s[0:1]
	s_cbranch_execz .LBB126_788
; %bb.779:
	v_add_u32_e32 v7, -7, v0
	v_add_u32_e32 v6, -6, v0
	v_cmp_lt_u32_e32 vcc, 6, v7
	v_mov_b32_e32 v199, 6
	s_and_saveexec_b64 s[0:1], vcc
	s_cbranch_execz .LBB126_783
; %bb.780:
	v_and_b32_e32 v7, -8, v6
	s_mov_b32 s12, 0
	s_mov_b64 s[10:11], 0
	v_mov_b32_e32 v198, 0
	s_mov_b32 s13, 0
.LBB126_781:                            ; =>This Inner Loop Header: Depth=1
	v_readfirstlane_b32 s14, v198
	s_add_i32 s14, s14, s12
	s_add_i32 s15, s14, 0x60
	v_mov_b32_e32 v199, s12
	ds_read_b128 v[200:203], v199 offset:1104
	ds_read_b128 v[204:207], v199 offset:1120
	;; [unrolled: 1-line block ×4, first 2 shown]
	scratch_load_dwordx4 v[216:219], off, s15
	s_add_i32 s15, s14, 0x70
	s_addk_i32 s12, 0x80
	s_waitcnt vmcnt(0) lgkmcnt(3)
	v_mul_f64 v[64:65], v[202:203], v[218:219]
	v_fma_f64 v[64:65], v[200:201], v[216:217], -v[64:65]
	v_mul_f64 v[200:201], v[200:201], v[218:219]
	v_fmac_f64_e32 v[200:201], v[202:203], v[216:217]
	v_add_f64 v[64:65], v[2:3], v[64:65]
	v_add_f64 v[200:201], v[4:5], v[200:201]
	scratch_load_dwordx4 v[2:5], off, s15
	s_add_i32 s15, s14, 0x80
	s_waitcnt vmcnt(0) lgkmcnt(2)
	v_mul_f64 v[202:203], v[206:207], v[4:5]
	v_mul_f64 v[4:5], v[204:205], v[4:5]
	v_fmac_f64_e32 v[4:5], v[206:207], v[2:3]
	v_fma_f64 v[202:203], v[204:205], v[2:3], -v[202:203]
	v_add_f64 v[200:201], v[200:201], v[4:5]
	scratch_load_dwordx4 v[2:5], off, s15
	v_add_f64 v[64:65], v[64:65], v[202:203]
	s_add_i32 s15, s14, 0x90
	s_waitcnt vmcnt(0) lgkmcnt(1)
	v_mul_f64 v[202:203], v[210:211], v[4:5]
	v_mul_f64 v[4:5], v[208:209], v[4:5]
	v_fmac_f64_e32 v[4:5], v[210:211], v[2:3]
	v_fma_f64 v[202:203], v[208:209], v[2:3], -v[202:203]
	v_add_f64 v[200:201], v[200:201], v[4:5]
	scratch_load_dwordx4 v[2:5], off, s15
	v_add_f64 v[64:65], v[64:65], v[202:203]
	s_add_i32 s15, s14, 0xa0
	s_waitcnt vmcnt(0) lgkmcnt(0)
	v_mul_f64 v[202:203], v[214:215], v[4:5]
	v_mul_f64 v[4:5], v[212:213], v[4:5]
	v_fma_f64 v[202:203], v[212:213], v[2:3], -v[202:203]
	v_fmac_f64_e32 v[4:5], v[214:215], v[2:3]
	v_add_f64 v[64:65], v[64:65], v[202:203]
	v_add_f64 v[204:205], v[200:201], v[4:5]
	scratch_load_dwordx4 v[200:203], off, s15
	ds_read_b128 v[2:5], v199 offset:1168
	s_add_i32 s15, s14, 0xb0
	s_waitcnt vmcnt(0) lgkmcnt(0)
	v_mul_f64 v[206:207], v[4:5], v[202:203]
	v_fma_f64 v[206:207], v[2:3], v[200:201], -v[206:207]
	v_mul_f64 v[2:3], v[2:3], v[202:203]
	v_fmac_f64_e32 v[2:3], v[4:5], v[200:201]
	scratch_load_dwordx4 v[200:203], off, s15
	v_add_f64 v[204:205], v[204:205], v[2:3]
	ds_read_b128 v[2:5], v199 offset:1184
	v_add_f64 v[64:65], v[64:65], v[206:207]
	s_add_i32 s15, s14, 0xc0
	s_addk_i32 s14, 0xd0
	s_waitcnt vmcnt(0) lgkmcnt(0)
	v_mul_f64 v[206:207], v[4:5], v[202:203]
	v_fma_f64 v[206:207], v[2:3], v[200:201], -v[206:207]
	v_mul_f64 v[2:3], v[2:3], v[202:203]
	v_fmac_f64_e32 v[2:3], v[4:5], v[200:201]
	scratch_load_dwordx4 v[200:203], off, s15
	v_add_f64 v[204:205], v[204:205], v[2:3]
	ds_read_b128 v[2:5], v199 offset:1200
	v_add_f64 v[64:65], v[64:65], v[206:207]
	s_waitcnt vmcnt(0) lgkmcnt(0)
	v_mul_f64 v[206:207], v[4:5], v[202:203]
	v_fma_f64 v[206:207], v[2:3], v[200:201], -v[206:207]
	v_mul_f64 v[2:3], v[2:3], v[202:203]
	v_fmac_f64_e32 v[2:3], v[4:5], v[200:201]
	scratch_load_dwordx4 v[200:203], off, s14
	v_add_f64 v[204:205], v[204:205], v[2:3]
	ds_read_b128 v[2:5], v199 offset:1216
	v_add_f64 v[64:65], v[64:65], v[206:207]
	s_add_i32 s14, s13, 8
	v_cmp_eq_u32_e32 vcc, s14, v7
	s_add_i32 s13, s13, 14
	s_or_b64 s[10:11], vcc, s[10:11]
	v_mov_b32_e32 v199, s13
	s_mov_b32 s13, s14
	s_waitcnt vmcnt(0) lgkmcnt(0)
	v_mul_f64 v[206:207], v[4:5], v[202:203]
	v_mul_f64 v[202:203], v[2:3], v[202:203]
	v_fma_f64 v[206:207], v[2:3], v[200:201], -v[206:207]
	v_fmac_f64_e32 v[202:203], v[4:5], v[200:201]
	v_add_f64 v[2:3], v[64:65], v[206:207]
	v_add_f64 v[4:5], v[204:205], v[202:203]
	s_andn2_b64 exec, exec, s[10:11]
	s_cbranch_execnz .LBB126_781
; %bb.782:
	s_or_b64 exec, exec, s[10:11]
.LBB126_783:
	s_or_b64 exec, exec, s[0:1]
	v_and_b32_e32 v6, 7, v6
	v_cmp_ne_u32_e32 vcc, 0, v6
	s_and_saveexec_b64 s[0:1], vcc
	s_cbranch_execz .LBB126_787
; %bb.784:
	v_lshlrev_b32_e32 v64, 4, v199
	v_add_u32_e32 v7, 0x3f0, v64
	v_add_u32_e32 v198, 0, v64
	s_mov_b64 s[10:11], 0
.LBB126_785:                            ; =>This Inner Loop Header: Depth=1
	scratch_load_dwordx4 v[200:203], v198, off
	ds_read_b128 v[204:207], v7
	v_add_u32_e32 v6, -1, v6
	v_cmp_eq_u32_e32 vcc, 0, v6
	v_add_u32_e32 v7, 16, v7
	v_add_u32_e32 v198, 16, v198
	s_or_b64 s[10:11], vcc, s[10:11]
	s_waitcnt vmcnt(0) lgkmcnt(0)
	v_mul_f64 v[64:65], v[206:207], v[202:203]
	v_mul_f64 v[202:203], v[204:205], v[202:203]
	v_fma_f64 v[64:65], v[204:205], v[200:201], -v[64:65]
	v_fmac_f64_e32 v[202:203], v[206:207], v[200:201]
	v_add_f64 v[2:3], v[2:3], v[64:65]
	v_add_f64 v[4:5], v[4:5], v[202:203]
	s_andn2_b64 exec, exec, s[10:11]
	s_cbranch_execnz .LBB126_785
; %bb.786:
	s_or_b64 exec, exec, s[10:11]
.LBB126_787:
	s_or_b64 exec, exec, s[0:1]
.LBB126_788:
	s_or_b64 exec, exec, s[8:9]
	v_mov_b32_e32 v6, 0
	ds_read_b128 v[198:201], v6 offset:80
	s_waitcnt lgkmcnt(0)
	v_mul_f64 v[6:7], v[4:5], v[200:201]
	v_mul_f64 v[202:203], v[2:3], v[200:201]
	v_fma_f64 v[200:201], v[2:3], v[198:199], -v[6:7]
	v_fmac_f64_e32 v[202:203], v[4:5], v[198:199]
	scratch_store_dwordx4 off, v[200:203], off offset:80
.LBB126_789:
	s_or_b64 exec, exec, s[4:5]
	scratch_load_dwordx4 v[2:5], v194, off
	v_cmp_lt_u32_e64 s[0:1], 4, v0
	s_waitcnt vmcnt(0)
	ds_write_b128 v9, v[2:5]
	s_waitcnt lgkmcnt(0)
	; wave barrier
	s_waitcnt lgkmcnt(0)
	s_and_saveexec_b64 s[4:5], s[0:1]
	s_cbranch_execz .LBB126_803
; %bb.790:
	ds_read_b128 v[2:5], v9
	s_andn2_b64 vcc, exec, s[6:7]
	s_cbranch_vccnz .LBB126_792
; %bb.791:
	scratch_load_dwordx4 v[198:201], v8, off
	s_waitcnt vmcnt(0) lgkmcnt(0)
	v_mul_f64 v[64:65], v[2:3], v[200:201]
	v_mul_f64 v[6:7], v[4:5], v[200:201]
	v_fmac_f64_e32 v[64:65], v[4:5], v[198:199]
	v_fma_f64 v[2:3], v[2:3], v[198:199], -v[6:7]
	v_mov_b64_e32 v[4:5], v[64:65]
.LBB126_792:
	s_and_saveexec_b64 s[8:9], s[2:3]
	s_cbranch_execz .LBB126_802
; %bb.793:
	v_add_u32_e32 v7, -6, v0
	v_add_u32_e32 v6, -5, v0
	v_cmp_lt_u32_e32 vcc, 6, v7
	v_mov_b32_e32 v199, 5
	s_and_saveexec_b64 s[2:3], vcc
	s_cbranch_execz .LBB126_797
; %bb.794:
	v_and_b32_e32 v7, -8, v6
	s_mov_b32 s12, 0
	s_mov_b64 s[10:11], 0
	v_mov_b32_e32 v198, 0
	s_mov_b32 s13, 0
.LBB126_795:                            ; =>This Inner Loop Header: Depth=1
	v_readfirstlane_b32 s14, v198
	s_add_i32 s14, s14, s12
	s_add_i32 s15, s14, 0x50
	v_mov_b32_e32 v199, s12
	ds_read_b128 v[200:203], v199 offset:1088
	ds_read_b128 v[204:207], v199 offset:1104
	;; [unrolled: 1-line block ×4, first 2 shown]
	scratch_load_dwordx4 v[216:219], off, s15
	s_add_i32 s15, s14, 0x60
	s_addk_i32 s12, 0x80
	s_waitcnt vmcnt(0) lgkmcnt(3)
	v_mul_f64 v[64:65], v[202:203], v[218:219]
	v_fma_f64 v[64:65], v[200:201], v[216:217], -v[64:65]
	v_mul_f64 v[200:201], v[200:201], v[218:219]
	v_fmac_f64_e32 v[200:201], v[202:203], v[216:217]
	v_add_f64 v[64:65], v[2:3], v[64:65]
	v_add_f64 v[200:201], v[4:5], v[200:201]
	scratch_load_dwordx4 v[2:5], off, s15
	s_add_i32 s15, s14, 0x70
	s_waitcnt vmcnt(0) lgkmcnt(2)
	v_mul_f64 v[202:203], v[206:207], v[4:5]
	v_mul_f64 v[4:5], v[204:205], v[4:5]
	v_fmac_f64_e32 v[4:5], v[206:207], v[2:3]
	v_fma_f64 v[202:203], v[204:205], v[2:3], -v[202:203]
	v_add_f64 v[200:201], v[200:201], v[4:5]
	scratch_load_dwordx4 v[2:5], off, s15
	v_add_f64 v[64:65], v[64:65], v[202:203]
	s_add_i32 s15, s14, 0x80
	s_waitcnt vmcnt(0) lgkmcnt(1)
	v_mul_f64 v[202:203], v[210:211], v[4:5]
	v_mul_f64 v[4:5], v[208:209], v[4:5]
	v_fmac_f64_e32 v[4:5], v[210:211], v[2:3]
	v_fma_f64 v[202:203], v[208:209], v[2:3], -v[202:203]
	v_add_f64 v[200:201], v[200:201], v[4:5]
	scratch_load_dwordx4 v[2:5], off, s15
	v_add_f64 v[64:65], v[64:65], v[202:203]
	s_add_i32 s15, s14, 0x90
	s_waitcnt vmcnt(0) lgkmcnt(0)
	v_mul_f64 v[202:203], v[214:215], v[4:5]
	v_mul_f64 v[4:5], v[212:213], v[4:5]
	v_fma_f64 v[202:203], v[212:213], v[2:3], -v[202:203]
	v_fmac_f64_e32 v[4:5], v[214:215], v[2:3]
	v_add_f64 v[64:65], v[64:65], v[202:203]
	v_add_f64 v[204:205], v[200:201], v[4:5]
	scratch_load_dwordx4 v[200:203], off, s15
	ds_read_b128 v[2:5], v199 offset:1152
	s_add_i32 s15, s14, 0xa0
	s_waitcnt vmcnt(0) lgkmcnt(0)
	v_mul_f64 v[206:207], v[4:5], v[202:203]
	v_fma_f64 v[206:207], v[2:3], v[200:201], -v[206:207]
	v_mul_f64 v[2:3], v[2:3], v[202:203]
	v_fmac_f64_e32 v[2:3], v[4:5], v[200:201]
	scratch_load_dwordx4 v[200:203], off, s15
	v_add_f64 v[204:205], v[204:205], v[2:3]
	ds_read_b128 v[2:5], v199 offset:1168
	v_add_f64 v[64:65], v[64:65], v[206:207]
	s_add_i32 s15, s14, 0xb0
	s_addk_i32 s14, 0xc0
	s_waitcnt vmcnt(0) lgkmcnt(0)
	v_mul_f64 v[206:207], v[4:5], v[202:203]
	v_fma_f64 v[206:207], v[2:3], v[200:201], -v[206:207]
	v_mul_f64 v[2:3], v[2:3], v[202:203]
	v_fmac_f64_e32 v[2:3], v[4:5], v[200:201]
	scratch_load_dwordx4 v[200:203], off, s15
	v_add_f64 v[204:205], v[204:205], v[2:3]
	ds_read_b128 v[2:5], v199 offset:1184
	v_add_f64 v[64:65], v[64:65], v[206:207]
	s_waitcnt vmcnt(0) lgkmcnt(0)
	v_mul_f64 v[206:207], v[4:5], v[202:203]
	v_fma_f64 v[206:207], v[2:3], v[200:201], -v[206:207]
	v_mul_f64 v[2:3], v[2:3], v[202:203]
	v_fmac_f64_e32 v[2:3], v[4:5], v[200:201]
	scratch_load_dwordx4 v[200:203], off, s14
	v_add_f64 v[204:205], v[204:205], v[2:3]
	ds_read_b128 v[2:5], v199 offset:1200
	v_add_f64 v[64:65], v[64:65], v[206:207]
	s_add_i32 s14, s13, 8
	v_cmp_eq_u32_e32 vcc, s14, v7
	s_add_i32 s13, s13, 13
	s_or_b64 s[10:11], vcc, s[10:11]
	v_mov_b32_e32 v199, s13
	s_mov_b32 s13, s14
	s_waitcnt vmcnt(0) lgkmcnt(0)
	v_mul_f64 v[206:207], v[4:5], v[202:203]
	v_mul_f64 v[202:203], v[2:3], v[202:203]
	v_fma_f64 v[206:207], v[2:3], v[200:201], -v[206:207]
	v_fmac_f64_e32 v[202:203], v[4:5], v[200:201]
	v_add_f64 v[2:3], v[64:65], v[206:207]
	v_add_f64 v[4:5], v[204:205], v[202:203]
	s_andn2_b64 exec, exec, s[10:11]
	s_cbranch_execnz .LBB126_795
; %bb.796:
	s_or_b64 exec, exec, s[10:11]
.LBB126_797:
	s_or_b64 exec, exec, s[2:3]
	v_and_b32_e32 v6, 7, v6
	v_cmp_ne_u32_e32 vcc, 0, v6
	s_and_saveexec_b64 s[2:3], vcc
	s_cbranch_execz .LBB126_801
; %bb.798:
	v_lshlrev_b32_e32 v64, 4, v199
	v_add_u32_e32 v7, 0x3f0, v64
	v_add_u32_e32 v198, 0, v64
	s_mov_b64 s[10:11], 0
.LBB126_799:                            ; =>This Inner Loop Header: Depth=1
	scratch_load_dwordx4 v[200:203], v198, off
	ds_read_b128 v[204:207], v7
	v_add_u32_e32 v6, -1, v6
	v_cmp_eq_u32_e32 vcc, 0, v6
	v_add_u32_e32 v7, 16, v7
	v_add_u32_e32 v198, 16, v198
	s_or_b64 s[10:11], vcc, s[10:11]
	s_waitcnt vmcnt(0) lgkmcnt(0)
	v_mul_f64 v[64:65], v[206:207], v[202:203]
	v_mul_f64 v[202:203], v[204:205], v[202:203]
	v_fma_f64 v[64:65], v[204:205], v[200:201], -v[64:65]
	v_fmac_f64_e32 v[202:203], v[206:207], v[200:201]
	v_add_f64 v[2:3], v[2:3], v[64:65]
	v_add_f64 v[4:5], v[4:5], v[202:203]
	s_andn2_b64 exec, exec, s[10:11]
	s_cbranch_execnz .LBB126_799
; %bb.800:
	s_or_b64 exec, exec, s[10:11]
.LBB126_801:
	s_or_b64 exec, exec, s[2:3]
.LBB126_802:
	s_or_b64 exec, exec, s[8:9]
	v_mov_b32_e32 v6, 0
	ds_read_b128 v[198:201], v6 offset:64
	s_waitcnt lgkmcnt(0)
	v_mul_f64 v[6:7], v[4:5], v[200:201]
	v_mul_f64 v[202:203], v[2:3], v[200:201]
	v_fma_f64 v[200:201], v[2:3], v[198:199], -v[6:7]
	v_fmac_f64_e32 v[202:203], v[4:5], v[198:199]
	scratch_store_dwordx4 off, v[200:203], off offset:64
.LBB126_803:
	s_or_b64 exec, exec, s[4:5]
	scratch_load_dwordx4 v[2:5], v195, off
	v_cmp_lt_u32_e64 s[2:3], 3, v0
	s_waitcnt vmcnt(0)
	ds_write_b128 v9, v[2:5]
	s_waitcnt lgkmcnt(0)
	; wave barrier
	s_waitcnt lgkmcnt(0)
	s_and_saveexec_b64 s[4:5], s[2:3]
	s_cbranch_execz .LBB126_817
; %bb.804:
	ds_read_b128 v[2:5], v9
	s_andn2_b64 vcc, exec, s[6:7]
	s_cbranch_vccnz .LBB126_806
; %bb.805:
	scratch_load_dwordx4 v[198:201], v8, off
	s_waitcnt vmcnt(0) lgkmcnt(0)
	v_mul_f64 v[64:65], v[2:3], v[200:201]
	v_mul_f64 v[6:7], v[4:5], v[200:201]
	v_fmac_f64_e32 v[64:65], v[4:5], v[198:199]
	v_fma_f64 v[2:3], v[2:3], v[198:199], -v[6:7]
	v_mov_b64_e32 v[4:5], v[64:65]
.LBB126_806:
	s_and_saveexec_b64 s[8:9], s[0:1]
	s_cbranch_execz .LBB126_816
; %bb.807:
	v_add_u32_e32 v7, -5, v0
	v_add_u32_e32 v6, -4, v0
	v_cmp_lt_u32_e32 vcc, 6, v7
	v_mov_b32_e32 v199, 4
	s_and_saveexec_b64 s[0:1], vcc
	s_cbranch_execz .LBB126_811
; %bb.808:
	v_and_b32_e32 v7, -8, v6
	s_mov_b32 s12, 0
	s_mov_b64 s[10:11], 0
	v_mov_b32_e32 v198, 0
	s_mov_b32 s13, 0
.LBB126_809:                            ; =>This Inner Loop Header: Depth=1
	v_readfirstlane_b32 s14, v198
	s_add_i32 s14, s14, s12
	s_add_i32 s15, s14, 64
	v_mov_b32_e32 v199, s12
	ds_read_b128 v[200:203], v199 offset:1072
	ds_read_b128 v[204:207], v199 offset:1088
	;; [unrolled: 1-line block ×4, first 2 shown]
	scratch_load_dwordx4 v[216:219], off, s15
	s_add_i32 s15, s14, 0x50
	s_addk_i32 s12, 0x80
	s_waitcnt vmcnt(0) lgkmcnt(3)
	v_mul_f64 v[64:65], v[202:203], v[218:219]
	v_fma_f64 v[64:65], v[200:201], v[216:217], -v[64:65]
	v_mul_f64 v[200:201], v[200:201], v[218:219]
	v_fmac_f64_e32 v[200:201], v[202:203], v[216:217]
	v_add_f64 v[64:65], v[2:3], v[64:65]
	v_add_f64 v[200:201], v[4:5], v[200:201]
	scratch_load_dwordx4 v[2:5], off, s15
	s_add_i32 s15, s14, 0x60
	s_waitcnt vmcnt(0) lgkmcnt(2)
	v_mul_f64 v[202:203], v[206:207], v[4:5]
	v_mul_f64 v[4:5], v[204:205], v[4:5]
	v_fmac_f64_e32 v[4:5], v[206:207], v[2:3]
	v_fma_f64 v[202:203], v[204:205], v[2:3], -v[202:203]
	v_add_f64 v[200:201], v[200:201], v[4:5]
	scratch_load_dwordx4 v[2:5], off, s15
	v_add_f64 v[64:65], v[64:65], v[202:203]
	s_add_i32 s15, s14, 0x70
	s_waitcnt vmcnt(0) lgkmcnt(1)
	v_mul_f64 v[202:203], v[210:211], v[4:5]
	v_mul_f64 v[4:5], v[208:209], v[4:5]
	v_fmac_f64_e32 v[4:5], v[210:211], v[2:3]
	v_fma_f64 v[202:203], v[208:209], v[2:3], -v[202:203]
	v_add_f64 v[200:201], v[200:201], v[4:5]
	scratch_load_dwordx4 v[2:5], off, s15
	v_add_f64 v[64:65], v[64:65], v[202:203]
	s_add_i32 s15, s14, 0x80
	s_waitcnt vmcnt(0) lgkmcnt(0)
	v_mul_f64 v[202:203], v[214:215], v[4:5]
	v_mul_f64 v[4:5], v[212:213], v[4:5]
	v_fma_f64 v[202:203], v[212:213], v[2:3], -v[202:203]
	v_fmac_f64_e32 v[4:5], v[214:215], v[2:3]
	v_add_f64 v[64:65], v[64:65], v[202:203]
	v_add_f64 v[204:205], v[200:201], v[4:5]
	scratch_load_dwordx4 v[200:203], off, s15
	ds_read_b128 v[2:5], v199 offset:1136
	s_add_i32 s15, s14, 0x90
	s_waitcnt vmcnt(0) lgkmcnt(0)
	v_mul_f64 v[206:207], v[4:5], v[202:203]
	v_fma_f64 v[206:207], v[2:3], v[200:201], -v[206:207]
	v_mul_f64 v[2:3], v[2:3], v[202:203]
	v_fmac_f64_e32 v[2:3], v[4:5], v[200:201]
	scratch_load_dwordx4 v[200:203], off, s15
	v_add_f64 v[204:205], v[204:205], v[2:3]
	ds_read_b128 v[2:5], v199 offset:1152
	v_add_f64 v[64:65], v[64:65], v[206:207]
	s_add_i32 s15, s14, 0xa0
	s_addk_i32 s14, 0xb0
	s_waitcnt vmcnt(0) lgkmcnt(0)
	v_mul_f64 v[206:207], v[4:5], v[202:203]
	v_fma_f64 v[206:207], v[2:3], v[200:201], -v[206:207]
	v_mul_f64 v[2:3], v[2:3], v[202:203]
	v_fmac_f64_e32 v[2:3], v[4:5], v[200:201]
	scratch_load_dwordx4 v[200:203], off, s15
	v_add_f64 v[204:205], v[204:205], v[2:3]
	ds_read_b128 v[2:5], v199 offset:1168
	v_add_f64 v[64:65], v[64:65], v[206:207]
	s_waitcnt vmcnt(0) lgkmcnt(0)
	v_mul_f64 v[206:207], v[4:5], v[202:203]
	v_fma_f64 v[206:207], v[2:3], v[200:201], -v[206:207]
	v_mul_f64 v[2:3], v[2:3], v[202:203]
	v_fmac_f64_e32 v[2:3], v[4:5], v[200:201]
	scratch_load_dwordx4 v[200:203], off, s14
	v_add_f64 v[204:205], v[204:205], v[2:3]
	ds_read_b128 v[2:5], v199 offset:1184
	v_add_f64 v[64:65], v[64:65], v[206:207]
	s_add_i32 s14, s13, 8
	v_cmp_eq_u32_e32 vcc, s14, v7
	s_add_i32 s13, s13, 12
	s_or_b64 s[10:11], vcc, s[10:11]
	v_mov_b32_e32 v199, s13
	s_mov_b32 s13, s14
	s_waitcnt vmcnt(0) lgkmcnt(0)
	v_mul_f64 v[206:207], v[4:5], v[202:203]
	v_mul_f64 v[202:203], v[2:3], v[202:203]
	v_fma_f64 v[206:207], v[2:3], v[200:201], -v[206:207]
	v_fmac_f64_e32 v[202:203], v[4:5], v[200:201]
	v_add_f64 v[2:3], v[64:65], v[206:207]
	v_add_f64 v[4:5], v[204:205], v[202:203]
	s_andn2_b64 exec, exec, s[10:11]
	s_cbranch_execnz .LBB126_809
; %bb.810:
	s_or_b64 exec, exec, s[10:11]
.LBB126_811:
	s_or_b64 exec, exec, s[0:1]
	v_and_b32_e32 v6, 7, v6
	v_cmp_ne_u32_e32 vcc, 0, v6
	s_and_saveexec_b64 s[0:1], vcc
	s_cbranch_execz .LBB126_815
; %bb.812:
	v_lshlrev_b32_e32 v64, 4, v199
	v_add_u32_e32 v7, 0x3f0, v64
	v_add_u32_e32 v198, 0, v64
	s_mov_b64 s[10:11], 0
.LBB126_813:                            ; =>This Inner Loop Header: Depth=1
	scratch_load_dwordx4 v[200:203], v198, off
	ds_read_b128 v[204:207], v7
	v_add_u32_e32 v6, -1, v6
	v_cmp_eq_u32_e32 vcc, 0, v6
	v_add_u32_e32 v7, 16, v7
	v_add_u32_e32 v198, 16, v198
	s_or_b64 s[10:11], vcc, s[10:11]
	s_waitcnt vmcnt(0) lgkmcnt(0)
	v_mul_f64 v[64:65], v[206:207], v[202:203]
	v_mul_f64 v[202:203], v[204:205], v[202:203]
	v_fma_f64 v[64:65], v[204:205], v[200:201], -v[64:65]
	v_fmac_f64_e32 v[202:203], v[206:207], v[200:201]
	v_add_f64 v[2:3], v[2:3], v[64:65]
	v_add_f64 v[4:5], v[4:5], v[202:203]
	s_andn2_b64 exec, exec, s[10:11]
	s_cbranch_execnz .LBB126_813
; %bb.814:
	s_or_b64 exec, exec, s[10:11]
.LBB126_815:
	s_or_b64 exec, exec, s[0:1]
.LBB126_816:
	s_or_b64 exec, exec, s[8:9]
	v_mov_b32_e32 v6, 0
	ds_read_b128 v[198:201], v6 offset:48
	s_waitcnt lgkmcnt(0)
	v_mul_f64 v[6:7], v[4:5], v[200:201]
	v_mul_f64 v[202:203], v[2:3], v[200:201]
	v_fma_f64 v[200:201], v[2:3], v[198:199], -v[6:7]
	v_fmac_f64_e32 v[202:203], v[4:5], v[198:199]
	scratch_store_dwordx4 off, v[200:203], off offset:48
.LBB126_817:
	s_or_b64 exec, exec, s[4:5]
	scratch_load_dwordx4 v[2:5], v196, off
	v_cmp_lt_u32_e64 s[4:5], 2, v0
	s_waitcnt vmcnt(0)
	ds_write_b128 v9, v[2:5]
	s_waitcnt lgkmcnt(0)
	; wave barrier
	s_waitcnt lgkmcnt(0)
	s_and_saveexec_b64 s[0:1], s[4:5]
	s_cbranch_execz .LBB126_831
; %bb.818:
	ds_read_b128 v[2:5], v9
	s_andn2_b64 vcc, exec, s[6:7]
	s_cbranch_vccnz .LBB126_820
; %bb.819:
	scratch_load_dwordx4 v[198:201], v8, off
	s_waitcnt vmcnt(0) lgkmcnt(0)
	v_mul_f64 v[64:65], v[2:3], v[200:201]
	v_mul_f64 v[6:7], v[4:5], v[200:201]
	v_fmac_f64_e32 v[64:65], v[4:5], v[198:199]
	v_fma_f64 v[2:3], v[2:3], v[198:199], -v[6:7]
	v_mov_b64_e32 v[4:5], v[64:65]
.LBB126_820:
	s_and_saveexec_b64 s[8:9], s[2:3]
	s_cbranch_execz .LBB126_830
; %bb.821:
	v_add_u32_e32 v7, -4, v0
	v_add_u32_e32 v6, -3, v0
	v_cmp_lt_u32_e32 vcc, 6, v7
	v_mov_b32_e32 v199, 3
	s_and_saveexec_b64 s[2:3], vcc
	s_cbranch_execz .LBB126_825
; %bb.822:
	v_and_b32_e32 v7, -8, v6
	s_mov_b32 s12, 0
	s_mov_b64 s[10:11], 0
	v_mov_b32_e32 v198, 0
	s_mov_b32 s13, 0
.LBB126_823:                            ; =>This Inner Loop Header: Depth=1
	v_readfirstlane_b32 s14, v198
	s_add_i32 s14, s14, s12
	s_add_i32 s15, s14, 48
	v_mov_b32_e32 v199, s12
	ds_read_b128 v[200:203], v199 offset:1056
	ds_read_b128 v[204:207], v199 offset:1072
	;; [unrolled: 1-line block ×4, first 2 shown]
	scratch_load_dwordx4 v[216:219], off, s15
	s_add_i32 s15, s14, 64
	s_addk_i32 s12, 0x80
	s_waitcnt vmcnt(0) lgkmcnt(3)
	v_mul_f64 v[64:65], v[202:203], v[218:219]
	v_fma_f64 v[64:65], v[200:201], v[216:217], -v[64:65]
	v_mul_f64 v[200:201], v[200:201], v[218:219]
	v_fmac_f64_e32 v[200:201], v[202:203], v[216:217]
	v_add_f64 v[64:65], v[2:3], v[64:65]
	v_add_f64 v[200:201], v[4:5], v[200:201]
	scratch_load_dwordx4 v[2:5], off, s15
	s_add_i32 s15, s14, 0x50
	s_waitcnt vmcnt(0) lgkmcnt(2)
	v_mul_f64 v[202:203], v[206:207], v[4:5]
	v_mul_f64 v[4:5], v[204:205], v[4:5]
	v_fmac_f64_e32 v[4:5], v[206:207], v[2:3]
	v_fma_f64 v[202:203], v[204:205], v[2:3], -v[202:203]
	v_add_f64 v[200:201], v[200:201], v[4:5]
	scratch_load_dwordx4 v[2:5], off, s15
	v_add_f64 v[64:65], v[64:65], v[202:203]
	s_add_i32 s15, s14, 0x60
	s_waitcnt vmcnt(0) lgkmcnt(1)
	v_mul_f64 v[202:203], v[210:211], v[4:5]
	v_mul_f64 v[4:5], v[208:209], v[4:5]
	v_fmac_f64_e32 v[4:5], v[210:211], v[2:3]
	v_fma_f64 v[202:203], v[208:209], v[2:3], -v[202:203]
	v_add_f64 v[200:201], v[200:201], v[4:5]
	scratch_load_dwordx4 v[2:5], off, s15
	v_add_f64 v[64:65], v[64:65], v[202:203]
	s_add_i32 s15, s14, 0x70
	s_waitcnt vmcnt(0) lgkmcnt(0)
	v_mul_f64 v[202:203], v[214:215], v[4:5]
	v_mul_f64 v[4:5], v[212:213], v[4:5]
	v_fma_f64 v[202:203], v[212:213], v[2:3], -v[202:203]
	v_fmac_f64_e32 v[4:5], v[214:215], v[2:3]
	v_add_f64 v[64:65], v[64:65], v[202:203]
	v_add_f64 v[204:205], v[200:201], v[4:5]
	scratch_load_dwordx4 v[200:203], off, s15
	ds_read_b128 v[2:5], v199 offset:1120
	s_add_i32 s15, s14, 0x80
	s_waitcnt vmcnt(0) lgkmcnt(0)
	v_mul_f64 v[206:207], v[4:5], v[202:203]
	v_fma_f64 v[206:207], v[2:3], v[200:201], -v[206:207]
	v_mul_f64 v[2:3], v[2:3], v[202:203]
	v_fmac_f64_e32 v[2:3], v[4:5], v[200:201]
	scratch_load_dwordx4 v[200:203], off, s15
	v_add_f64 v[204:205], v[204:205], v[2:3]
	ds_read_b128 v[2:5], v199 offset:1136
	v_add_f64 v[64:65], v[64:65], v[206:207]
	s_add_i32 s15, s14, 0x90
	s_addk_i32 s14, 0xa0
	s_waitcnt vmcnt(0) lgkmcnt(0)
	v_mul_f64 v[206:207], v[4:5], v[202:203]
	v_fma_f64 v[206:207], v[2:3], v[200:201], -v[206:207]
	v_mul_f64 v[2:3], v[2:3], v[202:203]
	v_fmac_f64_e32 v[2:3], v[4:5], v[200:201]
	scratch_load_dwordx4 v[200:203], off, s15
	v_add_f64 v[204:205], v[204:205], v[2:3]
	ds_read_b128 v[2:5], v199 offset:1152
	v_add_f64 v[64:65], v[64:65], v[206:207]
	s_waitcnt vmcnt(0) lgkmcnt(0)
	v_mul_f64 v[206:207], v[4:5], v[202:203]
	v_fma_f64 v[206:207], v[2:3], v[200:201], -v[206:207]
	v_mul_f64 v[2:3], v[2:3], v[202:203]
	v_fmac_f64_e32 v[2:3], v[4:5], v[200:201]
	scratch_load_dwordx4 v[200:203], off, s14
	v_add_f64 v[204:205], v[204:205], v[2:3]
	ds_read_b128 v[2:5], v199 offset:1168
	v_add_f64 v[64:65], v[64:65], v[206:207]
	s_add_i32 s14, s13, 8
	v_cmp_eq_u32_e32 vcc, s14, v7
	s_add_i32 s13, s13, 11
	s_or_b64 s[10:11], vcc, s[10:11]
	v_mov_b32_e32 v199, s13
	s_mov_b32 s13, s14
	s_waitcnt vmcnt(0) lgkmcnt(0)
	v_mul_f64 v[206:207], v[4:5], v[202:203]
	v_mul_f64 v[202:203], v[2:3], v[202:203]
	v_fma_f64 v[206:207], v[2:3], v[200:201], -v[206:207]
	v_fmac_f64_e32 v[202:203], v[4:5], v[200:201]
	v_add_f64 v[2:3], v[64:65], v[206:207]
	v_add_f64 v[4:5], v[204:205], v[202:203]
	s_andn2_b64 exec, exec, s[10:11]
	s_cbranch_execnz .LBB126_823
; %bb.824:
	s_or_b64 exec, exec, s[10:11]
.LBB126_825:
	s_or_b64 exec, exec, s[2:3]
	v_and_b32_e32 v6, 7, v6
	v_cmp_ne_u32_e32 vcc, 0, v6
	s_and_saveexec_b64 s[2:3], vcc
	s_cbranch_execz .LBB126_829
; %bb.826:
	v_lshlrev_b32_e32 v64, 4, v199
	v_add_u32_e32 v7, 0x3f0, v64
	v_add_u32_e32 v198, 0, v64
	s_mov_b64 s[10:11], 0
.LBB126_827:                            ; =>This Inner Loop Header: Depth=1
	scratch_load_dwordx4 v[200:203], v198, off
	ds_read_b128 v[204:207], v7
	v_add_u32_e32 v6, -1, v6
	v_cmp_eq_u32_e32 vcc, 0, v6
	v_add_u32_e32 v7, 16, v7
	v_add_u32_e32 v198, 16, v198
	s_or_b64 s[10:11], vcc, s[10:11]
	s_waitcnt vmcnt(0) lgkmcnt(0)
	v_mul_f64 v[64:65], v[206:207], v[202:203]
	v_mul_f64 v[202:203], v[204:205], v[202:203]
	v_fma_f64 v[64:65], v[204:205], v[200:201], -v[64:65]
	v_fmac_f64_e32 v[202:203], v[206:207], v[200:201]
	v_add_f64 v[2:3], v[2:3], v[64:65]
	v_add_f64 v[4:5], v[4:5], v[202:203]
	s_andn2_b64 exec, exec, s[10:11]
	s_cbranch_execnz .LBB126_827
; %bb.828:
	s_or_b64 exec, exec, s[10:11]
.LBB126_829:
	s_or_b64 exec, exec, s[2:3]
.LBB126_830:
	s_or_b64 exec, exec, s[8:9]
	v_mov_b32_e32 v6, 0
	ds_read_b128 v[198:201], v6 offset:32
	s_waitcnt lgkmcnt(0)
	v_mul_f64 v[6:7], v[4:5], v[200:201]
	v_mul_f64 v[202:203], v[2:3], v[200:201]
	v_fma_f64 v[200:201], v[2:3], v[198:199], -v[6:7]
	v_fmac_f64_e32 v[202:203], v[4:5], v[198:199]
	scratch_store_dwordx4 off, v[200:203], off offset:32
.LBB126_831:
	s_or_b64 exec, exec, s[0:1]
	scratch_load_dwordx4 v[2:5], v197, off
	v_cmp_lt_u32_e64 s[0:1], 1, v0
	s_waitcnt vmcnt(0)
	ds_write_b128 v9, v[2:5]
	s_waitcnt lgkmcnt(0)
	; wave barrier
	s_waitcnt lgkmcnt(0)
	s_and_saveexec_b64 s[2:3], s[0:1]
	s_cbranch_execz .LBB126_845
; %bb.832:
	ds_read_b128 v[2:5], v9
	s_andn2_b64 vcc, exec, s[6:7]
	s_cbranch_vccnz .LBB126_834
; %bb.833:
	scratch_load_dwordx4 v[198:201], v8, off
	s_waitcnt vmcnt(0) lgkmcnt(0)
	v_mul_f64 v[64:65], v[2:3], v[200:201]
	v_mul_f64 v[6:7], v[4:5], v[200:201]
	v_fmac_f64_e32 v[64:65], v[4:5], v[198:199]
	v_fma_f64 v[2:3], v[2:3], v[198:199], -v[6:7]
	v_mov_b64_e32 v[4:5], v[64:65]
.LBB126_834:
	s_and_saveexec_b64 s[8:9], s[4:5]
	s_cbranch_execz .LBB126_844
; %bb.835:
	v_add_u32_e32 v7, -3, v0
	v_add_u32_e32 v6, -2, v0
	v_cmp_lt_u32_e32 vcc, 6, v7
	v_mov_b32_e32 v199, 2
	s_and_saveexec_b64 s[4:5], vcc
	s_cbranch_execz .LBB126_839
; %bb.836:
	v_and_b32_e32 v7, -8, v6
	s_mov_b32 s12, 0
	s_mov_b64 s[10:11], 0
	v_mov_b32_e32 v198, 0
	s_mov_b32 s13, 0
.LBB126_837:                            ; =>This Inner Loop Header: Depth=1
	v_readfirstlane_b32 s14, v198
	s_add_i32 s14, s14, s12
	s_add_i32 s15, s14, 32
	v_mov_b32_e32 v199, s12
	ds_read_b128 v[200:203], v199 offset:1040
	ds_read_b128 v[204:207], v199 offset:1056
	;; [unrolled: 1-line block ×4, first 2 shown]
	scratch_load_dwordx4 v[216:219], off, s15
	s_add_i32 s15, s14, 48
	s_addk_i32 s12, 0x80
	s_waitcnt vmcnt(0) lgkmcnt(3)
	v_mul_f64 v[64:65], v[202:203], v[218:219]
	v_fma_f64 v[64:65], v[200:201], v[216:217], -v[64:65]
	v_mul_f64 v[200:201], v[200:201], v[218:219]
	v_fmac_f64_e32 v[200:201], v[202:203], v[216:217]
	v_add_f64 v[64:65], v[2:3], v[64:65]
	v_add_f64 v[200:201], v[4:5], v[200:201]
	scratch_load_dwordx4 v[2:5], off, s15
	s_add_i32 s15, s14, 64
	s_waitcnt vmcnt(0) lgkmcnt(2)
	v_mul_f64 v[202:203], v[206:207], v[4:5]
	v_mul_f64 v[4:5], v[204:205], v[4:5]
	v_fmac_f64_e32 v[4:5], v[206:207], v[2:3]
	v_fma_f64 v[202:203], v[204:205], v[2:3], -v[202:203]
	v_add_f64 v[200:201], v[200:201], v[4:5]
	scratch_load_dwordx4 v[2:5], off, s15
	v_add_f64 v[64:65], v[64:65], v[202:203]
	s_add_i32 s15, s14, 0x50
	s_waitcnt vmcnt(0) lgkmcnt(1)
	v_mul_f64 v[202:203], v[210:211], v[4:5]
	v_mul_f64 v[4:5], v[208:209], v[4:5]
	v_fmac_f64_e32 v[4:5], v[210:211], v[2:3]
	v_fma_f64 v[202:203], v[208:209], v[2:3], -v[202:203]
	v_add_f64 v[200:201], v[200:201], v[4:5]
	scratch_load_dwordx4 v[2:5], off, s15
	v_add_f64 v[64:65], v[64:65], v[202:203]
	s_add_i32 s15, s14, 0x60
	s_waitcnt vmcnt(0) lgkmcnt(0)
	v_mul_f64 v[202:203], v[214:215], v[4:5]
	v_mul_f64 v[4:5], v[212:213], v[4:5]
	v_fma_f64 v[202:203], v[212:213], v[2:3], -v[202:203]
	v_fmac_f64_e32 v[4:5], v[214:215], v[2:3]
	v_add_f64 v[64:65], v[64:65], v[202:203]
	v_add_f64 v[204:205], v[200:201], v[4:5]
	scratch_load_dwordx4 v[200:203], off, s15
	ds_read_b128 v[2:5], v199 offset:1104
	s_add_i32 s15, s14, 0x70
	s_waitcnt vmcnt(0) lgkmcnt(0)
	v_mul_f64 v[206:207], v[4:5], v[202:203]
	v_fma_f64 v[206:207], v[2:3], v[200:201], -v[206:207]
	v_mul_f64 v[2:3], v[2:3], v[202:203]
	v_fmac_f64_e32 v[2:3], v[4:5], v[200:201]
	scratch_load_dwordx4 v[200:203], off, s15
	v_add_f64 v[204:205], v[204:205], v[2:3]
	ds_read_b128 v[2:5], v199 offset:1120
	v_add_f64 v[64:65], v[64:65], v[206:207]
	s_add_i32 s15, s14, 0x80
	s_addk_i32 s14, 0x90
	s_waitcnt vmcnt(0) lgkmcnt(0)
	v_mul_f64 v[206:207], v[4:5], v[202:203]
	v_fma_f64 v[206:207], v[2:3], v[200:201], -v[206:207]
	v_mul_f64 v[2:3], v[2:3], v[202:203]
	v_fmac_f64_e32 v[2:3], v[4:5], v[200:201]
	scratch_load_dwordx4 v[200:203], off, s15
	v_add_f64 v[204:205], v[204:205], v[2:3]
	ds_read_b128 v[2:5], v199 offset:1136
	v_add_f64 v[64:65], v[64:65], v[206:207]
	s_waitcnt vmcnt(0) lgkmcnt(0)
	v_mul_f64 v[206:207], v[4:5], v[202:203]
	v_fma_f64 v[206:207], v[2:3], v[200:201], -v[206:207]
	v_mul_f64 v[2:3], v[2:3], v[202:203]
	v_fmac_f64_e32 v[2:3], v[4:5], v[200:201]
	scratch_load_dwordx4 v[200:203], off, s14
	v_add_f64 v[204:205], v[204:205], v[2:3]
	ds_read_b128 v[2:5], v199 offset:1152
	v_add_f64 v[64:65], v[64:65], v[206:207]
	s_add_i32 s14, s13, 8
	v_cmp_eq_u32_e32 vcc, s14, v7
	s_add_i32 s13, s13, 10
	s_or_b64 s[10:11], vcc, s[10:11]
	v_mov_b32_e32 v199, s13
	s_mov_b32 s13, s14
	s_waitcnt vmcnt(0) lgkmcnt(0)
	v_mul_f64 v[206:207], v[4:5], v[202:203]
	v_mul_f64 v[202:203], v[2:3], v[202:203]
	v_fma_f64 v[206:207], v[2:3], v[200:201], -v[206:207]
	v_fmac_f64_e32 v[202:203], v[4:5], v[200:201]
	v_add_f64 v[2:3], v[64:65], v[206:207]
	v_add_f64 v[4:5], v[204:205], v[202:203]
	s_andn2_b64 exec, exec, s[10:11]
	s_cbranch_execnz .LBB126_837
; %bb.838:
	s_or_b64 exec, exec, s[10:11]
.LBB126_839:
	s_or_b64 exec, exec, s[4:5]
	v_and_b32_e32 v6, 7, v6
	v_cmp_ne_u32_e32 vcc, 0, v6
	s_and_saveexec_b64 s[4:5], vcc
	s_cbranch_execz .LBB126_843
; %bb.840:
	v_lshlrev_b32_e32 v64, 4, v199
	v_add_u32_e32 v7, 0x3f0, v64
	v_add_u32_e32 v198, 0, v64
	s_mov_b64 s[10:11], 0
.LBB126_841:                            ; =>This Inner Loop Header: Depth=1
	scratch_load_dwordx4 v[200:203], v198, off
	ds_read_b128 v[204:207], v7
	v_add_u32_e32 v6, -1, v6
	v_cmp_eq_u32_e32 vcc, 0, v6
	v_add_u32_e32 v7, 16, v7
	v_add_u32_e32 v198, 16, v198
	s_or_b64 s[10:11], vcc, s[10:11]
	s_waitcnt vmcnt(0) lgkmcnt(0)
	v_mul_f64 v[64:65], v[206:207], v[202:203]
	v_mul_f64 v[202:203], v[204:205], v[202:203]
	v_fma_f64 v[64:65], v[204:205], v[200:201], -v[64:65]
	v_fmac_f64_e32 v[202:203], v[206:207], v[200:201]
	v_add_f64 v[2:3], v[2:3], v[64:65]
	v_add_f64 v[4:5], v[4:5], v[202:203]
	s_andn2_b64 exec, exec, s[10:11]
	s_cbranch_execnz .LBB126_841
; %bb.842:
	s_or_b64 exec, exec, s[10:11]
.LBB126_843:
	s_or_b64 exec, exec, s[4:5]
.LBB126_844:
	s_or_b64 exec, exec, s[8:9]
	v_mov_b32_e32 v6, 0
	ds_read_b128 v[198:201], v6 offset:16
	s_waitcnt lgkmcnt(0)
	v_mul_f64 v[6:7], v[4:5], v[200:201]
	v_mul_f64 v[202:203], v[2:3], v[200:201]
	v_fma_f64 v[200:201], v[2:3], v[198:199], -v[6:7]
	v_fmac_f64_e32 v[202:203], v[4:5], v[198:199]
	scratch_store_dwordx4 off, v[200:203], off offset:16
.LBB126_845:
	s_or_b64 exec, exec, s[2:3]
	scratch_load_dwordx4 v[2:5], off, off
	v_cmp_ne_u32_e32 vcc, 0, v0
	s_mov_b64 s[2:3], 0
	s_mov_b64 s[10:11], 0
                                        ; implicit-def: $vgpr6_vgpr7
                                        ; implicit-def: $vgpr198
	s_waitcnt vmcnt(0)
	ds_write_b128 v9, v[2:5]
	s_waitcnt lgkmcnt(0)
	; wave barrier
	s_waitcnt lgkmcnt(0)
	s_and_saveexec_b64 s[4:5], vcc
	s_cbranch_execz .LBB126_859
; %bb.846:
	ds_read_b128 v[2:5], v9
	s_andn2_b64 vcc, exec, s[6:7]
	s_cbranch_vccnz .LBB126_848
; %bb.847:
	scratch_load_dwordx4 v[198:201], v8, off
	s_waitcnt vmcnt(0) lgkmcnt(0)
	v_mul_f64 v[64:65], v[2:3], v[200:201]
	v_mul_f64 v[6:7], v[4:5], v[200:201]
	v_fmac_f64_e32 v[64:65], v[4:5], v[198:199]
	v_fma_f64 v[2:3], v[2:3], v[198:199], -v[6:7]
	v_mov_b64_e32 v[4:5], v[64:65]
.LBB126_848:
	s_and_saveexec_b64 s[8:9], s[0:1]
	s_cbranch_execz .LBB126_858
; %bb.849:
	v_add_u32_e32 v7, -2, v0
	v_add_u32_e32 v6, -1, v0
	v_cmp_lt_u32_e32 vcc, 6, v7
	v_mov_b32_e32 v199, 1
	s_and_saveexec_b64 s[0:1], vcc
	s_cbranch_execz .LBB126_853
; %bb.850:
	v_and_b32_e32 v7, -8, v6
	s_mov_b32 s12, 0
	v_mov_b32_e32 v198, 0
	s_mov_b32 s13, 0
.LBB126_851:                            ; =>This Inner Loop Header: Depth=1
	v_readfirstlane_b32 s14, v198
	s_add_i32 s14, s14, s12
	s_add_i32 s15, s14, 16
	v_mov_b32_e32 v199, s12
	ds_read_b128 v[200:203], v199 offset:1024
	ds_read_b128 v[204:207], v199 offset:1040
	;; [unrolled: 1-line block ×4, first 2 shown]
	scratch_load_dwordx4 v[216:219], off, s15
	s_add_i32 s15, s14, 32
	s_addk_i32 s12, 0x80
	s_waitcnt vmcnt(0) lgkmcnt(3)
	v_mul_f64 v[64:65], v[202:203], v[218:219]
	v_fma_f64 v[64:65], v[200:201], v[216:217], -v[64:65]
	v_mul_f64 v[200:201], v[200:201], v[218:219]
	v_fmac_f64_e32 v[200:201], v[202:203], v[216:217]
	v_add_f64 v[64:65], v[2:3], v[64:65]
	v_add_f64 v[200:201], v[4:5], v[200:201]
	scratch_load_dwordx4 v[2:5], off, s15
	s_add_i32 s15, s14, 48
	s_waitcnt vmcnt(0) lgkmcnt(2)
	v_mul_f64 v[202:203], v[206:207], v[4:5]
	v_mul_f64 v[4:5], v[204:205], v[4:5]
	v_fmac_f64_e32 v[4:5], v[206:207], v[2:3]
	v_fma_f64 v[202:203], v[204:205], v[2:3], -v[202:203]
	v_add_f64 v[200:201], v[200:201], v[4:5]
	scratch_load_dwordx4 v[2:5], off, s15
	v_add_f64 v[64:65], v[64:65], v[202:203]
	s_add_i32 s15, s14, 64
	s_waitcnt vmcnt(0) lgkmcnt(1)
	v_mul_f64 v[202:203], v[210:211], v[4:5]
	v_mul_f64 v[4:5], v[208:209], v[4:5]
	v_fmac_f64_e32 v[4:5], v[210:211], v[2:3]
	v_fma_f64 v[202:203], v[208:209], v[2:3], -v[202:203]
	v_add_f64 v[200:201], v[200:201], v[4:5]
	scratch_load_dwordx4 v[2:5], off, s15
	v_add_f64 v[64:65], v[64:65], v[202:203]
	s_add_i32 s15, s14, 0x50
	s_waitcnt vmcnt(0) lgkmcnt(0)
	v_mul_f64 v[202:203], v[214:215], v[4:5]
	v_mul_f64 v[4:5], v[212:213], v[4:5]
	v_fma_f64 v[202:203], v[212:213], v[2:3], -v[202:203]
	v_fmac_f64_e32 v[4:5], v[214:215], v[2:3]
	v_add_f64 v[64:65], v[64:65], v[202:203]
	v_add_f64 v[204:205], v[200:201], v[4:5]
	scratch_load_dwordx4 v[200:203], off, s15
	ds_read_b128 v[2:5], v199 offset:1088
	s_add_i32 s15, s14, 0x60
	s_waitcnt vmcnt(0) lgkmcnt(0)
	v_mul_f64 v[206:207], v[4:5], v[202:203]
	v_fma_f64 v[206:207], v[2:3], v[200:201], -v[206:207]
	v_mul_f64 v[2:3], v[2:3], v[202:203]
	v_fmac_f64_e32 v[2:3], v[4:5], v[200:201]
	scratch_load_dwordx4 v[200:203], off, s15
	v_add_f64 v[204:205], v[204:205], v[2:3]
	ds_read_b128 v[2:5], v199 offset:1104
	v_add_f64 v[64:65], v[64:65], v[206:207]
	s_add_i32 s15, s14, 0x70
	s_addk_i32 s14, 0x80
	s_waitcnt vmcnt(0) lgkmcnt(0)
	v_mul_f64 v[206:207], v[4:5], v[202:203]
	v_fma_f64 v[206:207], v[2:3], v[200:201], -v[206:207]
	v_mul_f64 v[2:3], v[2:3], v[202:203]
	v_fmac_f64_e32 v[2:3], v[4:5], v[200:201]
	scratch_load_dwordx4 v[200:203], off, s15
	v_add_f64 v[204:205], v[204:205], v[2:3]
	ds_read_b128 v[2:5], v199 offset:1120
	v_add_f64 v[64:65], v[64:65], v[206:207]
	s_waitcnt vmcnt(0) lgkmcnt(0)
	v_mul_f64 v[206:207], v[4:5], v[202:203]
	v_fma_f64 v[206:207], v[2:3], v[200:201], -v[206:207]
	v_mul_f64 v[2:3], v[2:3], v[202:203]
	v_fmac_f64_e32 v[2:3], v[4:5], v[200:201]
	scratch_load_dwordx4 v[200:203], off, s14
	v_add_f64 v[204:205], v[204:205], v[2:3]
	ds_read_b128 v[2:5], v199 offset:1136
	v_add_f64 v[64:65], v[64:65], v[206:207]
	s_add_i32 s14, s13, 8
	v_cmp_eq_u32_e32 vcc, s14, v7
	s_add_i32 s13, s13, 9
	s_or_b64 s[10:11], vcc, s[10:11]
	v_mov_b32_e32 v199, s13
	s_mov_b32 s13, s14
	s_waitcnt vmcnt(0) lgkmcnt(0)
	v_mul_f64 v[206:207], v[4:5], v[202:203]
	v_mul_f64 v[202:203], v[2:3], v[202:203]
	v_fma_f64 v[206:207], v[2:3], v[200:201], -v[206:207]
	v_fmac_f64_e32 v[202:203], v[4:5], v[200:201]
	v_add_f64 v[2:3], v[64:65], v[206:207]
	v_add_f64 v[4:5], v[204:205], v[202:203]
	s_andn2_b64 exec, exec, s[10:11]
	s_cbranch_execnz .LBB126_851
; %bb.852:
	s_or_b64 exec, exec, s[10:11]
.LBB126_853:
	s_or_b64 exec, exec, s[0:1]
	v_and_b32_e32 v6, 7, v6
	v_cmp_ne_u32_e32 vcc, 0, v6
	s_and_saveexec_b64 s[0:1], vcc
	s_cbranch_execz .LBB126_857
; %bb.854:
	v_lshlrev_b32_e32 v64, 4, v199
	v_add_u32_e32 v7, 0x3f0, v64
	v_add_u32_e32 v198, 0, v64
	s_mov_b64 s[10:11], 0
.LBB126_855:                            ; =>This Inner Loop Header: Depth=1
	scratch_load_dwordx4 v[200:203], v198, off
	ds_read_b128 v[204:207], v7
	v_add_u32_e32 v6, -1, v6
	v_cmp_eq_u32_e32 vcc, 0, v6
	v_add_u32_e32 v7, 16, v7
	v_add_u32_e32 v198, 16, v198
	s_or_b64 s[10:11], vcc, s[10:11]
	s_waitcnt vmcnt(0) lgkmcnt(0)
	v_mul_f64 v[64:65], v[206:207], v[202:203]
	v_mul_f64 v[202:203], v[204:205], v[202:203]
	v_fma_f64 v[64:65], v[204:205], v[200:201], -v[64:65]
	v_fmac_f64_e32 v[202:203], v[206:207], v[200:201]
	v_add_f64 v[2:3], v[2:3], v[64:65]
	v_add_f64 v[4:5], v[4:5], v[202:203]
	s_andn2_b64 exec, exec, s[10:11]
	s_cbranch_execnz .LBB126_855
; %bb.856:
	s_or_b64 exec, exec, s[10:11]
.LBB126_857:
	s_or_b64 exec, exec, s[0:1]
.LBB126_858:
	s_or_b64 exec, exec, s[8:9]
	v_mov_b32_e32 v6, 0
	ds_read_b128 v[200:203], v6
	v_mov_b32_e32 v6, 0
	v_or_b32_e32 v198, 8, v6
	s_mov_b64 s[10:11], exec
	s_waitcnt lgkmcnt(0)
	v_mul_f64 v[64:65], v[4:5], v[202:203]
	v_mul_f64 v[6:7], v[2:3], v[202:203]
	v_fma_f64 v[2:3], v[2:3], v[200:201], -v[64:65]
	v_fmac_f64_e32 v[6:7], v[4:5], v[200:201]
	scratch_store_dwordx2 off, v[2:3], off
.LBB126_859:
	s_or_b64 exec, exec, s[4:5]
	s_and_b64 vcc, exec, s[2:3]
	s_cbranch_vccnz .LBB126_861
	s_branch .LBB126_1364
.LBB126_860:
	s_mov_b64 s[10:11], 0
                                        ; implicit-def: $vgpr6_vgpr7
                                        ; implicit-def: $vgpr198
	s_cbranch_execz .LBB126_1364
.LBB126_861:
	scratch_load_dwordx4 v[2:5], v197, off
	v_cndmask_b32_e64 v6, 0, 1, s[6:7]
	v_cmp_eq_u32_e64 s[2:3], 0, v0
	v_cmp_ne_u32_e64 s[0:1], 1, v6
	s_waitcnt vmcnt(0)
	ds_write_b128 v9, v[2:5]
	s_waitcnt lgkmcnt(0)
	; wave barrier
	s_waitcnt lgkmcnt(0)
	s_and_saveexec_b64 s[4:5], s[2:3]
	s_cbranch_execz .LBB126_865
; %bb.862:
	ds_read_b128 v[2:5], v9
	s_and_b64 vcc, exec, s[0:1]
	s_cbranch_vccnz .LBB126_864
; %bb.863:
	scratch_load_dwordx4 v[198:201], v8, off
	s_waitcnt vmcnt(0) lgkmcnt(0)
	v_mul_f64 v[64:65], v[2:3], v[200:201]
	v_mul_f64 v[6:7], v[4:5], v[200:201]
	v_fmac_f64_e32 v[64:65], v[4:5], v[198:199]
	v_fma_f64 v[2:3], v[2:3], v[198:199], -v[6:7]
	v_mov_b64_e32 v[4:5], v[64:65]
.LBB126_864:
	v_mov_b32_e32 v6, 0
	ds_read_b128 v[198:201], v6 offset:16
	s_waitcnt lgkmcnt(0)
	v_mul_f64 v[6:7], v[4:5], v[200:201]
	v_mul_f64 v[202:203], v[2:3], v[200:201]
	v_fma_f64 v[200:201], v[2:3], v[198:199], -v[6:7]
	v_fmac_f64_e32 v[202:203], v[4:5], v[198:199]
	scratch_store_dwordx4 off, v[200:203], off offset:16
.LBB126_865:
	s_or_b64 exec, exec, s[4:5]
	scratch_load_dwordx4 v[2:5], v196, off
	v_cmp_gt_u32_e32 vcc, 2, v0
	s_waitcnt vmcnt(0)
	ds_write_b128 v9, v[2:5]
	s_waitcnt lgkmcnt(0)
	; wave barrier
	s_waitcnt lgkmcnt(0)
	s_and_saveexec_b64 s[4:5], vcc
	s_cbranch_execz .LBB126_871
; %bb.866:
	ds_read_b128 v[2:5], v9
	s_and_b64 vcc, exec, s[0:1]
	s_cbranch_vccnz .LBB126_868
; %bb.867:
	scratch_load_dwordx4 v[198:201], v8, off
	s_waitcnt vmcnt(0) lgkmcnt(0)
	v_mul_f64 v[64:65], v[2:3], v[200:201]
	v_mul_f64 v[6:7], v[4:5], v[200:201]
	v_fmac_f64_e32 v[64:65], v[4:5], v[198:199]
	v_fma_f64 v[2:3], v[2:3], v[198:199], -v[6:7]
	v_mov_b64_e32 v[4:5], v[64:65]
.LBB126_868:
	s_and_saveexec_b64 s[6:7], s[2:3]
	s_cbranch_execz .LBB126_870
; %bb.869:
	scratch_load_dwordx4 v[198:201], v8, off offset:16
	ds_read_b128 v[202:205], v9 offset:16
	s_waitcnt vmcnt(0) lgkmcnt(0)
	v_mul_f64 v[6:7], v[204:205], v[200:201]
	v_mul_f64 v[64:65], v[202:203], v[200:201]
	v_fma_f64 v[6:7], v[202:203], v[198:199], -v[6:7]
	v_fmac_f64_e32 v[64:65], v[204:205], v[198:199]
	v_add_f64 v[2:3], v[2:3], v[6:7]
	v_add_f64 v[4:5], v[4:5], v[64:65]
.LBB126_870:
	s_or_b64 exec, exec, s[6:7]
	v_mov_b32_e32 v6, 0
	ds_read_b128 v[198:201], v6 offset:32
	s_waitcnt lgkmcnt(0)
	v_mul_f64 v[6:7], v[4:5], v[200:201]
	v_mul_f64 v[202:203], v[2:3], v[200:201]
	v_fma_f64 v[200:201], v[2:3], v[198:199], -v[6:7]
	v_fmac_f64_e32 v[202:203], v[4:5], v[198:199]
	scratch_store_dwordx4 off, v[200:203], off offset:32
.LBB126_871:
	s_or_b64 exec, exec, s[4:5]
	scratch_load_dwordx4 v[2:5], v195, off
	v_cmp_gt_u32_e64 s[4:5], 3, v0
	s_waitcnt vmcnt(0)
	ds_write_b128 v9, v[2:5]
	s_waitcnt lgkmcnt(0)
	; wave barrier
	s_waitcnt lgkmcnt(0)
	s_and_saveexec_b64 s[6:7], s[4:5]
	s_cbranch_execz .LBB126_879
; %bb.872:
	ds_read_b128 v[2:5], v9
	s_and_b64 vcc, exec, s[0:1]
	s_cbranch_vccnz .LBB126_874
; %bb.873:
	scratch_load_dwordx4 v[198:201], v8, off
	s_waitcnt vmcnt(0) lgkmcnt(0)
	v_mul_f64 v[64:65], v[2:3], v[200:201]
	v_mul_f64 v[6:7], v[4:5], v[200:201]
	v_fmac_f64_e32 v[64:65], v[4:5], v[198:199]
	v_fma_f64 v[2:3], v[2:3], v[198:199], -v[6:7]
	v_mov_b64_e32 v[4:5], v[64:65]
.LBB126_874:
	v_cmp_ne_u32_e32 vcc, 2, v0
	s_and_saveexec_b64 s[8:9], vcc
	s_cbranch_execz .LBB126_878
; %bb.875:
	scratch_load_dwordx4 v[198:201], v8, off offset:16
	ds_read_b128 v[202:205], v9 offset:16
	s_waitcnt vmcnt(0) lgkmcnt(0)
	v_mul_f64 v[6:7], v[204:205], v[200:201]
	v_mul_f64 v[64:65], v[202:203], v[200:201]
	v_fma_f64 v[6:7], v[202:203], v[198:199], -v[6:7]
	v_fmac_f64_e32 v[64:65], v[204:205], v[198:199]
	v_add_f64 v[2:3], v[2:3], v[6:7]
	v_add_f64 v[4:5], v[4:5], v[64:65]
	s_and_saveexec_b64 s[12:13], s[2:3]
	s_cbranch_execz .LBB126_877
; %bb.876:
	scratch_load_dwordx4 v[198:201], off, off offset:32
	v_mov_b32_e32 v6, 0
	ds_read_b128 v[202:205], v6 offset:1040
	s_waitcnt vmcnt(0) lgkmcnt(0)
	v_mul_f64 v[6:7], v[202:203], v[200:201]
	v_mul_f64 v[64:65], v[204:205], v[200:201]
	v_fmac_f64_e32 v[6:7], v[204:205], v[198:199]
	v_fma_f64 v[64:65], v[202:203], v[198:199], -v[64:65]
	v_add_f64 v[4:5], v[4:5], v[6:7]
	v_add_f64 v[2:3], v[2:3], v[64:65]
.LBB126_877:
	s_or_b64 exec, exec, s[12:13]
.LBB126_878:
	s_or_b64 exec, exec, s[8:9]
	v_mov_b32_e32 v6, 0
	ds_read_b128 v[198:201], v6 offset:48
	s_waitcnt lgkmcnt(0)
	v_mul_f64 v[6:7], v[4:5], v[200:201]
	v_mul_f64 v[202:203], v[2:3], v[200:201]
	v_fma_f64 v[200:201], v[2:3], v[198:199], -v[6:7]
	v_fmac_f64_e32 v[202:203], v[4:5], v[198:199]
	scratch_store_dwordx4 off, v[200:203], off offset:48
.LBB126_879:
	s_or_b64 exec, exec, s[6:7]
	scratch_load_dwordx4 v[2:5], v194, off
	v_cmp_gt_u32_e32 vcc, 4, v0
	s_waitcnt vmcnt(0)
	ds_write_b128 v9, v[2:5]
	s_waitcnt lgkmcnt(0)
	; wave barrier
	s_waitcnt lgkmcnt(0)
	s_and_saveexec_b64 s[6:7], vcc
	s_cbranch_execz .LBB126_887
; %bb.880:
	ds_read_b128 v[2:5], v9
	s_and_b64 vcc, exec, s[0:1]
	s_cbranch_vccnz .LBB126_882
; %bb.881:
	scratch_load_dwordx4 v[198:201], v8, off
	s_waitcnt vmcnt(0) lgkmcnt(0)
	v_mul_f64 v[64:65], v[2:3], v[200:201]
	v_mul_f64 v[6:7], v[4:5], v[200:201]
	v_fmac_f64_e32 v[64:65], v[4:5], v[198:199]
	v_fma_f64 v[2:3], v[2:3], v[198:199], -v[6:7]
	v_mov_b64_e32 v[4:5], v[64:65]
.LBB126_882:
	v_cmp_ne_u32_e32 vcc, 3, v0
	s_and_saveexec_b64 s[8:9], vcc
	s_cbranch_execz .LBB126_886
; %bb.883:
	v_mov_b32_e32 v7, 0
	v_or_b32_e32 v6, 0x400, v86
	v_add3_u32 v7, v86, v7, 24
	s_mov_b64 s[12:13], 0
	v_mov_b32_e32 v198, v0
.LBB126_884:                            ; =>This Inner Loop Header: Depth=1
	v_add_u32_e32 v64, -8, v7
	scratch_load_dwordx4 v[200:203], v64, off
	ds_read_b128 v[204:207], v6
	v_add_u32_e32 v198, 1, v198
	v_cmp_lt_u32_e32 vcc, 2, v198
	v_add_u32_e32 v6, 16, v6
	v_add_u32_e32 v7, 16, v7
	s_or_b64 s[12:13], vcc, s[12:13]
	s_waitcnt vmcnt(0) lgkmcnt(0)
	v_mul_f64 v[64:65], v[206:207], v[202:203]
	v_mul_f64 v[202:203], v[204:205], v[202:203]
	v_fma_f64 v[64:65], v[204:205], v[200:201], -v[64:65]
	v_fmac_f64_e32 v[202:203], v[206:207], v[200:201]
	v_add_f64 v[2:3], v[2:3], v[64:65]
	v_add_f64 v[4:5], v[4:5], v[202:203]
	s_andn2_b64 exec, exec, s[12:13]
	s_cbranch_execnz .LBB126_884
; %bb.885:
	s_or_b64 exec, exec, s[12:13]
.LBB126_886:
	s_or_b64 exec, exec, s[8:9]
	v_mov_b32_e32 v6, 0
	ds_read_b128 v[198:201], v6 offset:64
	s_waitcnt lgkmcnt(0)
	v_mul_f64 v[6:7], v[4:5], v[200:201]
	v_mul_f64 v[202:203], v[2:3], v[200:201]
	v_fma_f64 v[200:201], v[2:3], v[198:199], -v[6:7]
	v_fmac_f64_e32 v[202:203], v[4:5], v[198:199]
	scratch_store_dwordx4 off, v[200:203], off offset:64
.LBB126_887:
	s_or_b64 exec, exec, s[6:7]
	scratch_load_dwordx4 v[2:5], v193, off
	v_cmp_gt_u32_e64 s[6:7], 5, v0
	s_waitcnt vmcnt(0)
	ds_write_b128 v9, v[2:5]
	s_waitcnt lgkmcnt(0)
	; wave barrier
	s_waitcnt lgkmcnt(0)
	s_and_saveexec_b64 s[8:9], s[6:7]
	s_cbranch_execz .LBB126_895
; %bb.888:
	ds_read_b128 v[2:5], v9
	s_and_b64 vcc, exec, s[0:1]
	s_cbranch_vccnz .LBB126_890
; %bb.889:
	scratch_load_dwordx4 v[198:201], v8, off
	s_waitcnt vmcnt(0) lgkmcnt(0)
	v_mul_f64 v[64:65], v[2:3], v[200:201]
	v_mul_f64 v[6:7], v[4:5], v[200:201]
	v_fmac_f64_e32 v[64:65], v[4:5], v[198:199]
	v_fma_f64 v[2:3], v[2:3], v[198:199], -v[6:7]
	v_mov_b64_e32 v[4:5], v[64:65]
.LBB126_890:
	v_cmp_ne_u32_e32 vcc, 4, v0
	s_and_saveexec_b64 s[12:13], vcc
	s_cbranch_execz .LBB126_894
; %bb.891:
	v_mov_b32_e32 v7, 0
	v_or_b32_e32 v6, 0x400, v86
	v_add3_u32 v7, v86, v7, 24
	s_mov_b64 s[14:15], 0
	v_mov_b32_e32 v198, v0
.LBB126_892:                            ; =>This Inner Loop Header: Depth=1
	v_add_u32_e32 v64, -8, v7
	scratch_load_dwordx4 v[200:203], v64, off
	ds_read_b128 v[204:207], v6
	v_add_u32_e32 v198, 1, v198
	v_cmp_lt_u32_e32 vcc, 3, v198
	v_add_u32_e32 v6, 16, v6
	v_add_u32_e32 v7, 16, v7
	s_or_b64 s[14:15], vcc, s[14:15]
	s_waitcnt vmcnt(0) lgkmcnt(0)
	v_mul_f64 v[64:65], v[206:207], v[202:203]
	v_mul_f64 v[202:203], v[204:205], v[202:203]
	v_fma_f64 v[64:65], v[204:205], v[200:201], -v[64:65]
	v_fmac_f64_e32 v[202:203], v[206:207], v[200:201]
	v_add_f64 v[2:3], v[2:3], v[64:65]
	v_add_f64 v[4:5], v[4:5], v[202:203]
	s_andn2_b64 exec, exec, s[14:15]
	s_cbranch_execnz .LBB126_892
; %bb.893:
	s_or_b64 exec, exec, s[14:15]
.LBB126_894:
	s_or_b64 exec, exec, s[12:13]
	v_mov_b32_e32 v6, 0
	ds_read_b128 v[198:201], v6 offset:80
	s_waitcnt lgkmcnt(0)
	v_mul_f64 v[6:7], v[4:5], v[200:201]
	v_mul_f64 v[202:203], v[2:3], v[200:201]
	v_fma_f64 v[200:201], v[2:3], v[198:199], -v[6:7]
	v_fmac_f64_e32 v[202:203], v[4:5], v[198:199]
	scratch_store_dwordx4 off, v[200:203], off offset:80
.LBB126_895:
	s_or_b64 exec, exec, s[8:9]
	scratch_load_dwordx4 v[2:5], v192, off
	v_cmp_gt_u32_e32 vcc, 6, v0
	s_waitcnt vmcnt(0)
	ds_write_b128 v9, v[2:5]
	s_waitcnt lgkmcnt(0)
	; wave barrier
	s_waitcnt lgkmcnt(0)
	s_and_saveexec_b64 s[8:9], vcc
	s_cbranch_execz .LBB126_903
; %bb.896:
	ds_read_b128 v[2:5], v9
	s_and_b64 vcc, exec, s[0:1]
	s_cbranch_vccnz .LBB126_898
; %bb.897:
	scratch_load_dwordx4 v[198:201], v8, off
	s_waitcnt vmcnt(0) lgkmcnt(0)
	v_mul_f64 v[64:65], v[2:3], v[200:201]
	v_mul_f64 v[6:7], v[4:5], v[200:201]
	v_fmac_f64_e32 v[64:65], v[4:5], v[198:199]
	v_fma_f64 v[2:3], v[2:3], v[198:199], -v[6:7]
	v_mov_b64_e32 v[4:5], v[64:65]
.LBB126_898:
	v_cmp_ne_u32_e32 vcc, 5, v0
	s_and_saveexec_b64 s[12:13], vcc
	s_cbranch_execz .LBB126_902
; %bb.899:
	v_mov_b32_e32 v7, 0
	v_or_b32_e32 v6, 0x400, v86
	v_add3_u32 v7, v86, v7, 24
	s_mov_b64 s[14:15], 0
	v_mov_b32_e32 v198, v0
.LBB126_900:                            ; =>This Inner Loop Header: Depth=1
	v_add_u32_e32 v64, -8, v7
	scratch_load_dwordx4 v[200:203], v64, off
	ds_read_b128 v[204:207], v6
	v_add_u32_e32 v198, 1, v198
	v_cmp_lt_u32_e32 vcc, 4, v198
	v_add_u32_e32 v6, 16, v6
	v_add_u32_e32 v7, 16, v7
	s_or_b64 s[14:15], vcc, s[14:15]
	s_waitcnt vmcnt(0) lgkmcnt(0)
	v_mul_f64 v[64:65], v[206:207], v[202:203]
	v_mul_f64 v[202:203], v[204:205], v[202:203]
	v_fma_f64 v[64:65], v[204:205], v[200:201], -v[64:65]
	v_fmac_f64_e32 v[202:203], v[206:207], v[200:201]
	v_add_f64 v[2:3], v[2:3], v[64:65]
	v_add_f64 v[4:5], v[4:5], v[202:203]
	s_andn2_b64 exec, exec, s[14:15]
	s_cbranch_execnz .LBB126_900
; %bb.901:
	s_or_b64 exec, exec, s[14:15]
.LBB126_902:
	s_or_b64 exec, exec, s[12:13]
	v_mov_b32_e32 v6, 0
	ds_read_b128 v[198:201], v6 offset:96
	s_waitcnt lgkmcnt(0)
	v_mul_f64 v[6:7], v[4:5], v[200:201]
	v_mul_f64 v[202:203], v[2:3], v[200:201]
	v_fma_f64 v[200:201], v[2:3], v[198:199], -v[6:7]
	v_fmac_f64_e32 v[202:203], v[4:5], v[198:199]
	scratch_store_dwordx4 off, v[200:203], off offset:96
.LBB126_903:
	s_or_b64 exec, exec, s[8:9]
	scratch_load_dwordx4 v[2:5], v191, off
	v_cmp_gt_u32_e64 s[8:9], 7, v0
	s_waitcnt vmcnt(0)
	ds_write_b128 v9, v[2:5]
	s_waitcnt lgkmcnt(0)
	; wave barrier
	s_waitcnt lgkmcnt(0)
	s_and_saveexec_b64 s[12:13], s[8:9]
	s_cbranch_execz .LBB126_911
; %bb.904:
	ds_read_b128 v[2:5], v9
	s_and_b64 vcc, exec, s[0:1]
	s_cbranch_vccnz .LBB126_906
; %bb.905:
	scratch_load_dwordx4 v[198:201], v8, off
	s_waitcnt vmcnt(0) lgkmcnt(0)
	v_mul_f64 v[64:65], v[2:3], v[200:201]
	v_mul_f64 v[6:7], v[4:5], v[200:201]
	v_fmac_f64_e32 v[64:65], v[4:5], v[198:199]
	v_fma_f64 v[2:3], v[2:3], v[198:199], -v[6:7]
	v_mov_b64_e32 v[4:5], v[64:65]
.LBB126_906:
	v_cmp_ne_u32_e32 vcc, 6, v0
	s_and_saveexec_b64 s[14:15], vcc
	s_cbranch_execz .LBB126_910
; %bb.907:
	v_mov_b32_e32 v7, 0
	v_or_b32_e32 v6, 0x400, v86
	v_add3_u32 v7, v86, v7, 24
	s_mov_b64 s[16:17], 0
	v_mov_b32_e32 v198, v0
.LBB126_908:                            ; =>This Inner Loop Header: Depth=1
	v_add_u32_e32 v64, -8, v7
	scratch_load_dwordx4 v[200:203], v64, off
	ds_read_b128 v[204:207], v6
	v_add_u32_e32 v198, 1, v198
	v_cmp_lt_u32_e32 vcc, 5, v198
	v_add_u32_e32 v6, 16, v6
	v_add_u32_e32 v7, 16, v7
	s_or_b64 s[16:17], vcc, s[16:17]
	s_waitcnt vmcnt(0) lgkmcnt(0)
	v_mul_f64 v[64:65], v[206:207], v[202:203]
	v_mul_f64 v[202:203], v[204:205], v[202:203]
	v_fma_f64 v[64:65], v[204:205], v[200:201], -v[64:65]
	v_fmac_f64_e32 v[202:203], v[206:207], v[200:201]
	v_add_f64 v[2:3], v[2:3], v[64:65]
	v_add_f64 v[4:5], v[4:5], v[202:203]
	s_andn2_b64 exec, exec, s[16:17]
	s_cbranch_execnz .LBB126_908
; %bb.909:
	s_or_b64 exec, exec, s[16:17]
.LBB126_910:
	s_or_b64 exec, exec, s[14:15]
	v_mov_b32_e32 v6, 0
	ds_read_b128 v[198:201], v6 offset:112
	s_waitcnt lgkmcnt(0)
	v_mul_f64 v[6:7], v[4:5], v[200:201]
	v_mul_f64 v[202:203], v[2:3], v[200:201]
	v_fma_f64 v[200:201], v[2:3], v[198:199], -v[6:7]
	v_fmac_f64_e32 v[202:203], v[4:5], v[198:199]
	scratch_store_dwordx4 off, v[200:203], off offset:112
.LBB126_911:
	s_or_b64 exec, exec, s[12:13]
	scratch_load_dwordx4 v[2:5], v190, off
	v_cmp_gt_u32_e32 vcc, 8, v0
	s_waitcnt vmcnt(0)
	ds_write_b128 v9, v[2:5]
	s_waitcnt lgkmcnt(0)
	; wave barrier
	s_waitcnt lgkmcnt(0)
	s_and_saveexec_b64 s[12:13], vcc
	s_cbranch_execz .LBB126_919
; %bb.912:
	ds_read_b128 v[2:5], v9
	s_and_b64 vcc, exec, s[0:1]
	s_cbranch_vccnz .LBB126_914
; %bb.913:
	scratch_load_dwordx4 v[198:201], v8, off
	s_waitcnt vmcnt(0) lgkmcnt(0)
	v_mul_f64 v[64:65], v[2:3], v[200:201]
	v_mul_f64 v[6:7], v[4:5], v[200:201]
	v_fmac_f64_e32 v[64:65], v[4:5], v[198:199]
	v_fma_f64 v[2:3], v[2:3], v[198:199], -v[6:7]
	v_mov_b64_e32 v[4:5], v[64:65]
.LBB126_914:
	v_cmp_ne_u32_e32 vcc, 7, v0
	s_and_saveexec_b64 s[14:15], vcc
	s_cbranch_execz .LBB126_918
; %bb.915:
	v_mov_b32_e32 v7, 0
	v_or_b32_e32 v6, 0x400, v86
	v_add3_u32 v7, v86, v7, 24
	s_mov_b64 s[16:17], 0
	v_mov_b32_e32 v198, v0
.LBB126_916:                            ; =>This Inner Loop Header: Depth=1
	v_add_u32_e32 v64, -8, v7
	scratch_load_dwordx4 v[200:203], v64, off
	ds_read_b128 v[204:207], v6
	v_add_u32_e32 v198, 1, v198
	v_cmp_lt_u32_e32 vcc, 6, v198
	v_add_u32_e32 v6, 16, v6
	v_add_u32_e32 v7, 16, v7
	s_or_b64 s[16:17], vcc, s[16:17]
	s_waitcnt vmcnt(0) lgkmcnt(0)
	v_mul_f64 v[64:65], v[206:207], v[202:203]
	v_mul_f64 v[202:203], v[204:205], v[202:203]
	v_fma_f64 v[64:65], v[204:205], v[200:201], -v[64:65]
	v_fmac_f64_e32 v[202:203], v[206:207], v[200:201]
	v_add_f64 v[2:3], v[2:3], v[64:65]
	v_add_f64 v[4:5], v[4:5], v[202:203]
	s_andn2_b64 exec, exec, s[16:17]
	s_cbranch_execnz .LBB126_916
; %bb.917:
	s_or_b64 exec, exec, s[16:17]
.LBB126_918:
	s_or_b64 exec, exec, s[14:15]
	v_mov_b32_e32 v6, 0
	ds_read_b128 v[198:201], v6 offset:128
	s_waitcnt lgkmcnt(0)
	v_mul_f64 v[6:7], v[4:5], v[200:201]
	v_mul_f64 v[202:203], v[2:3], v[200:201]
	v_fma_f64 v[200:201], v[2:3], v[198:199], -v[6:7]
	v_fmac_f64_e32 v[202:203], v[4:5], v[198:199]
	scratch_store_dwordx4 off, v[200:203], off offset:128
.LBB126_919:
	s_or_b64 exec, exec, s[12:13]
	scratch_load_dwordx4 v[2:5], v189, off
	v_cmp_gt_u32_e32 vcc, 9, v0
	s_waitcnt vmcnt(0)
	ds_write_b128 v9, v[2:5]
	s_waitcnt lgkmcnt(0)
	; wave barrier
	s_waitcnt lgkmcnt(0)
	s_and_saveexec_b64 s[12:13], vcc
	s_cbranch_execz .LBB126_939
; %bb.920:
	ds_read_b128 v[2:5], v9
	s_and_b64 vcc, exec, s[0:1]
	s_cbranch_vccnz .LBB126_922
; %bb.921:
	scratch_load_dwordx4 v[198:201], v8, off
	s_waitcnt vmcnt(0) lgkmcnt(0)
	v_mul_f64 v[64:65], v[2:3], v[200:201]
	v_mul_f64 v[6:7], v[4:5], v[200:201]
	v_fmac_f64_e32 v[64:65], v[4:5], v[198:199]
	v_fma_f64 v[2:3], v[2:3], v[198:199], -v[6:7]
	v_mov_b64_e32 v[4:5], v[64:65]
.LBB126_922:
	v_cmp_ne_u32_e32 vcc, 8, v0
	s_and_saveexec_b64 s[14:15], vcc
	s_cbranch_execz .LBB126_938
; %bb.923:
	scratch_load_dwordx4 v[198:201], v8, off offset:16
	ds_read_b128 v[202:205], v9 offset:16
	s_waitcnt vmcnt(0) lgkmcnt(0)
	v_mul_f64 v[6:7], v[204:205], v[200:201]
	v_mul_f64 v[64:65], v[202:203], v[200:201]
	v_fma_f64 v[6:7], v[202:203], v[198:199], -v[6:7]
	v_fmac_f64_e32 v[64:65], v[204:205], v[198:199]
	v_add_f64 v[2:3], v[2:3], v[6:7]
	v_add_f64 v[4:5], v[4:5], v[64:65]
	s_and_saveexec_b64 s[16:17], s[8:9]
	s_cbranch_execz .LBB126_937
; %bb.924:
	scratch_load_dwordx4 v[198:201], v8, off offset:32
	ds_read_b128 v[202:205], v9 offset:32
	v_cmp_ne_u32_e32 vcc, 6, v0
	s_waitcnt vmcnt(0) lgkmcnt(0)
	v_mul_f64 v[6:7], v[204:205], v[200:201]
	v_mul_f64 v[64:65], v[202:203], v[200:201]
	v_fma_f64 v[6:7], v[202:203], v[198:199], -v[6:7]
	v_fmac_f64_e32 v[64:65], v[204:205], v[198:199]
	v_add_f64 v[2:3], v[2:3], v[6:7]
	v_add_f64 v[4:5], v[4:5], v[64:65]
	s_and_saveexec_b64 s[8:9], vcc
	s_cbranch_execz .LBB126_936
; %bb.925:
	scratch_load_dwordx4 v[198:201], v8, off offset:48
	ds_read_b128 v[202:205], v9 offset:48
	s_waitcnt vmcnt(0) lgkmcnt(0)
	v_mul_f64 v[6:7], v[204:205], v[200:201]
	v_mul_f64 v[64:65], v[202:203], v[200:201]
	v_fma_f64 v[6:7], v[202:203], v[198:199], -v[6:7]
	v_fmac_f64_e32 v[64:65], v[204:205], v[198:199]
	v_add_f64 v[2:3], v[2:3], v[6:7]
	v_add_f64 v[4:5], v[4:5], v[64:65]
	s_and_saveexec_b64 s[18:19], s[6:7]
	s_cbranch_execz .LBB126_935
; %bb.926:
	scratch_load_dwordx4 v[198:201], v8, off offset:64
	ds_read_b128 v[202:205], v9 offset:64
	v_cmp_ne_u32_e32 vcc, 4, v0
	s_waitcnt vmcnt(0) lgkmcnt(0)
	v_mul_f64 v[6:7], v[204:205], v[200:201]
	v_mul_f64 v[64:65], v[202:203], v[200:201]
	v_fma_f64 v[6:7], v[202:203], v[198:199], -v[6:7]
	v_fmac_f64_e32 v[64:65], v[204:205], v[198:199]
	v_add_f64 v[2:3], v[2:3], v[6:7]
	v_add_f64 v[4:5], v[4:5], v[64:65]
	;; [unrolled: 25-line block ×3, first 2 shown]
	s_and_saveexec_b64 s[4:5], vcc
	s_cbranch_execz .LBB126_932
; %bb.929:
	scratch_load_dwordx4 v[198:201], v8, off offset:112
	ds_read_b128 v[202:205], v9 offset:112
	s_waitcnt vmcnt(0) lgkmcnt(0)
	v_mul_f64 v[6:7], v[204:205], v[200:201]
	v_mul_f64 v[64:65], v[202:203], v[200:201]
	v_fma_f64 v[6:7], v[202:203], v[198:199], -v[6:7]
	v_fmac_f64_e32 v[64:65], v[204:205], v[198:199]
	v_add_f64 v[2:3], v[2:3], v[6:7]
	v_add_f64 v[4:5], v[4:5], v[64:65]
	s_and_saveexec_b64 s[22:23], s[2:3]
	s_cbranch_execz .LBB126_931
; %bb.930:
	scratch_load_dwordx4 v[198:201], v8, off offset:128
	ds_read_b128 v[202:205], v9 offset:128
	s_waitcnt vmcnt(0) lgkmcnt(0)
	v_mul_f64 v[6:7], v[204:205], v[200:201]
	v_mul_f64 v[64:65], v[202:203], v[200:201]
	v_fma_f64 v[6:7], v[202:203], v[198:199], -v[6:7]
	v_fmac_f64_e32 v[64:65], v[204:205], v[198:199]
	v_add_f64 v[2:3], v[2:3], v[6:7]
	v_add_f64 v[4:5], v[4:5], v[64:65]
.LBB126_931:
	s_or_b64 exec, exec, s[22:23]
.LBB126_932:
	s_or_b64 exec, exec, s[4:5]
.LBB126_933:
	s_or_b64 exec, exec, s[20:21]
.LBB126_934:
	s_or_b64 exec, exec, s[6:7]
.LBB126_935:
	s_or_b64 exec, exec, s[18:19]
.LBB126_936:
	s_or_b64 exec, exec, s[8:9]
.LBB126_937:
	s_or_b64 exec, exec, s[16:17]
.LBB126_938:
	s_or_b64 exec, exec, s[14:15]
	v_mov_b32_e32 v6, 0
	ds_read_b128 v[198:201], v6 offset:144
	s_waitcnt lgkmcnt(0)
	v_mul_f64 v[6:7], v[4:5], v[200:201]
	v_mul_f64 v[202:203], v[2:3], v[200:201]
	v_fma_f64 v[200:201], v[2:3], v[198:199], -v[6:7]
	v_fmac_f64_e32 v[202:203], v[4:5], v[198:199]
	scratch_store_dwordx4 off, v[200:203], off offset:144
.LBB126_939:
	s_or_b64 exec, exec, s[12:13]
	scratch_load_dwordx4 v[2:5], v188, off
	v_cmp_gt_u32_e32 vcc, 10, v0
	s_waitcnt vmcnt(0)
	ds_write_b128 v9, v[2:5]
	s_waitcnt lgkmcnt(0)
	; wave barrier
	s_waitcnt lgkmcnt(0)
	s_and_saveexec_b64 s[2:3], vcc
	s_cbranch_execz .LBB126_947
; %bb.940:
	ds_read_b128 v[2:5], v9
	s_and_b64 vcc, exec, s[0:1]
	s_cbranch_vccnz .LBB126_942
; %bb.941:
	scratch_load_dwordx4 v[198:201], v8, off
	s_waitcnt vmcnt(0) lgkmcnt(0)
	v_mul_f64 v[64:65], v[2:3], v[200:201]
	v_mul_f64 v[6:7], v[4:5], v[200:201]
	v_fmac_f64_e32 v[64:65], v[4:5], v[198:199]
	v_fma_f64 v[2:3], v[2:3], v[198:199], -v[6:7]
	v_mov_b64_e32 v[4:5], v[64:65]
.LBB126_942:
	v_cmp_ne_u32_e32 vcc, 9, v0
	s_and_saveexec_b64 s[4:5], vcc
	s_cbranch_execz .LBB126_946
; %bb.943:
	v_mov_b32_e32 v7, 0
	v_or_b32_e32 v6, 0x400, v86
	v_add3_u32 v7, v86, v7, 24
	s_mov_b64 s[6:7], 0
	v_mov_b32_e32 v198, v0
.LBB126_944:                            ; =>This Inner Loop Header: Depth=1
	v_add_u32_e32 v64, -8, v7
	scratch_load_dwordx4 v[200:203], v64, off
	ds_read_b128 v[204:207], v6
	v_add_u32_e32 v198, 1, v198
	v_cmp_lt_u32_e32 vcc, 8, v198
	v_add_u32_e32 v6, 16, v6
	v_add_u32_e32 v7, 16, v7
	s_or_b64 s[6:7], vcc, s[6:7]
	s_waitcnt vmcnt(0) lgkmcnt(0)
	v_mul_f64 v[64:65], v[206:207], v[202:203]
	v_mul_f64 v[202:203], v[204:205], v[202:203]
	v_fma_f64 v[64:65], v[204:205], v[200:201], -v[64:65]
	v_fmac_f64_e32 v[202:203], v[206:207], v[200:201]
	v_add_f64 v[2:3], v[2:3], v[64:65]
	v_add_f64 v[4:5], v[4:5], v[202:203]
	s_andn2_b64 exec, exec, s[6:7]
	s_cbranch_execnz .LBB126_944
; %bb.945:
	s_or_b64 exec, exec, s[6:7]
.LBB126_946:
	s_or_b64 exec, exec, s[4:5]
	v_mov_b32_e32 v6, 0
	ds_read_b128 v[198:201], v6 offset:160
	s_waitcnt lgkmcnt(0)
	v_mul_f64 v[6:7], v[4:5], v[200:201]
	v_mul_f64 v[202:203], v[2:3], v[200:201]
	v_fma_f64 v[200:201], v[2:3], v[198:199], -v[6:7]
	v_fmac_f64_e32 v[202:203], v[4:5], v[198:199]
	scratch_store_dwordx4 off, v[200:203], off offset:160
.LBB126_947:
	s_or_b64 exec, exec, s[2:3]
	scratch_load_dwordx4 v[2:5], v187, off
	v_cmp_gt_u32_e32 vcc, 11, v0
	s_waitcnt vmcnt(0)
	ds_write_b128 v9, v[2:5]
	s_waitcnt lgkmcnt(0)
	; wave barrier
	s_waitcnt lgkmcnt(0)
	s_and_saveexec_b64 s[2:3], vcc
	s_cbranch_execz .LBB126_955
; %bb.948:
	ds_read_b128 v[2:5], v9
	s_and_b64 vcc, exec, s[0:1]
	s_cbranch_vccnz .LBB126_950
; %bb.949:
	scratch_load_dwordx4 v[198:201], v8, off
	s_waitcnt vmcnt(0) lgkmcnt(0)
	v_mul_f64 v[64:65], v[2:3], v[200:201]
	v_mul_f64 v[6:7], v[4:5], v[200:201]
	v_fmac_f64_e32 v[64:65], v[4:5], v[198:199]
	v_fma_f64 v[2:3], v[2:3], v[198:199], -v[6:7]
	v_mov_b64_e32 v[4:5], v[64:65]
.LBB126_950:
	v_cmp_ne_u32_e32 vcc, 10, v0
	s_and_saveexec_b64 s[4:5], vcc
	s_cbranch_execz .LBB126_954
; %bb.951:
	v_mov_b32_e32 v7, 0
	v_or_b32_e32 v6, 0x400, v86
	v_add3_u32 v7, v86, v7, 24
	s_mov_b64 s[6:7], 0
	v_mov_b32_e32 v198, v0
.LBB126_952:                            ; =>This Inner Loop Header: Depth=1
	v_add_u32_e32 v64, -8, v7
	scratch_load_dwordx4 v[200:203], v64, off
	ds_read_b128 v[204:207], v6
	v_add_u32_e32 v198, 1, v198
	v_cmp_lt_u32_e32 vcc, 9, v198
	v_add_u32_e32 v6, 16, v6
	v_add_u32_e32 v7, 16, v7
	s_or_b64 s[6:7], vcc, s[6:7]
	s_waitcnt vmcnt(0) lgkmcnt(0)
	v_mul_f64 v[64:65], v[206:207], v[202:203]
	v_mul_f64 v[202:203], v[204:205], v[202:203]
	v_fma_f64 v[64:65], v[204:205], v[200:201], -v[64:65]
	v_fmac_f64_e32 v[202:203], v[206:207], v[200:201]
	v_add_f64 v[2:3], v[2:3], v[64:65]
	v_add_f64 v[4:5], v[4:5], v[202:203]
	s_andn2_b64 exec, exec, s[6:7]
	s_cbranch_execnz .LBB126_952
; %bb.953:
	s_or_b64 exec, exec, s[6:7]
.LBB126_954:
	s_or_b64 exec, exec, s[4:5]
	v_mov_b32_e32 v6, 0
	ds_read_b128 v[198:201], v6 offset:176
	s_waitcnt lgkmcnt(0)
	v_mul_f64 v[6:7], v[4:5], v[200:201]
	v_mul_f64 v[202:203], v[2:3], v[200:201]
	v_fma_f64 v[200:201], v[2:3], v[198:199], -v[6:7]
	v_fmac_f64_e32 v[202:203], v[4:5], v[198:199]
	scratch_store_dwordx4 off, v[200:203], off offset:176
.LBB126_955:
	s_or_b64 exec, exec, s[2:3]
	scratch_load_dwordx4 v[2:5], v186, off
	v_cmp_gt_u32_e32 vcc, 12, v0
	s_waitcnt vmcnt(0)
	ds_write_b128 v9, v[2:5]
	s_waitcnt lgkmcnt(0)
	; wave barrier
	s_waitcnt lgkmcnt(0)
	s_and_saveexec_b64 s[2:3], vcc
	s_cbranch_execz .LBB126_963
; %bb.956:
	ds_read_b128 v[2:5], v9
	s_and_b64 vcc, exec, s[0:1]
	s_cbranch_vccnz .LBB126_958
; %bb.957:
	scratch_load_dwordx4 v[198:201], v8, off
	s_waitcnt vmcnt(0) lgkmcnt(0)
	v_mul_f64 v[64:65], v[2:3], v[200:201]
	v_mul_f64 v[6:7], v[4:5], v[200:201]
	v_fmac_f64_e32 v[64:65], v[4:5], v[198:199]
	v_fma_f64 v[2:3], v[2:3], v[198:199], -v[6:7]
	v_mov_b64_e32 v[4:5], v[64:65]
.LBB126_958:
	v_cmp_ne_u32_e32 vcc, 11, v0
	s_and_saveexec_b64 s[4:5], vcc
	s_cbranch_execz .LBB126_962
; %bb.959:
	v_mov_b32_e32 v7, 0
	v_or_b32_e32 v6, 0x400, v86
	v_add3_u32 v7, v86, v7, 24
	s_mov_b64 s[6:7], 0
	v_mov_b32_e32 v198, v0
.LBB126_960:                            ; =>This Inner Loop Header: Depth=1
	v_add_u32_e32 v64, -8, v7
	scratch_load_dwordx4 v[200:203], v64, off
	ds_read_b128 v[204:207], v6
	v_add_u32_e32 v198, 1, v198
	v_cmp_lt_u32_e32 vcc, 10, v198
	v_add_u32_e32 v6, 16, v6
	v_add_u32_e32 v7, 16, v7
	s_or_b64 s[6:7], vcc, s[6:7]
	s_waitcnt vmcnt(0) lgkmcnt(0)
	v_mul_f64 v[64:65], v[206:207], v[202:203]
	v_mul_f64 v[202:203], v[204:205], v[202:203]
	v_fma_f64 v[64:65], v[204:205], v[200:201], -v[64:65]
	v_fmac_f64_e32 v[202:203], v[206:207], v[200:201]
	v_add_f64 v[2:3], v[2:3], v[64:65]
	v_add_f64 v[4:5], v[4:5], v[202:203]
	s_andn2_b64 exec, exec, s[6:7]
	s_cbranch_execnz .LBB126_960
; %bb.961:
	s_or_b64 exec, exec, s[6:7]
.LBB126_962:
	s_or_b64 exec, exec, s[4:5]
	v_mov_b32_e32 v6, 0
	ds_read_b128 v[198:201], v6 offset:192
	s_waitcnt lgkmcnt(0)
	v_mul_f64 v[6:7], v[4:5], v[200:201]
	v_mul_f64 v[202:203], v[2:3], v[200:201]
	v_fma_f64 v[200:201], v[2:3], v[198:199], -v[6:7]
	v_fmac_f64_e32 v[202:203], v[4:5], v[198:199]
	scratch_store_dwordx4 off, v[200:203], off offset:192
.LBB126_963:
	s_or_b64 exec, exec, s[2:3]
	scratch_load_dwordx4 v[2:5], v185, off
	v_cmp_gt_u32_e32 vcc, 13, v0
	s_waitcnt vmcnt(0)
	ds_write_b128 v9, v[2:5]
	s_waitcnt lgkmcnt(0)
	; wave barrier
	s_waitcnt lgkmcnt(0)
	s_and_saveexec_b64 s[2:3], vcc
	s_cbranch_execz .LBB126_971
; %bb.964:
	ds_read_b128 v[2:5], v9
	s_and_b64 vcc, exec, s[0:1]
	s_cbranch_vccnz .LBB126_966
; %bb.965:
	scratch_load_dwordx4 v[198:201], v8, off
	s_waitcnt vmcnt(0) lgkmcnt(0)
	v_mul_f64 v[64:65], v[2:3], v[200:201]
	v_mul_f64 v[6:7], v[4:5], v[200:201]
	v_fmac_f64_e32 v[64:65], v[4:5], v[198:199]
	v_fma_f64 v[2:3], v[2:3], v[198:199], -v[6:7]
	v_mov_b64_e32 v[4:5], v[64:65]
.LBB126_966:
	v_cmp_ne_u32_e32 vcc, 12, v0
	s_and_saveexec_b64 s[4:5], vcc
	s_cbranch_execz .LBB126_970
; %bb.967:
	v_mov_b32_e32 v7, 0
	v_or_b32_e32 v6, 0x400, v86
	v_add3_u32 v7, v86, v7, 24
	s_mov_b64 s[6:7], 0
	v_mov_b32_e32 v198, v0
.LBB126_968:                            ; =>This Inner Loop Header: Depth=1
	v_add_u32_e32 v64, -8, v7
	scratch_load_dwordx4 v[200:203], v64, off
	ds_read_b128 v[204:207], v6
	v_add_u32_e32 v198, 1, v198
	v_cmp_lt_u32_e32 vcc, 11, v198
	v_add_u32_e32 v6, 16, v6
	v_add_u32_e32 v7, 16, v7
	s_or_b64 s[6:7], vcc, s[6:7]
	s_waitcnt vmcnt(0) lgkmcnt(0)
	v_mul_f64 v[64:65], v[206:207], v[202:203]
	v_mul_f64 v[202:203], v[204:205], v[202:203]
	v_fma_f64 v[64:65], v[204:205], v[200:201], -v[64:65]
	v_fmac_f64_e32 v[202:203], v[206:207], v[200:201]
	v_add_f64 v[2:3], v[2:3], v[64:65]
	v_add_f64 v[4:5], v[4:5], v[202:203]
	s_andn2_b64 exec, exec, s[6:7]
	s_cbranch_execnz .LBB126_968
; %bb.969:
	s_or_b64 exec, exec, s[6:7]
.LBB126_970:
	s_or_b64 exec, exec, s[4:5]
	v_mov_b32_e32 v6, 0
	ds_read_b128 v[198:201], v6 offset:208
	s_waitcnt lgkmcnt(0)
	v_mul_f64 v[6:7], v[4:5], v[200:201]
	v_mul_f64 v[202:203], v[2:3], v[200:201]
	v_fma_f64 v[200:201], v[2:3], v[198:199], -v[6:7]
	v_fmac_f64_e32 v[202:203], v[4:5], v[198:199]
	scratch_store_dwordx4 off, v[200:203], off offset:208
.LBB126_971:
	s_or_b64 exec, exec, s[2:3]
	scratch_load_dwordx4 v[2:5], v184, off
	v_cmp_gt_u32_e32 vcc, 14, v0
	s_waitcnt vmcnt(0)
	ds_write_b128 v9, v[2:5]
	s_waitcnt lgkmcnt(0)
	; wave barrier
	s_waitcnt lgkmcnt(0)
	s_and_saveexec_b64 s[2:3], vcc
	s_cbranch_execz .LBB126_979
; %bb.972:
	ds_read_b128 v[2:5], v9
	s_and_b64 vcc, exec, s[0:1]
	s_cbranch_vccnz .LBB126_974
; %bb.973:
	scratch_load_dwordx4 v[198:201], v8, off
	s_waitcnt vmcnt(0) lgkmcnt(0)
	v_mul_f64 v[64:65], v[2:3], v[200:201]
	v_mul_f64 v[6:7], v[4:5], v[200:201]
	v_fmac_f64_e32 v[64:65], v[4:5], v[198:199]
	v_fma_f64 v[2:3], v[2:3], v[198:199], -v[6:7]
	v_mov_b64_e32 v[4:5], v[64:65]
.LBB126_974:
	v_cmp_ne_u32_e32 vcc, 13, v0
	s_and_saveexec_b64 s[4:5], vcc
	s_cbranch_execz .LBB126_978
; %bb.975:
	v_mov_b32_e32 v7, 0
	v_or_b32_e32 v6, 0x400, v86
	v_add3_u32 v7, v86, v7, 24
	s_mov_b64 s[6:7], 0
	v_mov_b32_e32 v198, v0
.LBB126_976:                            ; =>This Inner Loop Header: Depth=1
	v_add_u32_e32 v64, -8, v7
	scratch_load_dwordx4 v[200:203], v64, off
	ds_read_b128 v[204:207], v6
	v_add_u32_e32 v198, 1, v198
	v_cmp_lt_u32_e32 vcc, 12, v198
	v_add_u32_e32 v6, 16, v6
	v_add_u32_e32 v7, 16, v7
	s_or_b64 s[6:7], vcc, s[6:7]
	s_waitcnt vmcnt(0) lgkmcnt(0)
	v_mul_f64 v[64:65], v[206:207], v[202:203]
	v_mul_f64 v[202:203], v[204:205], v[202:203]
	v_fma_f64 v[64:65], v[204:205], v[200:201], -v[64:65]
	v_fmac_f64_e32 v[202:203], v[206:207], v[200:201]
	v_add_f64 v[2:3], v[2:3], v[64:65]
	v_add_f64 v[4:5], v[4:5], v[202:203]
	s_andn2_b64 exec, exec, s[6:7]
	s_cbranch_execnz .LBB126_976
; %bb.977:
	s_or_b64 exec, exec, s[6:7]
.LBB126_978:
	s_or_b64 exec, exec, s[4:5]
	v_mov_b32_e32 v6, 0
	ds_read_b128 v[198:201], v6 offset:224
	s_waitcnt lgkmcnt(0)
	v_mul_f64 v[6:7], v[4:5], v[200:201]
	v_mul_f64 v[202:203], v[2:3], v[200:201]
	v_fma_f64 v[200:201], v[2:3], v[198:199], -v[6:7]
	v_fmac_f64_e32 v[202:203], v[4:5], v[198:199]
	scratch_store_dwordx4 off, v[200:203], off offset:224
.LBB126_979:
	s_or_b64 exec, exec, s[2:3]
	scratch_load_dwordx4 v[2:5], v183, off
	v_cmp_gt_u32_e32 vcc, 15, v0
	s_waitcnt vmcnt(0)
	ds_write_b128 v9, v[2:5]
	s_waitcnt lgkmcnt(0)
	; wave barrier
	s_waitcnt lgkmcnt(0)
	s_and_saveexec_b64 s[2:3], vcc
	s_cbranch_execz .LBB126_987
; %bb.980:
	ds_read_b128 v[2:5], v9
	s_and_b64 vcc, exec, s[0:1]
	s_cbranch_vccnz .LBB126_982
; %bb.981:
	scratch_load_dwordx4 v[198:201], v8, off
	s_waitcnt vmcnt(0) lgkmcnt(0)
	v_mul_f64 v[64:65], v[2:3], v[200:201]
	v_mul_f64 v[6:7], v[4:5], v[200:201]
	v_fmac_f64_e32 v[64:65], v[4:5], v[198:199]
	v_fma_f64 v[2:3], v[2:3], v[198:199], -v[6:7]
	v_mov_b64_e32 v[4:5], v[64:65]
.LBB126_982:
	v_cmp_ne_u32_e32 vcc, 14, v0
	s_and_saveexec_b64 s[4:5], vcc
	s_cbranch_execz .LBB126_986
; %bb.983:
	v_mov_b32_e32 v7, 0
	v_or_b32_e32 v6, 0x400, v86
	v_add3_u32 v7, v86, v7, 24
	s_mov_b64 s[6:7], 0
	v_mov_b32_e32 v198, v0
.LBB126_984:                            ; =>This Inner Loop Header: Depth=1
	v_add_u32_e32 v64, -8, v7
	scratch_load_dwordx4 v[200:203], v64, off
	ds_read_b128 v[204:207], v6
	v_add_u32_e32 v198, 1, v198
	v_cmp_lt_u32_e32 vcc, 13, v198
	v_add_u32_e32 v6, 16, v6
	v_add_u32_e32 v7, 16, v7
	s_or_b64 s[6:7], vcc, s[6:7]
	s_waitcnt vmcnt(0) lgkmcnt(0)
	v_mul_f64 v[64:65], v[206:207], v[202:203]
	v_mul_f64 v[202:203], v[204:205], v[202:203]
	v_fma_f64 v[64:65], v[204:205], v[200:201], -v[64:65]
	v_fmac_f64_e32 v[202:203], v[206:207], v[200:201]
	v_add_f64 v[2:3], v[2:3], v[64:65]
	v_add_f64 v[4:5], v[4:5], v[202:203]
	s_andn2_b64 exec, exec, s[6:7]
	s_cbranch_execnz .LBB126_984
; %bb.985:
	s_or_b64 exec, exec, s[6:7]
.LBB126_986:
	s_or_b64 exec, exec, s[4:5]
	v_mov_b32_e32 v6, 0
	ds_read_b128 v[198:201], v6 offset:240
	s_waitcnt lgkmcnt(0)
	v_mul_f64 v[6:7], v[4:5], v[200:201]
	v_mul_f64 v[202:203], v[2:3], v[200:201]
	v_fma_f64 v[200:201], v[2:3], v[198:199], -v[6:7]
	v_fmac_f64_e32 v[202:203], v[4:5], v[198:199]
	scratch_store_dwordx4 off, v[200:203], off offset:240
.LBB126_987:
	s_or_b64 exec, exec, s[2:3]
	scratch_load_dwordx4 v[2:5], v182, off
	v_cmp_gt_u32_e32 vcc, 16, v0
	s_waitcnt vmcnt(0)
	ds_write_b128 v9, v[2:5]
	s_waitcnt lgkmcnt(0)
	; wave barrier
	s_waitcnt lgkmcnt(0)
	s_and_saveexec_b64 s[2:3], vcc
	s_cbranch_execz .LBB126_995
; %bb.988:
	ds_read_b128 v[2:5], v9
	s_and_b64 vcc, exec, s[0:1]
	s_cbranch_vccnz .LBB126_990
; %bb.989:
	scratch_load_dwordx4 v[198:201], v8, off
	s_waitcnt vmcnt(0) lgkmcnt(0)
	v_mul_f64 v[64:65], v[2:3], v[200:201]
	v_mul_f64 v[6:7], v[4:5], v[200:201]
	v_fmac_f64_e32 v[64:65], v[4:5], v[198:199]
	v_fma_f64 v[2:3], v[2:3], v[198:199], -v[6:7]
	v_mov_b64_e32 v[4:5], v[64:65]
.LBB126_990:
	v_cmp_ne_u32_e32 vcc, 15, v0
	s_and_saveexec_b64 s[4:5], vcc
	s_cbranch_execz .LBB126_994
; %bb.991:
	v_mov_b32_e32 v7, 0
	v_or_b32_e32 v6, 0x400, v86
	v_add3_u32 v7, v86, v7, 24
	s_mov_b64 s[6:7], 0
	v_mov_b32_e32 v198, v0
.LBB126_992:                            ; =>This Inner Loop Header: Depth=1
	v_add_u32_e32 v64, -8, v7
	scratch_load_dwordx4 v[200:203], v64, off
	ds_read_b128 v[204:207], v6
	v_add_u32_e32 v198, 1, v198
	v_cmp_lt_u32_e32 vcc, 14, v198
	v_add_u32_e32 v6, 16, v6
	v_add_u32_e32 v7, 16, v7
	s_or_b64 s[6:7], vcc, s[6:7]
	s_waitcnt vmcnt(0) lgkmcnt(0)
	v_mul_f64 v[64:65], v[206:207], v[202:203]
	v_mul_f64 v[202:203], v[204:205], v[202:203]
	v_fma_f64 v[64:65], v[204:205], v[200:201], -v[64:65]
	v_fmac_f64_e32 v[202:203], v[206:207], v[200:201]
	v_add_f64 v[2:3], v[2:3], v[64:65]
	v_add_f64 v[4:5], v[4:5], v[202:203]
	s_andn2_b64 exec, exec, s[6:7]
	s_cbranch_execnz .LBB126_992
; %bb.993:
	s_or_b64 exec, exec, s[6:7]
.LBB126_994:
	s_or_b64 exec, exec, s[4:5]
	v_mov_b32_e32 v6, 0
	ds_read_b128 v[198:201], v6 offset:256
	s_waitcnt lgkmcnt(0)
	v_mul_f64 v[6:7], v[4:5], v[200:201]
	v_mul_f64 v[202:203], v[2:3], v[200:201]
	v_fma_f64 v[200:201], v[2:3], v[198:199], -v[6:7]
	v_fmac_f64_e32 v[202:203], v[4:5], v[198:199]
	scratch_store_dwordx4 off, v[200:203], off offset:256
.LBB126_995:
	s_or_b64 exec, exec, s[2:3]
	scratch_load_dwordx4 v[2:5], v181, off
	v_cmp_gt_u32_e32 vcc, 17, v0
	s_waitcnt vmcnt(0)
	ds_write_b128 v9, v[2:5]
	s_waitcnt lgkmcnt(0)
	; wave barrier
	s_waitcnt lgkmcnt(0)
	s_and_saveexec_b64 s[2:3], vcc
	s_cbranch_execz .LBB126_1003
; %bb.996:
	ds_read_b128 v[2:5], v9
	s_and_b64 vcc, exec, s[0:1]
	s_cbranch_vccnz .LBB126_998
; %bb.997:
	scratch_load_dwordx4 v[198:201], v8, off
	s_waitcnt vmcnt(0) lgkmcnt(0)
	v_mul_f64 v[64:65], v[2:3], v[200:201]
	v_mul_f64 v[6:7], v[4:5], v[200:201]
	v_fmac_f64_e32 v[64:65], v[4:5], v[198:199]
	v_fma_f64 v[2:3], v[2:3], v[198:199], -v[6:7]
	v_mov_b64_e32 v[4:5], v[64:65]
.LBB126_998:
	v_cmp_ne_u32_e32 vcc, 16, v0
	s_and_saveexec_b64 s[4:5], vcc
	s_cbranch_execz .LBB126_1002
; %bb.999:
	v_mov_b32_e32 v7, 0
	v_or_b32_e32 v6, 0x400, v86
	v_add3_u32 v7, v86, v7, 24
	s_mov_b64 s[6:7], 0
	v_mov_b32_e32 v198, v0
.LBB126_1000:                           ; =>This Inner Loop Header: Depth=1
	v_add_u32_e32 v64, -8, v7
	scratch_load_dwordx4 v[200:203], v64, off
	ds_read_b128 v[204:207], v6
	v_add_u32_e32 v198, 1, v198
	v_cmp_lt_u32_e32 vcc, 15, v198
	v_add_u32_e32 v6, 16, v6
	v_add_u32_e32 v7, 16, v7
	s_or_b64 s[6:7], vcc, s[6:7]
	s_waitcnt vmcnt(0) lgkmcnt(0)
	v_mul_f64 v[64:65], v[206:207], v[202:203]
	v_mul_f64 v[202:203], v[204:205], v[202:203]
	v_fma_f64 v[64:65], v[204:205], v[200:201], -v[64:65]
	v_fmac_f64_e32 v[202:203], v[206:207], v[200:201]
	v_add_f64 v[2:3], v[2:3], v[64:65]
	v_add_f64 v[4:5], v[4:5], v[202:203]
	s_andn2_b64 exec, exec, s[6:7]
	s_cbranch_execnz .LBB126_1000
; %bb.1001:
	s_or_b64 exec, exec, s[6:7]
.LBB126_1002:
	s_or_b64 exec, exec, s[4:5]
	v_mov_b32_e32 v6, 0
	ds_read_b128 v[198:201], v6 offset:272
	s_waitcnt lgkmcnt(0)
	v_mul_f64 v[6:7], v[4:5], v[200:201]
	v_mul_f64 v[202:203], v[2:3], v[200:201]
	v_fma_f64 v[200:201], v[2:3], v[198:199], -v[6:7]
	v_fmac_f64_e32 v[202:203], v[4:5], v[198:199]
	scratch_store_dwordx4 off, v[200:203], off offset:272
.LBB126_1003:
	s_or_b64 exec, exec, s[2:3]
	scratch_load_dwordx4 v[2:5], v180, off
	v_cmp_gt_u32_e32 vcc, 18, v0
	s_waitcnt vmcnt(0)
	ds_write_b128 v9, v[2:5]
	s_waitcnt lgkmcnt(0)
	; wave barrier
	s_waitcnt lgkmcnt(0)
	s_and_saveexec_b64 s[2:3], vcc
	s_cbranch_execz .LBB126_1011
; %bb.1004:
	ds_read_b128 v[2:5], v9
	s_and_b64 vcc, exec, s[0:1]
	s_cbranch_vccnz .LBB126_1006
; %bb.1005:
	scratch_load_dwordx4 v[198:201], v8, off
	s_waitcnt vmcnt(0) lgkmcnt(0)
	v_mul_f64 v[64:65], v[2:3], v[200:201]
	v_mul_f64 v[6:7], v[4:5], v[200:201]
	v_fmac_f64_e32 v[64:65], v[4:5], v[198:199]
	v_fma_f64 v[2:3], v[2:3], v[198:199], -v[6:7]
	v_mov_b64_e32 v[4:5], v[64:65]
.LBB126_1006:
	v_cmp_ne_u32_e32 vcc, 17, v0
	s_and_saveexec_b64 s[4:5], vcc
	s_cbranch_execz .LBB126_1010
; %bb.1007:
	v_mov_b32_e32 v7, 0
	v_or_b32_e32 v6, 0x400, v86
	v_add3_u32 v7, v86, v7, 24
	s_mov_b64 s[6:7], 0
	v_mov_b32_e32 v198, v0
.LBB126_1008:                           ; =>This Inner Loop Header: Depth=1
	v_add_u32_e32 v64, -8, v7
	scratch_load_dwordx4 v[200:203], v64, off
	ds_read_b128 v[204:207], v6
	v_add_u32_e32 v198, 1, v198
	v_cmp_lt_u32_e32 vcc, 16, v198
	v_add_u32_e32 v6, 16, v6
	v_add_u32_e32 v7, 16, v7
	s_or_b64 s[6:7], vcc, s[6:7]
	s_waitcnt vmcnt(0) lgkmcnt(0)
	v_mul_f64 v[64:65], v[206:207], v[202:203]
	v_mul_f64 v[202:203], v[204:205], v[202:203]
	v_fma_f64 v[64:65], v[204:205], v[200:201], -v[64:65]
	v_fmac_f64_e32 v[202:203], v[206:207], v[200:201]
	v_add_f64 v[2:3], v[2:3], v[64:65]
	v_add_f64 v[4:5], v[4:5], v[202:203]
	s_andn2_b64 exec, exec, s[6:7]
	s_cbranch_execnz .LBB126_1008
; %bb.1009:
	s_or_b64 exec, exec, s[6:7]
.LBB126_1010:
	s_or_b64 exec, exec, s[4:5]
	v_mov_b32_e32 v6, 0
	ds_read_b128 v[198:201], v6 offset:288
	s_waitcnt lgkmcnt(0)
	v_mul_f64 v[6:7], v[4:5], v[200:201]
	v_mul_f64 v[202:203], v[2:3], v[200:201]
	v_fma_f64 v[200:201], v[2:3], v[198:199], -v[6:7]
	v_fmac_f64_e32 v[202:203], v[4:5], v[198:199]
	scratch_store_dwordx4 off, v[200:203], off offset:288
.LBB126_1011:
	;; [unrolled: 63-line block ×44, first 2 shown]
	s_or_b64 exec, exec, s[2:3]
	scratch_load_dwordx4 v[2:5], v10, off
	v_cmp_gt_u32_e64 s[2:3], 61, v0
	s_waitcnt vmcnt(0)
	ds_write_b128 v9, v[2:5]
	s_waitcnt lgkmcnt(0)
	; wave barrier
	s_waitcnt lgkmcnt(0)
	s_and_saveexec_b64 s[4:5], s[2:3]
	s_cbranch_execz .LBB126_1355
; %bb.1348:
	ds_read_b128 v[2:5], v9
	s_and_b64 vcc, exec, s[0:1]
	s_cbranch_vccnz .LBB126_1350
; %bb.1349:
	scratch_load_dwordx4 v[198:201], v8, off
	s_waitcnt vmcnt(0) lgkmcnt(0)
	v_mul_f64 v[64:65], v[2:3], v[200:201]
	v_mul_f64 v[6:7], v[4:5], v[200:201]
	v_fmac_f64_e32 v[64:65], v[4:5], v[198:199]
	v_fma_f64 v[2:3], v[2:3], v[198:199], -v[6:7]
	v_mov_b64_e32 v[4:5], v[64:65]
.LBB126_1350:
	v_cmp_ne_u32_e32 vcc, 60, v0
	s_and_saveexec_b64 s[6:7], vcc
	s_cbranch_execz .LBB126_1354
; %bb.1351:
	v_mov_b32_e32 v7, 0
	v_or_b32_e32 v6, 0x400, v86
	v_add3_u32 v7, v86, v7, 24
	s_mov_b64 s[8:9], 0
	v_mov_b32_e32 v198, v0
.LBB126_1352:                           ; =>This Inner Loop Header: Depth=1
	v_add_u32_e32 v64, -8, v7
	scratch_load_dwordx4 v[200:203], v64, off
	ds_read_b128 v[204:207], v6
	v_add_u32_e32 v198, 1, v198
	v_cmp_lt_u32_e32 vcc, 59, v198
	v_add_u32_e32 v6, 16, v6
	v_add_u32_e32 v7, 16, v7
	s_or_b64 s[8:9], vcc, s[8:9]
	s_waitcnt vmcnt(0) lgkmcnt(0)
	v_mul_f64 v[64:65], v[206:207], v[202:203]
	v_mul_f64 v[202:203], v[204:205], v[202:203]
	v_fma_f64 v[64:65], v[204:205], v[200:201], -v[64:65]
	v_fmac_f64_e32 v[202:203], v[206:207], v[200:201]
	v_add_f64 v[2:3], v[2:3], v[64:65]
	v_add_f64 v[4:5], v[4:5], v[202:203]
	s_andn2_b64 exec, exec, s[8:9]
	s_cbranch_execnz .LBB126_1352
; %bb.1353:
	s_or_b64 exec, exec, s[8:9]
.LBB126_1354:
	s_or_b64 exec, exec, s[6:7]
	v_mov_b32_e32 v6, 0
	ds_read_b128 v[198:201], v6 offset:976
	s_waitcnt lgkmcnt(0)
	v_mul_f64 v[6:7], v[4:5], v[200:201]
	v_mul_f64 v[202:203], v[2:3], v[200:201]
	v_fma_f64 v[200:201], v[2:3], v[198:199], -v[6:7]
	v_fmac_f64_e32 v[202:203], v[4:5], v[198:199]
	scratch_store_dwordx4 off, v[200:203], off offset:976
.LBB126_1355:
	s_or_b64 exec, exec, s[4:5]
	scratch_load_dwordx4 v[2:5], v1, off
	v_cmp_ne_u32_e32 vcc, 62, v0
                                        ; implicit-def: $vgpr6_vgpr7
                                        ; implicit-def: $vgpr198
	s_waitcnt vmcnt(0)
	ds_write_b128 v9, v[2:5]
	s_waitcnt lgkmcnt(0)
	; wave barrier
	s_waitcnt lgkmcnt(0)
	s_and_saveexec_b64 s[4:5], vcc
	s_cbranch_execz .LBB126_1363
; %bb.1356:
	ds_read_b128 v[2:5], v9
	s_and_b64 vcc, exec, s[0:1]
	s_cbranch_vccnz .LBB126_1358
; %bb.1357:
	scratch_load_dwordx4 v[6:9], v8, off
	s_waitcnt vmcnt(0) lgkmcnt(0)
	v_mul_f64 v[64:65], v[4:5], v[8:9]
	v_mul_f64 v[8:9], v[2:3], v[8:9]
	v_fmac_f64_e32 v[8:9], v[4:5], v[6:7]
	v_fma_f64 v[2:3], v[2:3], v[6:7], -v[64:65]
	v_mov_b64_e32 v[4:5], v[8:9]
.LBB126_1358:
	s_and_saveexec_b64 s[0:1], s[2:3]
	s_cbranch_execz .LBB126_1362
; %bb.1359:
	v_mov_b32_e32 v7, 0
	v_or_b32_e32 v6, 0x400, v86
	v_add3_u32 v7, v86, v7, 24
	s_mov_b64 s[2:3], 0
.LBB126_1360:                           ; =>This Inner Loop Header: Depth=1
	v_add_u32_e32 v8, -8, v7
	scratch_load_dwordx4 v[198:201], v8, off
	ds_read_b128 v[202:205], v6
	v_add_u32_e32 v0, 1, v0
	v_cmp_lt_u32_e32 vcc, 60, v0
	v_add_u32_e32 v6, 16, v6
	v_add_u32_e32 v7, 16, v7
	s_or_b64 s[2:3], vcc, s[2:3]
	s_waitcnt vmcnt(0) lgkmcnt(0)
	v_mul_f64 v[8:9], v[204:205], v[200:201]
	v_mul_f64 v[64:65], v[202:203], v[200:201]
	v_fma_f64 v[8:9], v[202:203], v[198:199], -v[8:9]
	v_fmac_f64_e32 v[64:65], v[204:205], v[198:199]
	v_add_f64 v[2:3], v[2:3], v[8:9]
	v_add_f64 v[4:5], v[4:5], v[64:65]
	s_andn2_b64 exec, exec, s[2:3]
	s_cbranch_execnz .LBB126_1360
; %bb.1361:
	s_or_b64 exec, exec, s[2:3]
.LBB126_1362:
	s_or_b64 exec, exec, s[0:1]
	v_mov_b32_e32 v0, 0
	ds_read_b128 v[200:203], v0 offset:992
	v_mov_b32_e32 v0, 0
	v_add_u32_e32 v198, 0x3e8, v0
	s_or_b64 s[10:11], s[10:11], exec
	s_waitcnt lgkmcnt(0)
	v_mul_f64 v[8:9], v[4:5], v[202:203]
	v_mul_f64 v[6:7], v[2:3], v[202:203]
	v_fma_f64 v[2:3], v[2:3], v[200:201], -v[8:9]
	v_fmac_f64_e32 v[6:7], v[4:5], v[200:201]
	scratch_store_dwordx2 off, v[2:3], off offset:992
.LBB126_1363:
	s_or_b64 exec, exec, s[4:5]
.LBB126_1364:
	s_and_saveexec_b64 s[0:1], s[10:11]
	s_cbranch_execz .LBB126_1366
; %bb.1365:
	scratch_store_dwordx2 v198, v[6:7], off
.LBB126_1366:
	s_or_b64 exec, exec, s[0:1]
	scratch_load_dwordx4 v[2:5], off, off
	scratch_load_dwordx4 v[6:9], v197, off
	s_nop 0
	scratch_load_dwordx4 v[196:199], v196, off
	s_nop 0
	scratch_load_dwordx4 v[200:203], v195, off
	scratch_load_dwordx4 v[204:207], v194, off
	scratch_load_dwordx4 v[208:211], v193, off
	s_nop 0
	scratch_load_dwordx4 v[192:195], v192, off
	s_nop 0
	scratch_load_dwordx4 v[212:215], v191, off
	scratch_load_dwordx4 v[216:219], v190, off
	;; [unrolled: 6-line block ×5, first 2 shown]
	s_waitcnt vmcnt(20)
	global_store_dwordx4 v[22:23], v[2:5], off
	scratch_load_dwordx4 v[2:5], v177, off
	s_nop 0
	scratch_load_dwordx4 v[176:179], v176, off
	s_waitcnt vmcnt(22)
	global_store_dwordx4 v[24:25], v[6:9], off
	scratch_load_dwordx4 v[6:9], v175, off
	s_nop 0
	scratch_load_dwordx4 v[22:25], v174, off
	;; [unrolled: 5-line block ×19, first 2 shown]
	s_waitcnt vmcnt(58)
	global_store_dwordx4 v[60:61], v[248:251], off
	s_waitcnt vmcnt(58)
	global_store_dwordx4 v[62:63], v[252:255], off
	scratch_load_dwordx4 v[58:61], v87, off
	scratch_load_dwordx4 v[248:251], v11, off
	s_nop 0
	scratch_load_dwordx4 v[252:255], v10, off
	scratch_load_dwordx4 v[62:65], v1, off
	v_accvgpr_read_b32 v0, a0
	v_accvgpr_read_b32 v1, a1
	s_waitcnt vmcnt(61)
	global_store_dwordx4 v[0:1], v[2:5], off
	s_waitcnt vmcnt(61)
	global_store_dwordx4 v[66:67], v[176:179], off
	;; [unrolled: 2-line block ×42, first 2 shown]
.LBB126_1367:
	s_endpgm
	.section	.rodata,"a",@progbits
	.p2align	6, 0x0
	.amdhsa_kernel _ZN9rocsolver6v33100L18trti2_kernel_smallILi63E19rocblas_complex_numIdEPKPS3_EEv13rocblas_fill_17rocblas_diagonal_T1_iil
		.amdhsa_group_segment_fixed_size 2016
		.amdhsa_private_segment_fixed_size 1024
		.amdhsa_kernarg_size 32
		.amdhsa_user_sgpr_count 2
		.amdhsa_user_sgpr_dispatch_ptr 0
		.amdhsa_user_sgpr_queue_ptr 0
		.amdhsa_user_sgpr_kernarg_segment_ptr 1
		.amdhsa_user_sgpr_dispatch_id 0
		.amdhsa_user_sgpr_kernarg_preload_length 0
		.amdhsa_user_sgpr_kernarg_preload_offset 0
		.amdhsa_user_sgpr_private_segment_size 0
		.amdhsa_uses_dynamic_stack 0
		.amdhsa_enable_private_segment 1
		.amdhsa_system_sgpr_workgroup_id_x 1
		.amdhsa_system_sgpr_workgroup_id_y 0
		.amdhsa_system_sgpr_workgroup_id_z 0
		.amdhsa_system_sgpr_workgroup_info 0
		.amdhsa_system_vgpr_workitem_id 0
		.amdhsa_next_free_vgpr 258
		.amdhsa_next_free_sgpr 24
		.amdhsa_accum_offset 256
		.amdhsa_reserve_vcc 1
		.amdhsa_float_round_mode_32 0
		.amdhsa_float_round_mode_16_64 0
		.amdhsa_float_denorm_mode_32 3
		.amdhsa_float_denorm_mode_16_64 3
		.amdhsa_dx10_clamp 1
		.amdhsa_ieee_mode 1
		.amdhsa_fp16_overflow 0
		.amdhsa_tg_split 0
		.amdhsa_exception_fp_ieee_invalid_op 0
		.amdhsa_exception_fp_denorm_src 0
		.amdhsa_exception_fp_ieee_div_zero 0
		.amdhsa_exception_fp_ieee_overflow 0
		.amdhsa_exception_fp_ieee_underflow 0
		.amdhsa_exception_fp_ieee_inexact 0
		.amdhsa_exception_int_div_zero 0
	.end_amdhsa_kernel
	.section	.text._ZN9rocsolver6v33100L18trti2_kernel_smallILi63E19rocblas_complex_numIdEPKPS3_EEv13rocblas_fill_17rocblas_diagonal_T1_iil,"axG",@progbits,_ZN9rocsolver6v33100L18trti2_kernel_smallILi63E19rocblas_complex_numIdEPKPS3_EEv13rocblas_fill_17rocblas_diagonal_T1_iil,comdat
.Lfunc_end126:
	.size	_ZN9rocsolver6v33100L18trti2_kernel_smallILi63E19rocblas_complex_numIdEPKPS3_EEv13rocblas_fill_17rocblas_diagonal_T1_iil, .Lfunc_end126-_ZN9rocsolver6v33100L18trti2_kernel_smallILi63E19rocblas_complex_numIdEPKPS3_EEv13rocblas_fill_17rocblas_diagonal_T1_iil
                                        ; -- End function
	.section	.AMDGPU.csdata,"",@progbits
; Kernel info:
; codeLenInByte = 82860
; NumSgprs: 30
; NumVgprs: 256
; NumAgprs: 2
; TotalNumVgprs: 258
; ScratchSize: 1024
; MemoryBound: 0
; FloatMode: 240
; IeeeMode: 1
; LDSByteSize: 2016 bytes/workgroup (compile time only)
; SGPRBlocks: 3
; VGPRBlocks: 32
; NumSGPRsForWavesPerEU: 30
; NumVGPRsForWavesPerEU: 258
; AccumOffset: 256
; Occupancy: 1
; WaveLimiterHint : 1
; COMPUTE_PGM_RSRC2:SCRATCH_EN: 1
; COMPUTE_PGM_RSRC2:USER_SGPR: 2
; COMPUTE_PGM_RSRC2:TRAP_HANDLER: 0
; COMPUTE_PGM_RSRC2:TGID_X_EN: 1
; COMPUTE_PGM_RSRC2:TGID_Y_EN: 0
; COMPUTE_PGM_RSRC2:TGID_Z_EN: 0
; COMPUTE_PGM_RSRC2:TIDIG_COMP_CNT: 0
; COMPUTE_PGM_RSRC3_GFX90A:ACCUM_OFFSET: 63
; COMPUTE_PGM_RSRC3_GFX90A:TG_SPLIT: 0
	.section	.text._ZN9rocsolver6v33100L18trti2_kernel_smallILi64E19rocblas_complex_numIdEPKPS3_EEv13rocblas_fill_17rocblas_diagonal_T1_iil,"axG",@progbits,_ZN9rocsolver6v33100L18trti2_kernel_smallILi64E19rocblas_complex_numIdEPKPS3_EEv13rocblas_fill_17rocblas_diagonal_T1_iil,comdat
	.globl	_ZN9rocsolver6v33100L18trti2_kernel_smallILi64E19rocblas_complex_numIdEPKPS3_EEv13rocblas_fill_17rocblas_diagonal_T1_iil ; -- Begin function _ZN9rocsolver6v33100L18trti2_kernel_smallILi64E19rocblas_complex_numIdEPKPS3_EEv13rocblas_fill_17rocblas_diagonal_T1_iil
	.p2align	8
	.type	_ZN9rocsolver6v33100L18trti2_kernel_smallILi64E19rocblas_complex_numIdEPKPS3_EEv13rocblas_fill_17rocblas_diagonal_T1_iil,@function
_ZN9rocsolver6v33100L18trti2_kernel_smallILi64E19rocblas_complex_numIdEPKPS3_EEv13rocblas_fill_17rocblas_diagonal_T1_iil: ; @_ZN9rocsolver6v33100L18trti2_kernel_smallILi64E19rocblas_complex_numIdEPKPS3_EEv13rocblas_fill_17rocblas_diagonal_T1_iil
; %bb.0:
	v_cmp_gt_u32_e32 vcc, 64, v0
	s_and_saveexec_b64 s[4:5], vcc
	s_cbranch_execz .LBB127_1389
; %bb.1:
	s_load_dwordx2 s[8:9], s[0:1], 0x10
	s_load_dwordx4 s[4:7], s[0:1], 0x0
	s_ashr_i32 s3, s2, 31
	s_lshl_b64 s[2:3], s[2:3], 3
	v_lshlrev_b32_e32 v112, 4, v0
	s_waitcnt lgkmcnt(0)
	s_ashr_i32 s1, s8, 31
	s_add_u32 s2, s6, s2
	s_addc_u32 s3, s7, s3
	s_load_dwordx2 s[2:3], s[2:3], 0x0
	s_mov_b32 s0, s8
	s_lshl_b64 s[0:1], s[0:1], 4
	v_mov_b32_e32 v113, 0
	v_mov_b32_e32 v1, 0
	s_waitcnt lgkmcnt(0)
	s_add_u32 s0, s2, s0
	s_addc_u32 s1, s3, s1
	s_add_i32 s2, s9, s9
	v_add_u32_e32 v2, s2, v0
	s_mov_b32 s2, s9
	s_ashr_i32 s3, s9, 31
	v_lshl_add_u64 v[22:23], s[0:1], 0, v[112:113]
	v_ashrrev_i32_e32 v3, 31, v2
	v_lshl_add_u64 v[20:21], s[2:3], 4, v[22:23]
	global_load_dwordx4 v[24:27], v112, s[0:1]
	v_add_u32_e32 v4, s9, v2
	v_lshl_add_u64 v[14:15], v[2:3], 4, s[0:1]
	global_load_dwordx4 v[28:31], v[20:21], off
	global_load_dwordx4 v[32:35], v[14:15], off
	v_ashrrev_i32_e32 v5, 31, v4
	v_add_u32_e32 v2, s9, v4
	v_lshl_add_u64 v[16:17], v[4:5], 4, s[0:1]
	v_ashrrev_i32_e32 v3, 31, v2
	global_load_dwordx4 v[36:39], v[16:17], off
	v_lshl_add_u64 v[12:13], v[2:3], 4, s[0:1]
	global_load_dwordx4 v[80:83], v[12:13], off
	v_add_u32_e32 v18, s9, v2
	v_add_u32_e32 v40, s9, v18
	;; [unrolled: 1-line block ×59, first 2 shown]
	v_ashrrev_i32_e32 v3, 31, v2
	v_ashrrev_i32_e32 v19, 31, v18
	v_lshl_add_u64 v[2:3], v[2:3], 4, s[0:1]
	v_ashrrev_i32_e32 v155, 31, v154
	v_accvgpr_write_b32 a0, v2
	v_lshl_add_u64 v[70:71], v[18:19], 4, s[0:1]
	v_ashrrev_i32_e32 v43, 31, v42
	v_ashrrev_i32_e32 v47, 31, v46
	;; [unrolled: 1-line block ×7, first 2 shown]
	v_lshl_add_u64 v[18:19], v[154:155], 4, s[0:1]
	v_ashrrev_i32_e32 v163, 31, v162
	v_accvgpr_write_b32 a1, v3
	global_load_dwordx4 v[2:5], v[2:3], off
	s_waitcnt vmcnt(5)
	scratch_store_dwordx4 off, v[24:27], off
	s_waitcnt vmcnt(5)
	scratch_store_dwordx4 off, v[28:31], off offset:16
	s_waitcnt vmcnt(5)
	scratch_store_dwordx4 off, v[32:35], off offset:32
	;; [unrolled: 2-line block ×3, first 2 shown]
	v_ashrrev_i32_e32 v41, 31, v40
	v_lshl_add_u64 v[64:65], v[42:43], 4, s[0:1]
	v_ashrrev_i32_e32 v45, 31, v44
	v_lshl_add_u64 v[60:61], v[46:47], 4, s[0:1]
	;; [unrolled: 2-line block ×7, first 2 shown]
	v_ashrrev_i32_e32 v147, 31, v146
	v_accvgpr_write_b32 a2, v18
	v_ashrrev_i32_e32 v161, 31, v160
	v_lshl_add_u64 v[24:25], v[162:163], 4, s[0:1]
	v_lshl_add_u64 v[62:63], v[40:41], 4, s[0:1]
	global_load_dwordx4 v[84:87], v[70:71], off
	global_load_dwordx4 v[88:91], v[62:63], off
	v_lshl_add_u64 v[58:59], v[44:45], 4, s[0:1]
	global_load_dwordx4 v[92:95], v[64:65], off
	global_load_dwordx4 v[96:99], v[58:59], off
	;; [unrolled: 3-line block ×8, first 2 shown]
	v_ashrrev_i32_e32 v153, 31, v152
	v_accvgpr_write_b32 a3, v19
	global_load_dwordx4 v[156:159], v[18:19], off
	global_load_dwordx4 v[164:167], v[24:25], off
	v_lshl_add_u64 v[18:19], v[160:161], 4, s[0:1]
	v_lshl_add_u64 v[48:49], v[152:153], 4, s[0:1]
	v_accvgpr_write_b32 a4, v18
	v_ashrrev_i32_e32 v169, 31, v168
	v_ashrrev_i32_e32 v177, 31, v176
	;; [unrolled: 1-line block ×4, first 2 shown]
	global_load_dwordx4 v[152:155], v[48:49], off
	global_load_dwordx4 v[160:163], v[18:19], off
	v_accvgpr_write_b32 a5, v19
	v_lshl_add_u64 v[18:19], v[168:169], 4, s[0:1]
	v_ashrrev_i32_e32 v171, 31, v170
	v_lshl_add_u64 v[66:67], v[176:177], 4, s[0:1]
	v_ashrrev_i32_e32 v179, 31, v178
	;; [unrolled: 2-line block ×4, first 2 shown]
	v_ashrrev_i32_e32 v201, 31, v200
	v_lshl_add_u64 v[54:55], v[170:171], 4, s[0:1]
	global_load_dwordx4 v[168:171], v[18:19], off
	global_load_dwordx4 v[172:175], v[54:55], off
	v_lshl_add_u64 v[68:69], v[178:179], 4, s[0:1]
	global_load_dwordx4 v[176:179], v[66:67], off
	global_load_dwordx4 v[180:183], v[68:69], off
	;; [unrolled: 3-line block ×4, first 2 shown]
	v_ashrrev_i32_e32 v205, 31, v204
	s_waitcnt vmcnt(33)
	scratch_store_dwordx4 off, v[80:83], off offset:64
	v_ashrrev_i32_e32 v207, 31, v206
	v_ashrrev_i32_e32 v211, 31, v210
	v_lshl_add_u64 v[80:81], v[200:201], 4, s[0:1]
	global_load_dwordx4 v[200:203], v[80:81], off
	v_ashrrev_i32_e32 v215, 31, v214
	v_ashrrev_i32_e32 v219, 31, v218
	;; [unrolled: 1-line block ×12, first 2 shown]
	s_waitcnt vmcnt(29)
	scratch_store_dwordx4 off, v[84:87], off offset:80
	s_waitcnt vmcnt(29)
	scratch_store_dwordx4 off, v[88:91], off offset:96
	;; [unrolled: 2-line block ×17, first 2 shown]
	scratch_store_dwordx4 off, v[156:159], off offset:352
	s_waitcnt vmcnt(28)
	scratch_store_dwordx4 off, v[160:163], off offset:368
	scratch_store_dwordx4 off, v[164:167], off offset:384
	s_waitcnt vmcnt(29)
	scratch_store_dwordx4 off, v[168:171], off offset:400
	s_waitcnt vmcnt(29)
	scratch_store_dwordx4 off, v[172:175], off offset:416
	s_waitcnt vmcnt(29)
	scratch_store_dwordx4 off, v[176:179], off offset:432
	s_waitcnt vmcnt(29)
	scratch_store_dwordx4 off, v[180:183], off offset:448
	s_waitcnt vmcnt(29)
	scratch_store_dwordx4 off, v[184:187], off offset:464
	s_waitcnt vmcnt(29)
	scratch_store_dwordx4 off, v[188:191], off offset:480
	s_waitcnt vmcnt(29)
	scratch_store_dwordx4 off, v[192:195], off offset:496
	s_waitcnt vmcnt(29)
	scratch_store_dwordx4 off, v[196:199], off offset:512
	v_lshl_add_u64 v[82:83], v[204:205], 4, s[0:1]
	v_lshl_add_u64 v[84:85], v[206:207], 4, s[0:1]
	v_ashrrev_i32_e32 v209, 31, v208
	v_lshl_add_u64 v[88:89], v[210:211], 4, s[0:1]
	v_ashrrev_i32_e32 v213, 31, v212
	s_waitcnt vmcnt(28)
	scratch_store_dwordx4 off, v[200:203], off offset:528
	v_lshl_add_u64 v[92:93], v[214:215], 4, s[0:1]
	v_ashrrev_i32_e32 v217, 31, v216
	v_lshl_add_u64 v[96:97], v[218:219], 4, s[0:1]
	v_ashrrev_i32_e32 v221, 31, v220
	;; [unrolled: 2-line block ×12, first 2 shown]
	global_load_dwordx4 v[142:145], v[82:83], off
	v_lshl_add_u64 v[86:87], v[208:209], 4, s[0:1]
	global_load_dwordx4 v[146:149], v[84:85], off
	global_load_dwordx4 v[150:153], v[86:87], off
	v_lshl_add_u64 v[90:91], v[212:213], 4, s[0:1]
	global_load_dwordx4 v[154:157], v[88:89], off
	;; [unrolled: 3-line block ×14, first 2 shown]
	global_load_dwordx4 v[250:253], v[140:141], off
	v_accvgpr_write_b32 a6, v24
	s_cmpk_lg_i32 s5, 0x84
	v_accvgpr_write_b32 a7, v25
	s_cselect_b64 s[6:7], -1, 0
	s_cmpk_eq_i32 s5, 0x84
	s_waitcnt vmcnt(28)
	scratch_store_dwordx4 off, v[142:145], off offset:544
	s_waitcnt vmcnt(28)
	scratch_store_dwordx4 off, v[146:149], off offset:560
	;; [unrolled: 2-line block ×29, first 2 shown]
	scratch_store_dwordx4 off, v[2:5], off offset:1008
	s_cbranch_scc1 .LBB127_7
; %bb.2:
	scratch_load_dwordx4 v[8:11], v112, off
                                        ; implicit-def: $vgpr6_vgpr7
	s_waitcnt vmcnt(0)
	v_xor_b32_e32 v3, 0x80000000, v9
	v_cmp_gt_f64_e32 vcc, 0, v[8:9]
	v_xor_b32_e32 v4, 0x80000000, v11
	v_mov_b32_e32 v2, v8
	v_cndmask_b32_e32 v3, v9, v3, vcc
	v_cmp_gt_f64_e32 vcc, 0, v[10:11]
	s_nop 1
	v_cndmask_b32_e32 v5, v11, v4, vcc
	v_mov_b32_e32 v4, v10
	v_cmp_ngt_f64_e32 vcc, v[2:3], v[4:5]
                                        ; implicit-def: $vgpr2_vgpr3
	s_and_saveexec_b64 s[0:1], vcc
	s_xor_b64 s[0:1], exec, s[0:1]
	s_cbranch_execz .LBB127_4
; %bb.3:
	v_div_scale_f64 v[2:3], s[2:3], v[10:11], v[10:11], v[8:9]
	v_rcp_f64_e32 v[4:5], v[2:3]
	v_div_scale_f64 v[6:7], vcc, v[8:9], v[10:11], v[8:9]
	v_fma_f64 v[24:25], -v[2:3], v[4:5], 1.0
	v_fmac_f64_e32 v[4:5], v[4:5], v[24:25]
	v_fma_f64 v[24:25], -v[2:3], v[4:5], 1.0
	v_fmac_f64_e32 v[4:5], v[4:5], v[24:25]
	v_mul_f64 v[24:25], v[6:7], v[4:5]
	v_fma_f64 v[2:3], -v[2:3], v[24:25], v[6:7]
	v_div_fmas_f64 v[2:3], v[2:3], v[4:5], v[24:25]
	v_div_fixup_f64 v[2:3], v[2:3], v[10:11], v[8:9]
	v_fmac_f64_e32 v[10:11], v[8:9], v[2:3]
	v_div_scale_f64 v[4:5], s[2:3], v[10:11], v[10:11], 1.0
	v_rcp_f64_e32 v[6:7], v[4:5]
	s_nop 0
	v_fma_f64 v[8:9], -v[4:5], v[6:7], 1.0
	v_fmac_f64_e32 v[6:7], v[6:7], v[8:9]
	v_fma_f64 v[8:9], -v[4:5], v[6:7], 1.0
	v_fmac_f64_e32 v[6:7], v[6:7], v[8:9]
	v_div_scale_f64 v[8:9], vcc, 1.0, v[10:11], 1.0
	v_mul_f64 v[24:25], v[8:9], v[6:7]
	v_fma_f64 v[4:5], -v[4:5], v[24:25], v[8:9]
                                        ; implicit-def: $vgpr8_vgpr9
	s_nop 1
	v_div_fmas_f64 v[4:5], v[4:5], v[6:7], v[24:25]
	v_div_fixup_f64 v[4:5], v[4:5], v[10:11], 1.0
	v_mul_f64 v[2:3], v[2:3], v[4:5]
	v_xor_b32_e32 v5, 0x80000000, v5
	v_xor_b32_e32 v7, 0x80000000, v3
	v_mov_b32_e32 v6, v2
.LBB127_4:
	s_or_saveexec_b64 s[0:1], s[0:1]
	v_add_u32_e32 v113, 0, v112
	s_xor_b64 exec, exec, s[0:1]
	s_cbranch_execz .LBB127_6
; %bb.5:
	v_div_scale_f64 v[2:3], s[2:3], v[8:9], v[8:9], v[10:11]
	v_rcp_f64_e32 v[4:5], v[2:3]
	v_div_scale_f64 v[6:7], vcc, v[10:11], v[8:9], v[10:11]
	v_fma_f64 v[24:25], -v[2:3], v[4:5], 1.0
	v_fmac_f64_e32 v[4:5], v[4:5], v[24:25]
	v_fma_f64 v[24:25], -v[2:3], v[4:5], 1.0
	v_fmac_f64_e32 v[4:5], v[4:5], v[24:25]
	v_mul_f64 v[24:25], v[6:7], v[4:5]
	v_fma_f64 v[2:3], -v[2:3], v[24:25], v[6:7]
	v_div_fmas_f64 v[2:3], v[2:3], v[4:5], v[24:25]
	v_div_fixup_f64 v[4:5], v[2:3], v[8:9], v[10:11]
	v_fmac_f64_e32 v[8:9], v[10:11], v[4:5]
	v_div_scale_f64 v[2:3], s[2:3], v[8:9], v[8:9], 1.0
	v_rcp_f64_e32 v[6:7], v[2:3]
	s_nop 0
	v_fma_f64 v[10:11], -v[2:3], v[6:7], 1.0
	v_fmac_f64_e32 v[6:7], v[6:7], v[10:11]
	v_fma_f64 v[10:11], -v[2:3], v[6:7], 1.0
	v_fmac_f64_e32 v[6:7], v[6:7], v[10:11]
	v_div_scale_f64 v[10:11], vcc, 1.0, v[8:9], 1.0
	v_mul_f64 v[24:25], v[10:11], v[6:7]
	v_fma_f64 v[2:3], -v[2:3], v[24:25], v[10:11]
	s_nop 1
	v_div_fmas_f64 v[2:3], v[2:3], v[6:7], v[24:25]
	v_div_fixup_f64 v[2:3], v[2:3], v[8:9], 1.0
	v_xor_b32_e32 v7, 0x80000000, v3
	v_mov_b32_e32 v6, v2
	v_mul_f64 v[4:5], v[4:5], -v[2:3]
.LBB127_6:
	s_or_b64 exec, exec, s[0:1]
	scratch_store_dwordx4 v113, v[2:5], off
	s_nop 1
	v_xor_b32_e32 v5, 0x80000000, v5
	s_branch .LBB127_8
.LBB127_7:
	s_nop 0
	v_mov_b64_e32 v[4:5], 0
	v_mov_b64_e32 v[6:7], -1.0
.LBB127_8:
	v_mov_b32_e32 v8, v4
	v_mov_b32_e32 v9, v5
	v_add_u32_e32 v200, 16, v1
	v_add_u32_e32 v199, 32, v1
	;; [unrolled: 1-line block ×63, first 2 shown]
	ds_write_b128 v112, v[6:9]
	s_cmpk_eq_i32 s4, 0x79
	v_or_b32_e32 v9, 0x400, v112
	v_add_u32_e32 v8, 0, v112
	s_cbranch_scc1 .LBB127_874
; %bb.9:
	scratch_load_dwordx4 v[2:5], v50, off
	v_cmp_eq_u32_e64 s[0:1], 63, v0
	s_waitcnt vmcnt(0)
	ds_write_b128 v9, v[2:5]
	s_waitcnt lgkmcnt(0)
	; wave barrier
	s_waitcnt lgkmcnt(0)
	s_and_saveexec_b64 s[2:3], s[0:1]
	s_cbranch_execz .LBB127_13
; %bb.10:
	ds_read_b128 v[2:5], v9
	s_andn2_b64 vcc, exec, s[6:7]
	s_cbranch_vccnz .LBB127_12
; %bb.11:
	scratch_load_dwordx4 v[202:205], v8, off
	s_waitcnt vmcnt(0) lgkmcnt(0)
	v_mul_f64 v[10:11], v[2:3], v[204:205]
	v_mul_f64 v[6:7], v[4:5], v[204:205]
	v_fmac_f64_e32 v[10:11], v[4:5], v[202:203]
	v_fma_f64 v[2:3], v[2:3], v[202:203], -v[6:7]
	v_mov_b64_e32 v[4:5], v[10:11]
.LBB127_12:
	v_mov_b32_e32 v6, 0
	ds_read_b128 v[202:205], v6 offset:992
	s_waitcnt lgkmcnt(0)
	v_mul_f64 v[6:7], v[4:5], v[204:205]
	v_mul_f64 v[206:207], v[2:3], v[204:205]
	v_fma_f64 v[204:205], v[2:3], v[202:203], -v[6:7]
	v_fmac_f64_e32 v[206:207], v[4:5], v[202:203]
	scratch_store_dwordx4 off, v[204:207], off offset:992
.LBB127_13:
	s_or_b64 exec, exec, s[2:3]
	scratch_load_dwordx4 v[2:5], v51, off
	v_cmp_lt_u32_e64 s[2:3], 61, v0
	s_waitcnt vmcnt(0)
	ds_write_b128 v9, v[2:5]
	s_waitcnt lgkmcnt(0)
	; wave barrier
	s_waitcnt lgkmcnt(0)
	s_and_saveexec_b64 s[4:5], s[2:3]
	s_cbranch_execz .LBB127_19
; %bb.14:
	ds_read_b128 v[2:5], v9
	s_andn2_b64 vcc, exec, s[6:7]
	s_cbranch_vccnz .LBB127_16
; %bb.15:
	scratch_load_dwordx4 v[202:205], v8, off
	s_waitcnt vmcnt(0) lgkmcnt(0)
	v_mul_f64 v[10:11], v[2:3], v[204:205]
	v_mul_f64 v[6:7], v[4:5], v[204:205]
	v_fmac_f64_e32 v[10:11], v[4:5], v[202:203]
	v_fma_f64 v[2:3], v[2:3], v[202:203], -v[6:7]
	v_mov_b64_e32 v[4:5], v[10:11]
.LBB127_16:
	s_and_saveexec_b64 s[8:9], s[0:1]
	s_cbranch_execz .LBB127_18
; %bb.17:
	scratch_load_dwordx4 v[202:205], off, off offset:992
	v_mov_b32_e32 v6, 0
	ds_read_b128 v[206:209], v6 offset:2016
	s_waitcnt vmcnt(0) lgkmcnt(0)
	v_mul_f64 v[6:7], v[206:207], v[204:205]
	v_mul_f64 v[10:11], v[208:209], v[204:205]
	v_fmac_f64_e32 v[6:7], v[208:209], v[202:203]
	v_fma_f64 v[10:11], v[206:207], v[202:203], -v[10:11]
	v_add_f64 v[4:5], v[4:5], v[6:7]
	v_add_f64 v[2:3], v[2:3], v[10:11]
.LBB127_18:
	s_or_b64 exec, exec, s[8:9]
	v_mov_b32_e32 v6, 0
	ds_read_b128 v[202:205], v6 offset:976
	s_waitcnt lgkmcnt(0)
	v_mul_f64 v[6:7], v[4:5], v[204:205]
	v_mul_f64 v[206:207], v[2:3], v[204:205]
	v_fma_f64 v[204:205], v[2:3], v[202:203], -v[6:7]
	v_fmac_f64_e32 v[206:207], v[4:5], v[202:203]
	scratch_store_dwordx4 off, v[204:207], off offset:976
.LBB127_19:
	s_or_b64 exec, exec, s[4:5]
	scratch_load_dwordx4 v[2:5], v142, off
	v_cmp_lt_u32_e64 s[0:1], 60, v0
	s_waitcnt vmcnt(0)
	ds_write_b128 v9, v[2:5]
	s_waitcnt lgkmcnt(0)
	; wave barrier
	s_waitcnt lgkmcnt(0)
	s_and_saveexec_b64 s[4:5], s[0:1]
	s_cbranch_execz .LBB127_33
; %bb.20:
	ds_read_b128 v[2:5], v9
	s_andn2_b64 vcc, exec, s[6:7]
	s_cbranch_vccnz .LBB127_22
; %bb.21:
	scratch_load_dwordx4 v[202:205], v8, off
	s_waitcnt vmcnt(0) lgkmcnt(0)
	v_mul_f64 v[10:11], v[2:3], v[204:205]
	v_mul_f64 v[6:7], v[4:5], v[204:205]
	v_fmac_f64_e32 v[10:11], v[4:5], v[202:203]
	v_fma_f64 v[2:3], v[2:3], v[202:203], -v[6:7]
	v_mov_b64_e32 v[4:5], v[10:11]
.LBB127_22:
	s_and_saveexec_b64 s[8:9], s[2:3]
	s_cbranch_execz .LBB127_32
; %bb.23:
	v_subrev_u32_e32 v7, 62, v0
	v_subrev_u32_e32 v6, 61, v0
	v_cmp_lt_u32_e32 vcc, 6, v7
	v_mov_b32_e32 v202, 61
	s_and_saveexec_b64 s[2:3], vcc
	s_cbranch_execz .LBB127_27
; %bb.24:
	v_and_b32_e32 v7, -8, v6
	s_mov_b32 s12, 0
	s_mov_b64 s[10:11], 0
	v_mov_b32_e32 v201, 0
	s_mov_b32 s13, 0
.LBB127_25:                             ; =>This Inner Loop Header: Depth=1
	v_readfirstlane_b32 s14, v201
	s_add_i32 s14, s14, s12
	s_add_i32 s15, s14, 0x3d0
	v_mov_b32_e32 v28, s12
	ds_read_b128 v[202:205], v28 offset:2000
	ds_read_b128 v[206:209], v28 offset:2016
	;; [unrolled: 1-line block ×4, first 2 shown]
	scratch_load_dwordx4 v[218:221], off, s15
	s_add_i32 s15, s14, 0x3e0
	s_addk_i32 s12, 0x80
	s_waitcnt vmcnt(0) lgkmcnt(3)
	v_mul_f64 v[10:11], v[204:205], v[220:221]
	v_mul_f64 v[24:25], v[202:203], v[220:221]
	v_fma_f64 v[10:11], v[202:203], v[218:219], -v[10:11]
	v_fmac_f64_e32 v[24:25], v[204:205], v[218:219]
	v_add_f64 v[10:11], v[2:3], v[10:11]
	v_add_f64 v[24:25], v[4:5], v[24:25]
	scratch_load_dwordx4 v[2:5], off, s15
	s_add_i32 s15, s14, 0x3f0
	s_waitcnt vmcnt(0) lgkmcnt(2)
	v_mul_f64 v[26:27], v[208:209], v[4:5]
	v_mul_f64 v[4:5], v[206:207], v[4:5]
	v_fmac_f64_e32 v[4:5], v[208:209], v[2:3]
	v_fma_f64 v[26:27], v[206:207], v[2:3], -v[26:27]
	v_add_f64 v[24:25], v[24:25], v[4:5]
	scratch_load_dwordx4 v[2:5], off, s15
	v_add_f64 v[10:11], v[10:11], v[26:27]
	s_add_i32 s15, s14, 0x400
	s_waitcnt vmcnt(0) lgkmcnt(1)
	v_mul_f64 v[26:27], v[212:213], v[4:5]
	v_mul_f64 v[4:5], v[210:211], v[4:5]
	v_fmac_f64_e32 v[4:5], v[212:213], v[2:3]
	v_fma_f64 v[26:27], v[210:211], v[2:3], -v[26:27]
	v_add_f64 v[24:25], v[24:25], v[4:5]
	scratch_load_dwordx4 v[2:5], off, s15
	s_add_i32 s15, s14, 0x410
	scratch_load_dwordx4 v[202:205], off, s15
	v_add_f64 v[10:11], v[10:11], v[26:27]
	s_add_i32 s15, s14, 0x420
	s_waitcnt vmcnt(1) lgkmcnt(0)
	v_mul_f64 v[26:27], v[216:217], v[4:5]
	v_mul_f64 v[4:5], v[214:215], v[4:5]
	v_fmac_f64_e32 v[4:5], v[216:217], v[2:3]
	v_fma_f64 v[26:27], v[214:215], v[2:3], -v[26:27]
	v_add_f64 v[24:25], v[24:25], v[4:5]
	ds_read_b128 v[2:5], v28 offset:2064
	v_add_f64 v[10:11], v[10:11], v[26:27]
	s_waitcnt vmcnt(0) lgkmcnt(0)
	v_mul_f64 v[26:27], v[4:5], v[204:205]
	v_fma_f64 v[26:27], v[2:3], v[202:203], -v[26:27]
	v_mul_f64 v[2:3], v[2:3], v[204:205]
	v_fmac_f64_e32 v[2:3], v[4:5], v[202:203]
	scratch_load_dwordx4 v[202:205], off, s15
	v_add_f64 v[24:25], v[24:25], v[2:3]
	ds_read_b128 v[2:5], v28 offset:2080
	v_add_f64 v[10:11], v[10:11], v[26:27]
	s_add_i32 s15, s14, 0x430
	s_addk_i32 s14, 0x440
	s_waitcnt vmcnt(0) lgkmcnt(0)
	v_mul_f64 v[26:27], v[4:5], v[204:205]
	v_fma_f64 v[26:27], v[2:3], v[202:203], -v[26:27]
	v_mul_f64 v[2:3], v[2:3], v[204:205]
	v_fmac_f64_e32 v[2:3], v[4:5], v[202:203]
	scratch_load_dwordx4 v[202:205], off, s15
	v_add_f64 v[24:25], v[24:25], v[2:3]
	ds_read_b128 v[2:5], v28 offset:2096
	v_add_f64 v[10:11], v[10:11], v[26:27]
	s_waitcnt vmcnt(0) lgkmcnt(0)
	v_mul_f64 v[26:27], v[4:5], v[204:205]
	v_fma_f64 v[26:27], v[2:3], v[202:203], -v[26:27]
	v_mul_f64 v[2:3], v[2:3], v[204:205]
	v_fmac_f64_e32 v[2:3], v[4:5], v[202:203]
	scratch_load_dwordx4 v[202:205], off, s14
	v_add_f64 v[24:25], v[24:25], v[2:3]
	ds_read_b128 v[2:5], v28 offset:2112
	v_add_f64 v[10:11], v[10:11], v[26:27]
	s_add_i32 s14, s13, 8
	v_cmp_eq_u32_e32 vcc, s14, v7
	s_addk_i32 s13, 0x45
	s_or_b64 s[10:11], vcc, s[10:11]
	s_waitcnt vmcnt(0) lgkmcnt(0)
	v_mul_f64 v[26:27], v[4:5], v[204:205]
	v_mul_f64 v[28:29], v[2:3], v[204:205]
	v_fma_f64 v[26:27], v[2:3], v[202:203], -v[26:27]
	v_fmac_f64_e32 v[28:29], v[4:5], v[202:203]
	v_add_f64 v[2:3], v[10:11], v[26:27]
	v_add_f64 v[4:5], v[24:25], v[28:29]
	v_mov_b32_e32 v202, s13
	s_mov_b32 s13, s14
	s_andn2_b64 exec, exec, s[10:11]
	s_cbranch_execnz .LBB127_25
; %bb.26:
	s_or_b64 exec, exec, s[10:11]
.LBB127_27:
	s_or_b64 exec, exec, s[2:3]
	v_and_b32_e32 v6, 7, v6
	v_cmp_ne_u32_e32 vcc, 0, v6
	s_and_saveexec_b64 s[2:3], vcc
	s_cbranch_execz .LBB127_31
; %bb.28:
	v_lshlrev_b32_e32 v10, 4, v202
	v_add_u32_e32 v7, 0x400, v10
	v_add_u32_e32 v201, 0, v10
	s_mov_b64 s[10:11], 0
.LBB127_29:                             ; =>This Inner Loop Header: Depth=1
	scratch_load_dwordx4 v[202:205], v201, off
	ds_read_b128 v[206:209], v7
	v_add_u32_e32 v6, -1, v6
	v_cmp_eq_u32_e32 vcc, 0, v6
	v_add_u32_e32 v7, 16, v7
	v_add_u32_e32 v201, 16, v201
	s_or_b64 s[10:11], vcc, s[10:11]
	s_waitcnt vmcnt(0) lgkmcnt(0)
	v_mul_f64 v[10:11], v[208:209], v[204:205]
	v_mul_f64 v[24:25], v[206:207], v[204:205]
	v_fma_f64 v[10:11], v[206:207], v[202:203], -v[10:11]
	v_fmac_f64_e32 v[24:25], v[208:209], v[202:203]
	v_add_f64 v[2:3], v[2:3], v[10:11]
	v_add_f64 v[4:5], v[4:5], v[24:25]
	s_andn2_b64 exec, exec, s[10:11]
	s_cbranch_execnz .LBB127_29
; %bb.30:
	s_or_b64 exec, exec, s[10:11]
.LBB127_31:
	s_or_b64 exec, exec, s[2:3]
.LBB127_32:
	s_or_b64 exec, exec, s[8:9]
	v_mov_b32_e32 v6, 0
	ds_read_b128 v[202:205], v6 offset:960
	s_waitcnt lgkmcnt(0)
	v_mul_f64 v[6:7], v[4:5], v[204:205]
	v_mul_f64 v[206:207], v[2:3], v[204:205]
	v_fma_f64 v[204:205], v[2:3], v[202:203], -v[6:7]
	v_fmac_f64_e32 v[206:207], v[4:5], v[202:203]
	scratch_store_dwordx4 off, v[204:207], off offset:960
.LBB127_33:
	s_or_b64 exec, exec, s[4:5]
	scratch_load_dwordx4 v[2:5], v143, off
	v_cmp_lt_u32_e64 s[2:3], 59, v0
	s_waitcnt vmcnt(0)
	ds_write_b128 v9, v[2:5]
	s_waitcnt lgkmcnt(0)
	; wave barrier
	s_waitcnt lgkmcnt(0)
	s_and_saveexec_b64 s[4:5], s[2:3]
	s_cbranch_execz .LBB127_47
; %bb.34:
	ds_read_b128 v[2:5], v9
	s_andn2_b64 vcc, exec, s[6:7]
	s_cbranch_vccnz .LBB127_36
; %bb.35:
	scratch_load_dwordx4 v[202:205], v8, off
	s_waitcnt vmcnt(0) lgkmcnt(0)
	v_mul_f64 v[10:11], v[2:3], v[204:205]
	v_mul_f64 v[6:7], v[4:5], v[204:205]
	v_fmac_f64_e32 v[10:11], v[4:5], v[202:203]
	v_fma_f64 v[2:3], v[2:3], v[202:203], -v[6:7]
	v_mov_b64_e32 v[4:5], v[10:11]
.LBB127_36:
	s_and_saveexec_b64 s[8:9], s[0:1]
	s_cbranch_execz .LBB127_46
; %bb.37:
	v_subrev_u32_e32 v7, 61, v0
	v_subrev_u32_e32 v6, 60, v0
	v_cmp_lt_u32_e32 vcc, 6, v7
	v_mov_b32_e32 v202, 60
	s_and_saveexec_b64 s[0:1], vcc
	s_cbranch_execz .LBB127_41
; %bb.38:
	v_and_b32_e32 v7, -8, v6
	s_mov_b32 s12, 0
	s_mov_b64 s[10:11], 0
	v_mov_b32_e32 v201, 0
	s_mov_b32 s13, 0
.LBB127_39:                             ; =>This Inner Loop Header: Depth=1
	v_readfirstlane_b32 s14, v201
	s_add_i32 s14, s14, s12
	s_add_i32 s15, s14, 0x3c0
	v_mov_b32_e32 v28, s12
	ds_read_b128 v[202:205], v28 offset:1984
	ds_read_b128 v[206:209], v28 offset:2000
	;; [unrolled: 1-line block ×4, first 2 shown]
	scratch_load_dwordx4 v[218:221], off, s15
	s_add_i32 s15, s14, 0x3d0
	s_addk_i32 s12, 0x80
	s_waitcnt vmcnt(0) lgkmcnt(3)
	v_mul_f64 v[10:11], v[204:205], v[220:221]
	v_mul_f64 v[24:25], v[202:203], v[220:221]
	v_fma_f64 v[10:11], v[202:203], v[218:219], -v[10:11]
	v_fmac_f64_e32 v[24:25], v[204:205], v[218:219]
	v_add_f64 v[10:11], v[2:3], v[10:11]
	v_add_f64 v[24:25], v[4:5], v[24:25]
	scratch_load_dwordx4 v[2:5], off, s15
	s_add_i32 s15, s14, 0x3e0
	s_waitcnt vmcnt(0) lgkmcnt(2)
	v_mul_f64 v[26:27], v[208:209], v[4:5]
	v_mul_f64 v[4:5], v[206:207], v[4:5]
	v_fmac_f64_e32 v[4:5], v[208:209], v[2:3]
	v_fma_f64 v[26:27], v[206:207], v[2:3], -v[26:27]
	v_add_f64 v[24:25], v[24:25], v[4:5]
	scratch_load_dwordx4 v[2:5], off, s15
	v_add_f64 v[10:11], v[10:11], v[26:27]
	s_add_i32 s15, s14, 0x3f0
	s_waitcnt vmcnt(0) lgkmcnt(1)
	v_mul_f64 v[26:27], v[212:213], v[4:5]
	v_mul_f64 v[4:5], v[210:211], v[4:5]
	v_fmac_f64_e32 v[4:5], v[212:213], v[2:3]
	v_fma_f64 v[26:27], v[210:211], v[2:3], -v[26:27]
	v_add_f64 v[24:25], v[24:25], v[4:5]
	scratch_load_dwordx4 v[2:5], off, s15
	s_add_i32 s15, s14, 0x400
	scratch_load_dwordx4 v[202:205], off, s15
	v_add_f64 v[10:11], v[10:11], v[26:27]
	s_add_i32 s15, s14, 0x410
	s_waitcnt vmcnt(1) lgkmcnt(0)
	v_mul_f64 v[26:27], v[216:217], v[4:5]
	v_mul_f64 v[4:5], v[214:215], v[4:5]
	v_fmac_f64_e32 v[4:5], v[216:217], v[2:3]
	v_fma_f64 v[26:27], v[214:215], v[2:3], -v[26:27]
	v_add_f64 v[24:25], v[24:25], v[4:5]
	ds_read_b128 v[2:5], v28 offset:2048
	v_add_f64 v[10:11], v[10:11], v[26:27]
	s_waitcnt vmcnt(0) lgkmcnt(0)
	v_mul_f64 v[26:27], v[4:5], v[204:205]
	v_fma_f64 v[26:27], v[2:3], v[202:203], -v[26:27]
	v_mul_f64 v[2:3], v[2:3], v[204:205]
	v_fmac_f64_e32 v[2:3], v[4:5], v[202:203]
	scratch_load_dwordx4 v[202:205], off, s15
	v_add_f64 v[24:25], v[24:25], v[2:3]
	ds_read_b128 v[2:5], v28 offset:2064
	v_add_f64 v[10:11], v[10:11], v[26:27]
	s_add_i32 s15, s14, 0x420
	s_addk_i32 s14, 0x430
	s_waitcnt vmcnt(0) lgkmcnt(0)
	v_mul_f64 v[26:27], v[4:5], v[204:205]
	v_fma_f64 v[26:27], v[2:3], v[202:203], -v[26:27]
	v_mul_f64 v[2:3], v[2:3], v[204:205]
	v_fmac_f64_e32 v[2:3], v[4:5], v[202:203]
	scratch_load_dwordx4 v[202:205], off, s15
	v_add_f64 v[24:25], v[24:25], v[2:3]
	ds_read_b128 v[2:5], v28 offset:2080
	v_add_f64 v[10:11], v[10:11], v[26:27]
	s_waitcnt vmcnt(0) lgkmcnt(0)
	v_mul_f64 v[26:27], v[4:5], v[204:205]
	v_fma_f64 v[26:27], v[2:3], v[202:203], -v[26:27]
	v_mul_f64 v[2:3], v[2:3], v[204:205]
	v_fmac_f64_e32 v[2:3], v[4:5], v[202:203]
	scratch_load_dwordx4 v[202:205], off, s14
	v_add_f64 v[24:25], v[24:25], v[2:3]
	ds_read_b128 v[2:5], v28 offset:2096
	v_add_f64 v[10:11], v[10:11], v[26:27]
	s_add_i32 s14, s13, 8
	v_cmp_eq_u32_e32 vcc, s14, v7
	s_addk_i32 s13, 0x44
	s_or_b64 s[10:11], vcc, s[10:11]
	s_waitcnt vmcnt(0) lgkmcnt(0)
	v_mul_f64 v[26:27], v[4:5], v[204:205]
	v_mul_f64 v[28:29], v[2:3], v[204:205]
	v_fma_f64 v[26:27], v[2:3], v[202:203], -v[26:27]
	v_fmac_f64_e32 v[28:29], v[4:5], v[202:203]
	v_add_f64 v[2:3], v[10:11], v[26:27]
	v_add_f64 v[4:5], v[24:25], v[28:29]
	v_mov_b32_e32 v202, s13
	s_mov_b32 s13, s14
	s_andn2_b64 exec, exec, s[10:11]
	s_cbranch_execnz .LBB127_39
; %bb.40:
	s_or_b64 exec, exec, s[10:11]
.LBB127_41:
	s_or_b64 exec, exec, s[0:1]
	v_and_b32_e32 v6, 7, v6
	v_cmp_ne_u32_e32 vcc, 0, v6
	s_and_saveexec_b64 s[0:1], vcc
	s_cbranch_execz .LBB127_45
; %bb.42:
	v_lshlrev_b32_e32 v10, 4, v202
	v_add_u32_e32 v7, 0x400, v10
	v_add_u32_e32 v201, 0, v10
	s_mov_b64 s[10:11], 0
.LBB127_43:                             ; =>This Inner Loop Header: Depth=1
	scratch_load_dwordx4 v[202:205], v201, off
	ds_read_b128 v[206:209], v7
	v_add_u32_e32 v6, -1, v6
	v_cmp_eq_u32_e32 vcc, 0, v6
	v_add_u32_e32 v7, 16, v7
	v_add_u32_e32 v201, 16, v201
	s_or_b64 s[10:11], vcc, s[10:11]
	s_waitcnt vmcnt(0) lgkmcnt(0)
	v_mul_f64 v[10:11], v[208:209], v[204:205]
	v_mul_f64 v[24:25], v[206:207], v[204:205]
	v_fma_f64 v[10:11], v[206:207], v[202:203], -v[10:11]
	v_fmac_f64_e32 v[24:25], v[208:209], v[202:203]
	v_add_f64 v[2:3], v[2:3], v[10:11]
	v_add_f64 v[4:5], v[4:5], v[24:25]
	s_andn2_b64 exec, exec, s[10:11]
	s_cbranch_execnz .LBB127_43
; %bb.44:
	s_or_b64 exec, exec, s[10:11]
.LBB127_45:
	s_or_b64 exec, exec, s[0:1]
.LBB127_46:
	s_or_b64 exec, exec, s[8:9]
	v_mov_b32_e32 v6, 0
	ds_read_b128 v[202:205], v6 offset:944
	s_waitcnt lgkmcnt(0)
	v_mul_f64 v[6:7], v[4:5], v[204:205]
	v_mul_f64 v[206:207], v[2:3], v[204:205]
	v_fma_f64 v[204:205], v[2:3], v[202:203], -v[6:7]
	v_fmac_f64_e32 v[206:207], v[4:5], v[202:203]
	scratch_store_dwordx4 off, v[204:207], off offset:944
.LBB127_47:
	s_or_b64 exec, exec, s[4:5]
	scratch_load_dwordx4 v[2:5], v144, off
	v_cmp_lt_u32_e64 s[0:1], 58, v0
	s_waitcnt vmcnt(0)
	ds_write_b128 v9, v[2:5]
	s_waitcnt lgkmcnt(0)
	; wave barrier
	s_waitcnt lgkmcnt(0)
	s_and_saveexec_b64 s[4:5], s[0:1]
	s_cbranch_execz .LBB127_61
; %bb.48:
	ds_read_b128 v[2:5], v9
	s_andn2_b64 vcc, exec, s[6:7]
	s_cbranch_vccnz .LBB127_50
; %bb.49:
	scratch_load_dwordx4 v[202:205], v8, off
	s_waitcnt vmcnt(0) lgkmcnt(0)
	v_mul_f64 v[10:11], v[2:3], v[204:205]
	v_mul_f64 v[6:7], v[4:5], v[204:205]
	v_fmac_f64_e32 v[10:11], v[4:5], v[202:203]
	v_fma_f64 v[2:3], v[2:3], v[202:203], -v[6:7]
	v_mov_b64_e32 v[4:5], v[10:11]
.LBB127_50:
	s_and_saveexec_b64 s[8:9], s[2:3]
	s_cbranch_execz .LBB127_60
; %bb.51:
	v_subrev_u32_e32 v7, 60, v0
	v_subrev_u32_e32 v6, 59, v0
	v_cmp_lt_u32_e32 vcc, 6, v7
	v_mov_b32_e32 v202, 59
	s_and_saveexec_b64 s[2:3], vcc
	s_cbranch_execz .LBB127_55
; %bb.52:
	v_and_b32_e32 v7, -8, v6
	s_mov_b32 s12, 0
	s_mov_b64 s[10:11], 0
	v_mov_b32_e32 v201, 0
	s_mov_b32 s13, 0
.LBB127_53:                             ; =>This Inner Loop Header: Depth=1
	v_readfirstlane_b32 s14, v201
	s_add_i32 s14, s14, s12
	s_add_i32 s15, s14, 0x3b0
	v_mov_b32_e32 v28, s12
	ds_read_b128 v[202:205], v28 offset:1968
	ds_read_b128 v[206:209], v28 offset:1984
	ds_read_b128 v[210:213], v28 offset:2000
	ds_read_b128 v[214:217], v28 offset:2016
	scratch_load_dwordx4 v[218:221], off, s15
	s_add_i32 s15, s14, 0x3c0
	s_addk_i32 s12, 0x80
	s_waitcnt vmcnt(0) lgkmcnt(3)
	v_mul_f64 v[10:11], v[204:205], v[220:221]
	v_mul_f64 v[24:25], v[202:203], v[220:221]
	v_fma_f64 v[10:11], v[202:203], v[218:219], -v[10:11]
	v_fmac_f64_e32 v[24:25], v[204:205], v[218:219]
	v_add_f64 v[10:11], v[2:3], v[10:11]
	v_add_f64 v[24:25], v[4:5], v[24:25]
	scratch_load_dwordx4 v[2:5], off, s15
	s_add_i32 s15, s14, 0x3d0
	s_waitcnt vmcnt(0) lgkmcnt(2)
	v_mul_f64 v[26:27], v[208:209], v[4:5]
	v_mul_f64 v[4:5], v[206:207], v[4:5]
	v_fmac_f64_e32 v[4:5], v[208:209], v[2:3]
	v_fma_f64 v[26:27], v[206:207], v[2:3], -v[26:27]
	v_add_f64 v[24:25], v[24:25], v[4:5]
	scratch_load_dwordx4 v[2:5], off, s15
	v_add_f64 v[10:11], v[10:11], v[26:27]
	s_add_i32 s15, s14, 0x3e0
	s_waitcnt vmcnt(0) lgkmcnt(1)
	v_mul_f64 v[26:27], v[212:213], v[4:5]
	v_mul_f64 v[4:5], v[210:211], v[4:5]
	v_fmac_f64_e32 v[4:5], v[212:213], v[2:3]
	v_fma_f64 v[26:27], v[210:211], v[2:3], -v[26:27]
	v_add_f64 v[24:25], v[24:25], v[4:5]
	scratch_load_dwordx4 v[2:5], off, s15
	s_add_i32 s15, s14, 0x3f0
	scratch_load_dwordx4 v[202:205], off, s15
	v_add_f64 v[10:11], v[10:11], v[26:27]
	s_add_i32 s15, s14, 0x400
	s_waitcnt vmcnt(1) lgkmcnt(0)
	v_mul_f64 v[26:27], v[216:217], v[4:5]
	v_mul_f64 v[4:5], v[214:215], v[4:5]
	v_fmac_f64_e32 v[4:5], v[216:217], v[2:3]
	v_fma_f64 v[26:27], v[214:215], v[2:3], -v[26:27]
	v_add_f64 v[24:25], v[24:25], v[4:5]
	ds_read_b128 v[2:5], v28 offset:2032
	v_add_f64 v[10:11], v[10:11], v[26:27]
	s_waitcnt vmcnt(0) lgkmcnt(0)
	v_mul_f64 v[26:27], v[4:5], v[204:205]
	v_fma_f64 v[26:27], v[2:3], v[202:203], -v[26:27]
	v_mul_f64 v[2:3], v[2:3], v[204:205]
	v_fmac_f64_e32 v[2:3], v[4:5], v[202:203]
	scratch_load_dwordx4 v[202:205], off, s15
	v_add_f64 v[24:25], v[24:25], v[2:3]
	ds_read_b128 v[2:5], v28 offset:2048
	v_add_f64 v[10:11], v[10:11], v[26:27]
	s_add_i32 s15, s14, 0x410
	s_addk_i32 s14, 0x420
	s_waitcnt vmcnt(0) lgkmcnt(0)
	v_mul_f64 v[26:27], v[4:5], v[204:205]
	v_fma_f64 v[26:27], v[2:3], v[202:203], -v[26:27]
	v_mul_f64 v[2:3], v[2:3], v[204:205]
	v_fmac_f64_e32 v[2:3], v[4:5], v[202:203]
	scratch_load_dwordx4 v[202:205], off, s15
	v_add_f64 v[24:25], v[24:25], v[2:3]
	ds_read_b128 v[2:5], v28 offset:2064
	v_add_f64 v[10:11], v[10:11], v[26:27]
	s_waitcnt vmcnt(0) lgkmcnt(0)
	v_mul_f64 v[26:27], v[4:5], v[204:205]
	v_fma_f64 v[26:27], v[2:3], v[202:203], -v[26:27]
	v_mul_f64 v[2:3], v[2:3], v[204:205]
	v_fmac_f64_e32 v[2:3], v[4:5], v[202:203]
	scratch_load_dwordx4 v[202:205], off, s14
	v_add_f64 v[24:25], v[24:25], v[2:3]
	ds_read_b128 v[2:5], v28 offset:2080
	v_add_f64 v[10:11], v[10:11], v[26:27]
	s_add_i32 s14, s13, 8
	v_cmp_eq_u32_e32 vcc, s14, v7
	s_addk_i32 s13, 0x43
	s_or_b64 s[10:11], vcc, s[10:11]
	s_waitcnt vmcnt(0) lgkmcnt(0)
	v_mul_f64 v[26:27], v[4:5], v[204:205]
	v_mul_f64 v[28:29], v[2:3], v[204:205]
	v_fma_f64 v[26:27], v[2:3], v[202:203], -v[26:27]
	v_fmac_f64_e32 v[28:29], v[4:5], v[202:203]
	v_add_f64 v[2:3], v[10:11], v[26:27]
	v_add_f64 v[4:5], v[24:25], v[28:29]
	v_mov_b32_e32 v202, s13
	s_mov_b32 s13, s14
	s_andn2_b64 exec, exec, s[10:11]
	s_cbranch_execnz .LBB127_53
; %bb.54:
	s_or_b64 exec, exec, s[10:11]
.LBB127_55:
	s_or_b64 exec, exec, s[2:3]
	v_and_b32_e32 v6, 7, v6
	v_cmp_ne_u32_e32 vcc, 0, v6
	s_and_saveexec_b64 s[2:3], vcc
	s_cbranch_execz .LBB127_59
; %bb.56:
	v_lshlrev_b32_e32 v10, 4, v202
	v_add_u32_e32 v7, 0x400, v10
	v_add_u32_e32 v201, 0, v10
	s_mov_b64 s[10:11], 0
.LBB127_57:                             ; =>This Inner Loop Header: Depth=1
	scratch_load_dwordx4 v[202:205], v201, off
	ds_read_b128 v[206:209], v7
	v_add_u32_e32 v6, -1, v6
	v_cmp_eq_u32_e32 vcc, 0, v6
	v_add_u32_e32 v7, 16, v7
	v_add_u32_e32 v201, 16, v201
	s_or_b64 s[10:11], vcc, s[10:11]
	s_waitcnt vmcnt(0) lgkmcnt(0)
	v_mul_f64 v[10:11], v[208:209], v[204:205]
	v_mul_f64 v[24:25], v[206:207], v[204:205]
	v_fma_f64 v[10:11], v[206:207], v[202:203], -v[10:11]
	v_fmac_f64_e32 v[24:25], v[208:209], v[202:203]
	v_add_f64 v[2:3], v[2:3], v[10:11]
	v_add_f64 v[4:5], v[4:5], v[24:25]
	s_andn2_b64 exec, exec, s[10:11]
	s_cbranch_execnz .LBB127_57
; %bb.58:
	s_or_b64 exec, exec, s[10:11]
.LBB127_59:
	s_or_b64 exec, exec, s[2:3]
.LBB127_60:
	s_or_b64 exec, exec, s[8:9]
	v_mov_b32_e32 v6, 0
	ds_read_b128 v[202:205], v6 offset:928
	s_waitcnt lgkmcnt(0)
	v_mul_f64 v[6:7], v[4:5], v[204:205]
	v_mul_f64 v[206:207], v[2:3], v[204:205]
	v_fma_f64 v[204:205], v[2:3], v[202:203], -v[6:7]
	v_fmac_f64_e32 v[206:207], v[4:5], v[202:203]
	scratch_store_dwordx4 off, v[204:207], off offset:928
.LBB127_61:
	s_or_b64 exec, exec, s[4:5]
	scratch_load_dwordx4 v[2:5], v145, off
	v_cmp_lt_u32_e64 s[2:3], 57, v0
	s_waitcnt vmcnt(0)
	ds_write_b128 v9, v[2:5]
	s_waitcnt lgkmcnt(0)
	; wave barrier
	s_waitcnt lgkmcnt(0)
	s_and_saveexec_b64 s[4:5], s[2:3]
	s_cbranch_execz .LBB127_75
; %bb.62:
	ds_read_b128 v[2:5], v9
	s_andn2_b64 vcc, exec, s[6:7]
	s_cbranch_vccnz .LBB127_64
; %bb.63:
	scratch_load_dwordx4 v[202:205], v8, off
	s_waitcnt vmcnt(0) lgkmcnt(0)
	v_mul_f64 v[10:11], v[2:3], v[204:205]
	v_mul_f64 v[6:7], v[4:5], v[204:205]
	v_fmac_f64_e32 v[10:11], v[4:5], v[202:203]
	v_fma_f64 v[2:3], v[2:3], v[202:203], -v[6:7]
	v_mov_b64_e32 v[4:5], v[10:11]
.LBB127_64:
	s_and_saveexec_b64 s[8:9], s[0:1]
	s_cbranch_execz .LBB127_74
; %bb.65:
	v_subrev_u32_e32 v7, 59, v0
	v_subrev_u32_e32 v6, 58, v0
	v_cmp_lt_u32_e32 vcc, 6, v7
	v_mov_b32_e32 v202, 58
	s_and_saveexec_b64 s[0:1], vcc
	s_cbranch_execz .LBB127_69
; %bb.66:
	v_and_b32_e32 v7, -8, v6
	s_mov_b32 s12, 0
	s_mov_b64 s[10:11], 0
	v_mov_b32_e32 v201, 0
	s_mov_b32 s13, 0
.LBB127_67:                             ; =>This Inner Loop Header: Depth=1
	v_readfirstlane_b32 s14, v201
	s_add_i32 s14, s14, s12
	s_add_i32 s15, s14, 0x3a0
	v_mov_b32_e32 v28, s12
	ds_read_b128 v[202:205], v28 offset:1952
	ds_read_b128 v[206:209], v28 offset:1968
	;; [unrolled: 1-line block ×4, first 2 shown]
	scratch_load_dwordx4 v[218:221], off, s15
	s_add_i32 s15, s14, 0x3b0
	s_addk_i32 s12, 0x80
	s_waitcnt vmcnt(0) lgkmcnt(3)
	v_mul_f64 v[10:11], v[204:205], v[220:221]
	v_mul_f64 v[24:25], v[202:203], v[220:221]
	v_fma_f64 v[10:11], v[202:203], v[218:219], -v[10:11]
	v_fmac_f64_e32 v[24:25], v[204:205], v[218:219]
	v_add_f64 v[10:11], v[2:3], v[10:11]
	v_add_f64 v[24:25], v[4:5], v[24:25]
	scratch_load_dwordx4 v[2:5], off, s15
	s_add_i32 s15, s14, 0x3c0
	s_waitcnt vmcnt(0) lgkmcnt(2)
	v_mul_f64 v[26:27], v[208:209], v[4:5]
	v_mul_f64 v[4:5], v[206:207], v[4:5]
	v_fmac_f64_e32 v[4:5], v[208:209], v[2:3]
	v_fma_f64 v[26:27], v[206:207], v[2:3], -v[26:27]
	v_add_f64 v[24:25], v[24:25], v[4:5]
	scratch_load_dwordx4 v[2:5], off, s15
	v_add_f64 v[10:11], v[10:11], v[26:27]
	s_add_i32 s15, s14, 0x3d0
	s_waitcnt vmcnt(0) lgkmcnt(1)
	v_mul_f64 v[26:27], v[212:213], v[4:5]
	v_mul_f64 v[4:5], v[210:211], v[4:5]
	v_fmac_f64_e32 v[4:5], v[212:213], v[2:3]
	v_fma_f64 v[26:27], v[210:211], v[2:3], -v[26:27]
	v_add_f64 v[24:25], v[24:25], v[4:5]
	scratch_load_dwordx4 v[2:5], off, s15
	s_add_i32 s15, s14, 0x3e0
	scratch_load_dwordx4 v[202:205], off, s15
	v_add_f64 v[10:11], v[10:11], v[26:27]
	s_add_i32 s15, s14, 0x3f0
	s_waitcnt vmcnt(1) lgkmcnt(0)
	v_mul_f64 v[26:27], v[216:217], v[4:5]
	v_mul_f64 v[4:5], v[214:215], v[4:5]
	v_fmac_f64_e32 v[4:5], v[216:217], v[2:3]
	v_fma_f64 v[26:27], v[214:215], v[2:3], -v[26:27]
	v_add_f64 v[24:25], v[24:25], v[4:5]
	ds_read_b128 v[2:5], v28 offset:2016
	v_add_f64 v[10:11], v[10:11], v[26:27]
	s_waitcnt vmcnt(0) lgkmcnt(0)
	v_mul_f64 v[26:27], v[4:5], v[204:205]
	v_fma_f64 v[26:27], v[2:3], v[202:203], -v[26:27]
	v_mul_f64 v[2:3], v[2:3], v[204:205]
	v_fmac_f64_e32 v[2:3], v[4:5], v[202:203]
	scratch_load_dwordx4 v[202:205], off, s15
	v_add_f64 v[24:25], v[24:25], v[2:3]
	ds_read_b128 v[2:5], v28 offset:2032
	v_add_f64 v[10:11], v[10:11], v[26:27]
	s_add_i32 s15, s14, 0x400
	s_addk_i32 s14, 0x410
	s_waitcnt vmcnt(0) lgkmcnt(0)
	v_mul_f64 v[26:27], v[4:5], v[204:205]
	v_fma_f64 v[26:27], v[2:3], v[202:203], -v[26:27]
	v_mul_f64 v[2:3], v[2:3], v[204:205]
	v_fmac_f64_e32 v[2:3], v[4:5], v[202:203]
	scratch_load_dwordx4 v[202:205], off, s15
	v_add_f64 v[24:25], v[24:25], v[2:3]
	ds_read_b128 v[2:5], v28 offset:2048
	v_add_f64 v[10:11], v[10:11], v[26:27]
	s_waitcnt vmcnt(0) lgkmcnt(0)
	v_mul_f64 v[26:27], v[4:5], v[204:205]
	v_fma_f64 v[26:27], v[2:3], v[202:203], -v[26:27]
	v_mul_f64 v[2:3], v[2:3], v[204:205]
	v_fmac_f64_e32 v[2:3], v[4:5], v[202:203]
	scratch_load_dwordx4 v[202:205], off, s14
	v_add_f64 v[24:25], v[24:25], v[2:3]
	ds_read_b128 v[2:5], v28 offset:2064
	v_add_f64 v[10:11], v[10:11], v[26:27]
	s_add_i32 s14, s13, 8
	v_cmp_eq_u32_e32 vcc, s14, v7
	s_addk_i32 s13, 0x42
	s_or_b64 s[10:11], vcc, s[10:11]
	s_waitcnt vmcnt(0) lgkmcnt(0)
	v_mul_f64 v[26:27], v[4:5], v[204:205]
	v_mul_f64 v[28:29], v[2:3], v[204:205]
	v_fma_f64 v[26:27], v[2:3], v[202:203], -v[26:27]
	v_fmac_f64_e32 v[28:29], v[4:5], v[202:203]
	v_add_f64 v[2:3], v[10:11], v[26:27]
	v_add_f64 v[4:5], v[24:25], v[28:29]
	v_mov_b32_e32 v202, s13
	s_mov_b32 s13, s14
	s_andn2_b64 exec, exec, s[10:11]
	s_cbranch_execnz .LBB127_67
; %bb.68:
	s_or_b64 exec, exec, s[10:11]
.LBB127_69:
	s_or_b64 exec, exec, s[0:1]
	v_and_b32_e32 v6, 7, v6
	v_cmp_ne_u32_e32 vcc, 0, v6
	s_and_saveexec_b64 s[0:1], vcc
	s_cbranch_execz .LBB127_73
; %bb.70:
	v_lshlrev_b32_e32 v10, 4, v202
	v_add_u32_e32 v7, 0x400, v10
	v_add_u32_e32 v201, 0, v10
	s_mov_b64 s[10:11], 0
.LBB127_71:                             ; =>This Inner Loop Header: Depth=1
	scratch_load_dwordx4 v[202:205], v201, off
	ds_read_b128 v[206:209], v7
	v_add_u32_e32 v6, -1, v6
	v_cmp_eq_u32_e32 vcc, 0, v6
	v_add_u32_e32 v7, 16, v7
	v_add_u32_e32 v201, 16, v201
	s_or_b64 s[10:11], vcc, s[10:11]
	s_waitcnt vmcnt(0) lgkmcnt(0)
	v_mul_f64 v[10:11], v[208:209], v[204:205]
	v_mul_f64 v[24:25], v[206:207], v[204:205]
	v_fma_f64 v[10:11], v[206:207], v[202:203], -v[10:11]
	v_fmac_f64_e32 v[24:25], v[208:209], v[202:203]
	v_add_f64 v[2:3], v[2:3], v[10:11]
	v_add_f64 v[4:5], v[4:5], v[24:25]
	s_andn2_b64 exec, exec, s[10:11]
	s_cbranch_execnz .LBB127_71
; %bb.72:
	s_or_b64 exec, exec, s[10:11]
.LBB127_73:
	s_or_b64 exec, exec, s[0:1]
.LBB127_74:
	s_or_b64 exec, exec, s[8:9]
	v_mov_b32_e32 v6, 0
	ds_read_b128 v[202:205], v6 offset:912
	s_waitcnt lgkmcnt(0)
	v_mul_f64 v[6:7], v[4:5], v[204:205]
	v_mul_f64 v[206:207], v[2:3], v[204:205]
	v_fma_f64 v[204:205], v[2:3], v[202:203], -v[6:7]
	v_fmac_f64_e32 v[206:207], v[4:5], v[202:203]
	scratch_store_dwordx4 off, v[204:207], off offset:912
.LBB127_75:
	s_or_b64 exec, exec, s[4:5]
	scratch_load_dwordx4 v[2:5], v146, off
	v_cmp_lt_u32_e64 s[0:1], 56, v0
	s_waitcnt vmcnt(0)
	ds_write_b128 v9, v[2:5]
	s_waitcnt lgkmcnt(0)
	; wave barrier
	s_waitcnt lgkmcnt(0)
	s_and_saveexec_b64 s[4:5], s[0:1]
	s_cbranch_execz .LBB127_89
; %bb.76:
	ds_read_b128 v[2:5], v9
	s_andn2_b64 vcc, exec, s[6:7]
	s_cbranch_vccnz .LBB127_78
; %bb.77:
	scratch_load_dwordx4 v[202:205], v8, off
	s_waitcnt vmcnt(0) lgkmcnt(0)
	v_mul_f64 v[10:11], v[2:3], v[204:205]
	v_mul_f64 v[6:7], v[4:5], v[204:205]
	v_fmac_f64_e32 v[10:11], v[4:5], v[202:203]
	v_fma_f64 v[2:3], v[2:3], v[202:203], -v[6:7]
	v_mov_b64_e32 v[4:5], v[10:11]
.LBB127_78:
	s_and_saveexec_b64 s[8:9], s[2:3]
	s_cbranch_execz .LBB127_88
; %bb.79:
	v_subrev_u32_e32 v7, 58, v0
	v_subrev_u32_e32 v6, 57, v0
	v_cmp_lt_u32_e32 vcc, 6, v7
	v_mov_b32_e32 v202, 57
	s_and_saveexec_b64 s[2:3], vcc
	s_cbranch_execz .LBB127_83
; %bb.80:
	v_and_b32_e32 v7, -8, v6
	s_mov_b32 s12, 0
	s_mov_b64 s[10:11], 0
	v_mov_b32_e32 v201, 0
	s_mov_b32 s13, 0
.LBB127_81:                             ; =>This Inner Loop Header: Depth=1
	v_readfirstlane_b32 s14, v201
	s_add_i32 s14, s14, s12
	s_add_i32 s15, s14, 0x390
	v_mov_b32_e32 v28, s12
	ds_read_b128 v[202:205], v28 offset:1936
	ds_read_b128 v[206:209], v28 offset:1952
	;; [unrolled: 1-line block ×4, first 2 shown]
	scratch_load_dwordx4 v[218:221], off, s15
	s_add_i32 s15, s14, 0x3a0
	s_addk_i32 s12, 0x80
	s_waitcnt vmcnt(0) lgkmcnt(3)
	v_mul_f64 v[10:11], v[204:205], v[220:221]
	v_mul_f64 v[24:25], v[202:203], v[220:221]
	v_fma_f64 v[10:11], v[202:203], v[218:219], -v[10:11]
	v_fmac_f64_e32 v[24:25], v[204:205], v[218:219]
	v_add_f64 v[10:11], v[2:3], v[10:11]
	v_add_f64 v[24:25], v[4:5], v[24:25]
	scratch_load_dwordx4 v[2:5], off, s15
	s_add_i32 s15, s14, 0x3b0
	s_waitcnt vmcnt(0) lgkmcnt(2)
	v_mul_f64 v[26:27], v[208:209], v[4:5]
	v_mul_f64 v[4:5], v[206:207], v[4:5]
	v_fmac_f64_e32 v[4:5], v[208:209], v[2:3]
	v_fma_f64 v[26:27], v[206:207], v[2:3], -v[26:27]
	v_add_f64 v[24:25], v[24:25], v[4:5]
	scratch_load_dwordx4 v[2:5], off, s15
	v_add_f64 v[10:11], v[10:11], v[26:27]
	s_add_i32 s15, s14, 0x3c0
	s_waitcnt vmcnt(0) lgkmcnt(1)
	v_mul_f64 v[26:27], v[212:213], v[4:5]
	v_mul_f64 v[4:5], v[210:211], v[4:5]
	v_fmac_f64_e32 v[4:5], v[212:213], v[2:3]
	v_fma_f64 v[26:27], v[210:211], v[2:3], -v[26:27]
	v_add_f64 v[24:25], v[24:25], v[4:5]
	scratch_load_dwordx4 v[2:5], off, s15
	s_add_i32 s15, s14, 0x3d0
	scratch_load_dwordx4 v[202:205], off, s15
	v_add_f64 v[10:11], v[10:11], v[26:27]
	s_add_i32 s15, s14, 0x3e0
	s_waitcnt vmcnt(1) lgkmcnt(0)
	v_mul_f64 v[26:27], v[216:217], v[4:5]
	v_mul_f64 v[4:5], v[214:215], v[4:5]
	v_fmac_f64_e32 v[4:5], v[216:217], v[2:3]
	v_fma_f64 v[26:27], v[214:215], v[2:3], -v[26:27]
	v_add_f64 v[24:25], v[24:25], v[4:5]
	ds_read_b128 v[2:5], v28 offset:2000
	v_add_f64 v[10:11], v[10:11], v[26:27]
	s_waitcnt vmcnt(0) lgkmcnt(0)
	v_mul_f64 v[26:27], v[4:5], v[204:205]
	v_fma_f64 v[26:27], v[2:3], v[202:203], -v[26:27]
	v_mul_f64 v[2:3], v[2:3], v[204:205]
	v_fmac_f64_e32 v[2:3], v[4:5], v[202:203]
	scratch_load_dwordx4 v[202:205], off, s15
	v_add_f64 v[24:25], v[24:25], v[2:3]
	ds_read_b128 v[2:5], v28 offset:2016
	v_add_f64 v[10:11], v[10:11], v[26:27]
	s_add_i32 s15, s14, 0x3f0
	s_addk_i32 s14, 0x400
	s_waitcnt vmcnt(0) lgkmcnt(0)
	v_mul_f64 v[26:27], v[4:5], v[204:205]
	v_fma_f64 v[26:27], v[2:3], v[202:203], -v[26:27]
	v_mul_f64 v[2:3], v[2:3], v[204:205]
	v_fmac_f64_e32 v[2:3], v[4:5], v[202:203]
	scratch_load_dwordx4 v[202:205], off, s15
	v_add_f64 v[24:25], v[24:25], v[2:3]
	ds_read_b128 v[2:5], v28 offset:2032
	v_add_f64 v[10:11], v[10:11], v[26:27]
	s_waitcnt vmcnt(0) lgkmcnt(0)
	v_mul_f64 v[26:27], v[4:5], v[204:205]
	v_fma_f64 v[26:27], v[2:3], v[202:203], -v[26:27]
	v_mul_f64 v[2:3], v[2:3], v[204:205]
	v_fmac_f64_e32 v[2:3], v[4:5], v[202:203]
	scratch_load_dwordx4 v[202:205], off, s14
	v_add_f64 v[24:25], v[24:25], v[2:3]
	ds_read_b128 v[2:5], v28 offset:2048
	v_add_f64 v[10:11], v[10:11], v[26:27]
	s_add_i32 s14, s13, 8
	v_cmp_eq_u32_e32 vcc, s14, v7
	s_addk_i32 s13, 0x41
	s_or_b64 s[10:11], vcc, s[10:11]
	s_waitcnt vmcnt(0) lgkmcnt(0)
	v_mul_f64 v[26:27], v[4:5], v[204:205]
	v_mul_f64 v[28:29], v[2:3], v[204:205]
	v_fma_f64 v[26:27], v[2:3], v[202:203], -v[26:27]
	v_fmac_f64_e32 v[28:29], v[4:5], v[202:203]
	v_add_f64 v[2:3], v[10:11], v[26:27]
	v_add_f64 v[4:5], v[24:25], v[28:29]
	v_mov_b32_e32 v202, s13
	s_mov_b32 s13, s14
	s_andn2_b64 exec, exec, s[10:11]
	s_cbranch_execnz .LBB127_81
; %bb.82:
	s_or_b64 exec, exec, s[10:11]
.LBB127_83:
	s_or_b64 exec, exec, s[2:3]
	v_and_b32_e32 v6, 7, v6
	v_cmp_ne_u32_e32 vcc, 0, v6
	s_and_saveexec_b64 s[2:3], vcc
	s_cbranch_execz .LBB127_87
; %bb.84:
	v_lshlrev_b32_e32 v10, 4, v202
	v_add_u32_e32 v7, 0x400, v10
	v_add_u32_e32 v201, 0, v10
	s_mov_b64 s[10:11], 0
.LBB127_85:                             ; =>This Inner Loop Header: Depth=1
	scratch_load_dwordx4 v[202:205], v201, off
	ds_read_b128 v[206:209], v7
	v_add_u32_e32 v6, -1, v6
	v_cmp_eq_u32_e32 vcc, 0, v6
	v_add_u32_e32 v7, 16, v7
	v_add_u32_e32 v201, 16, v201
	s_or_b64 s[10:11], vcc, s[10:11]
	s_waitcnt vmcnt(0) lgkmcnt(0)
	v_mul_f64 v[10:11], v[208:209], v[204:205]
	v_mul_f64 v[24:25], v[206:207], v[204:205]
	v_fma_f64 v[10:11], v[206:207], v[202:203], -v[10:11]
	v_fmac_f64_e32 v[24:25], v[208:209], v[202:203]
	v_add_f64 v[2:3], v[2:3], v[10:11]
	v_add_f64 v[4:5], v[4:5], v[24:25]
	s_andn2_b64 exec, exec, s[10:11]
	s_cbranch_execnz .LBB127_85
; %bb.86:
	s_or_b64 exec, exec, s[10:11]
.LBB127_87:
	s_or_b64 exec, exec, s[2:3]
.LBB127_88:
	s_or_b64 exec, exec, s[8:9]
	v_mov_b32_e32 v6, 0
	ds_read_b128 v[202:205], v6 offset:896
	s_waitcnt lgkmcnt(0)
	v_mul_f64 v[6:7], v[4:5], v[204:205]
	v_mul_f64 v[206:207], v[2:3], v[204:205]
	v_fma_f64 v[204:205], v[2:3], v[202:203], -v[6:7]
	v_fmac_f64_e32 v[206:207], v[4:5], v[202:203]
	scratch_store_dwordx4 off, v[204:207], off offset:896
.LBB127_89:
	s_or_b64 exec, exec, s[4:5]
	scratch_load_dwordx4 v[2:5], v147, off
	v_cmp_lt_u32_e64 s[2:3], 55, v0
	s_waitcnt vmcnt(0)
	ds_write_b128 v9, v[2:5]
	s_waitcnt lgkmcnt(0)
	; wave barrier
	s_waitcnt lgkmcnt(0)
	s_and_saveexec_b64 s[4:5], s[2:3]
	s_cbranch_execz .LBB127_103
; %bb.90:
	ds_read_b128 v[2:5], v9
	s_andn2_b64 vcc, exec, s[6:7]
	s_cbranch_vccnz .LBB127_92
; %bb.91:
	scratch_load_dwordx4 v[202:205], v8, off
	s_waitcnt vmcnt(0) lgkmcnt(0)
	v_mul_f64 v[10:11], v[2:3], v[204:205]
	v_mul_f64 v[6:7], v[4:5], v[204:205]
	v_fmac_f64_e32 v[10:11], v[4:5], v[202:203]
	v_fma_f64 v[2:3], v[2:3], v[202:203], -v[6:7]
	v_mov_b64_e32 v[4:5], v[10:11]
.LBB127_92:
	s_and_saveexec_b64 s[8:9], s[0:1]
	s_cbranch_execz .LBB127_102
; %bb.93:
	v_subrev_u32_e32 v6, 57, v0
	v_cmp_lt_u32_e32 vcc, 6, v6
	v_mov_b32_e32 v6, 56
	s_and_saveexec_b64 s[0:1], vcc
	s_cbranch_execz .LBB127_97
; %bb.94:
	s_mov_b32 s12, 56
	v_and_b32_e32 v6, 56, v0
	s_mov_b32 s13, 0
	s_mov_b64 s[10:11], 0
	v_mov_b32_e32 v7, 0
.LBB127_95:                             ; =>This Inner Loop Header: Depth=1
	s_nop 0
	v_readfirstlane_b32 s14, v7
	s_add_i32 s14, s14, s13
	s_add_i32 s15, s14, 0x380
	v_mov_b32_e32 v28, s13
	ds_read_b128 v[202:205], v28 offset:1920
	ds_read_b128 v[206:209], v28 offset:1936
	;; [unrolled: 1-line block ×4, first 2 shown]
	scratch_load_dwordx4 v[218:221], off, s15
	s_add_i32 s15, s14, 0x390
	s_add_i32 s12, s12, 8
	s_addk_i32 s13, 0x80
	v_cmp_eq_u32_e32 vcc, s12, v6
	s_waitcnt vmcnt(0) lgkmcnt(3)
	v_mul_f64 v[10:11], v[204:205], v[220:221]
	v_mul_f64 v[24:25], v[202:203], v[220:221]
	v_fma_f64 v[10:11], v[202:203], v[218:219], -v[10:11]
	v_fmac_f64_e32 v[24:25], v[204:205], v[218:219]
	v_add_f64 v[10:11], v[2:3], v[10:11]
	v_add_f64 v[24:25], v[4:5], v[24:25]
	scratch_load_dwordx4 v[2:5], off, s15
	s_add_i32 s15, s14, 0x3a0
	s_waitcnt vmcnt(0) lgkmcnt(2)
	v_mul_f64 v[26:27], v[208:209], v[4:5]
	v_mul_f64 v[4:5], v[206:207], v[4:5]
	v_fmac_f64_e32 v[4:5], v[208:209], v[2:3]
	v_fma_f64 v[26:27], v[206:207], v[2:3], -v[26:27]
	v_add_f64 v[24:25], v[24:25], v[4:5]
	scratch_load_dwordx4 v[2:5], off, s15
	v_add_f64 v[10:11], v[10:11], v[26:27]
	s_add_i32 s15, s14, 0x3b0
	s_waitcnt vmcnt(0) lgkmcnt(1)
	v_mul_f64 v[26:27], v[212:213], v[4:5]
	v_mul_f64 v[4:5], v[210:211], v[4:5]
	v_fmac_f64_e32 v[4:5], v[212:213], v[2:3]
	v_fma_f64 v[26:27], v[210:211], v[2:3], -v[26:27]
	v_add_f64 v[24:25], v[24:25], v[4:5]
	scratch_load_dwordx4 v[2:5], off, s15
	s_add_i32 s15, s14, 0x3c0
	scratch_load_dwordx4 v[202:205], off, s15
	v_add_f64 v[10:11], v[10:11], v[26:27]
	s_add_i32 s15, s14, 0x3d0
	s_waitcnt vmcnt(1) lgkmcnt(0)
	v_mul_f64 v[26:27], v[216:217], v[4:5]
	v_mul_f64 v[4:5], v[214:215], v[4:5]
	v_fmac_f64_e32 v[4:5], v[216:217], v[2:3]
	v_fma_f64 v[26:27], v[214:215], v[2:3], -v[26:27]
	v_add_f64 v[24:25], v[24:25], v[4:5]
	ds_read_b128 v[2:5], v28 offset:1984
	v_add_f64 v[10:11], v[10:11], v[26:27]
	s_waitcnt vmcnt(0) lgkmcnt(0)
	v_mul_f64 v[26:27], v[4:5], v[204:205]
	v_fma_f64 v[26:27], v[2:3], v[202:203], -v[26:27]
	v_mul_f64 v[2:3], v[2:3], v[204:205]
	v_fmac_f64_e32 v[2:3], v[4:5], v[202:203]
	scratch_load_dwordx4 v[202:205], off, s15
	v_add_f64 v[24:25], v[24:25], v[2:3]
	ds_read_b128 v[2:5], v28 offset:2000
	v_add_f64 v[10:11], v[10:11], v[26:27]
	s_add_i32 s15, s14, 0x3e0
	s_addk_i32 s14, 0x3f0
	s_or_b64 s[10:11], vcc, s[10:11]
	s_waitcnt vmcnt(0) lgkmcnt(0)
	v_mul_f64 v[26:27], v[4:5], v[204:205]
	v_fma_f64 v[26:27], v[2:3], v[202:203], -v[26:27]
	v_mul_f64 v[2:3], v[2:3], v[204:205]
	v_fmac_f64_e32 v[2:3], v[4:5], v[202:203]
	scratch_load_dwordx4 v[202:205], off, s15
	v_add_f64 v[24:25], v[24:25], v[2:3]
	ds_read_b128 v[2:5], v28 offset:2016
	v_add_f64 v[10:11], v[10:11], v[26:27]
	s_waitcnt vmcnt(0) lgkmcnt(0)
	v_mul_f64 v[26:27], v[4:5], v[204:205]
	v_fma_f64 v[26:27], v[2:3], v[202:203], -v[26:27]
	v_mul_f64 v[2:3], v[2:3], v[204:205]
	v_fmac_f64_e32 v[2:3], v[4:5], v[202:203]
	scratch_load_dwordx4 v[202:205], off, s14
	v_add_f64 v[24:25], v[24:25], v[2:3]
	ds_read_b128 v[2:5], v28 offset:2032
	v_add_f64 v[10:11], v[10:11], v[26:27]
	s_waitcnt vmcnt(0) lgkmcnt(0)
	v_mul_f64 v[26:27], v[4:5], v[204:205]
	v_mul_f64 v[28:29], v[2:3], v[204:205]
	v_fma_f64 v[26:27], v[2:3], v[202:203], -v[26:27]
	v_fmac_f64_e32 v[28:29], v[4:5], v[202:203]
	v_add_f64 v[2:3], v[10:11], v[26:27]
	v_add_f64 v[4:5], v[24:25], v[28:29]
	s_andn2_b64 exec, exec, s[10:11]
	s_cbranch_execnz .LBB127_95
; %bb.96:
	s_or_b64 exec, exec, s[10:11]
.LBB127_97:
	s_or_b64 exec, exec, s[0:1]
	v_and_b32_e32 v7, 7, v0
	v_cmp_ne_u32_e32 vcc, 0, v7
	s_and_saveexec_b64 s[0:1], vcc
	s_cbranch_execz .LBB127_101
; %bb.98:
	v_lshlrev_b32_e32 v10, 4, v6
	v_or_b32_e32 v6, 0x400, v10
	v_add_u32_e32 v201, 0, v10
	s_mov_b64 s[10:11], 0
.LBB127_99:                             ; =>This Inner Loop Header: Depth=1
	scratch_load_dwordx4 v[202:205], v201, off
	ds_read_b128 v[206:209], v6
	v_add_u32_e32 v7, -1, v7
	v_cmp_eq_u32_e32 vcc, 0, v7
	v_add_u32_e32 v6, 16, v6
	v_add_u32_e32 v201, 16, v201
	s_or_b64 s[10:11], vcc, s[10:11]
	s_waitcnt vmcnt(0) lgkmcnt(0)
	v_mul_f64 v[10:11], v[208:209], v[204:205]
	v_mul_f64 v[24:25], v[206:207], v[204:205]
	v_fma_f64 v[10:11], v[206:207], v[202:203], -v[10:11]
	v_fmac_f64_e32 v[24:25], v[208:209], v[202:203]
	v_add_f64 v[2:3], v[2:3], v[10:11]
	v_add_f64 v[4:5], v[4:5], v[24:25]
	s_andn2_b64 exec, exec, s[10:11]
	s_cbranch_execnz .LBB127_99
; %bb.100:
	s_or_b64 exec, exec, s[10:11]
.LBB127_101:
	s_or_b64 exec, exec, s[0:1]
.LBB127_102:
	s_or_b64 exec, exec, s[8:9]
	v_mov_b32_e32 v6, 0
	ds_read_b128 v[202:205], v6 offset:880
	s_waitcnt lgkmcnt(0)
	v_mul_f64 v[6:7], v[4:5], v[204:205]
	v_mul_f64 v[206:207], v[2:3], v[204:205]
	v_fma_f64 v[204:205], v[2:3], v[202:203], -v[6:7]
	v_fmac_f64_e32 v[206:207], v[4:5], v[202:203]
	scratch_store_dwordx4 off, v[204:207], off offset:880
.LBB127_103:
	s_or_b64 exec, exec, s[4:5]
	scratch_load_dwordx4 v[2:5], v148, off
	v_cmp_lt_u32_e64 s[0:1], 54, v0
	s_waitcnt vmcnt(0)
	ds_write_b128 v9, v[2:5]
	s_waitcnt lgkmcnt(0)
	; wave barrier
	s_waitcnt lgkmcnt(0)
	s_and_saveexec_b64 s[4:5], s[0:1]
	s_cbranch_execz .LBB127_117
; %bb.104:
	ds_read_b128 v[2:5], v9
	s_andn2_b64 vcc, exec, s[6:7]
	s_cbranch_vccnz .LBB127_106
; %bb.105:
	scratch_load_dwordx4 v[202:205], v8, off
	s_waitcnt vmcnt(0) lgkmcnt(0)
	v_mul_f64 v[10:11], v[2:3], v[204:205]
	v_mul_f64 v[6:7], v[4:5], v[204:205]
	v_fmac_f64_e32 v[10:11], v[4:5], v[202:203]
	v_fma_f64 v[2:3], v[2:3], v[202:203], -v[6:7]
	v_mov_b64_e32 v[4:5], v[10:11]
.LBB127_106:
	s_and_saveexec_b64 s[8:9], s[2:3]
	s_cbranch_execz .LBB127_116
; %bb.107:
	v_subrev_u32_e32 v7, 56, v0
	v_subrev_u32_e32 v6, 55, v0
	v_cmp_lt_u32_e32 vcc, 6, v7
	v_mov_b32_e32 v202, 55
	s_and_saveexec_b64 s[2:3], vcc
	s_cbranch_execz .LBB127_111
; %bb.108:
	v_and_b32_e32 v7, -8, v6
	s_mov_b32 s12, 0
	s_mov_b64 s[10:11], 0
	v_mov_b32_e32 v201, 0
	s_mov_b32 s13, 0
.LBB127_109:                            ; =>This Inner Loop Header: Depth=1
	v_readfirstlane_b32 s14, v201
	s_add_i32 s14, s14, s12
	s_add_i32 s15, s14, 0x370
	v_mov_b32_e32 v28, s12
	ds_read_b128 v[202:205], v28 offset:1904
	ds_read_b128 v[206:209], v28 offset:1920
	;; [unrolled: 1-line block ×4, first 2 shown]
	scratch_load_dwordx4 v[218:221], off, s15
	s_add_i32 s15, s14, 0x380
	s_addk_i32 s12, 0x80
	s_waitcnt vmcnt(0) lgkmcnt(3)
	v_mul_f64 v[10:11], v[204:205], v[220:221]
	v_mul_f64 v[24:25], v[202:203], v[220:221]
	v_fma_f64 v[10:11], v[202:203], v[218:219], -v[10:11]
	v_fmac_f64_e32 v[24:25], v[204:205], v[218:219]
	v_add_f64 v[10:11], v[2:3], v[10:11]
	v_add_f64 v[24:25], v[4:5], v[24:25]
	scratch_load_dwordx4 v[2:5], off, s15
	s_add_i32 s15, s14, 0x390
	s_waitcnt vmcnt(0) lgkmcnt(2)
	v_mul_f64 v[26:27], v[208:209], v[4:5]
	v_mul_f64 v[4:5], v[206:207], v[4:5]
	v_fmac_f64_e32 v[4:5], v[208:209], v[2:3]
	v_fma_f64 v[26:27], v[206:207], v[2:3], -v[26:27]
	v_add_f64 v[24:25], v[24:25], v[4:5]
	scratch_load_dwordx4 v[2:5], off, s15
	v_add_f64 v[10:11], v[10:11], v[26:27]
	s_add_i32 s15, s14, 0x3a0
	s_waitcnt vmcnt(0) lgkmcnt(1)
	v_mul_f64 v[26:27], v[212:213], v[4:5]
	v_mul_f64 v[4:5], v[210:211], v[4:5]
	v_fmac_f64_e32 v[4:5], v[212:213], v[2:3]
	v_fma_f64 v[26:27], v[210:211], v[2:3], -v[26:27]
	v_add_f64 v[24:25], v[24:25], v[4:5]
	scratch_load_dwordx4 v[2:5], off, s15
	s_add_i32 s15, s14, 0x3b0
	scratch_load_dwordx4 v[202:205], off, s15
	v_add_f64 v[10:11], v[10:11], v[26:27]
	s_add_i32 s15, s14, 0x3c0
	s_waitcnt vmcnt(1) lgkmcnt(0)
	v_mul_f64 v[26:27], v[216:217], v[4:5]
	v_mul_f64 v[4:5], v[214:215], v[4:5]
	v_fmac_f64_e32 v[4:5], v[216:217], v[2:3]
	v_fma_f64 v[26:27], v[214:215], v[2:3], -v[26:27]
	v_add_f64 v[24:25], v[24:25], v[4:5]
	ds_read_b128 v[2:5], v28 offset:1968
	v_add_f64 v[10:11], v[10:11], v[26:27]
	s_waitcnt vmcnt(0) lgkmcnt(0)
	v_mul_f64 v[26:27], v[4:5], v[204:205]
	v_fma_f64 v[26:27], v[2:3], v[202:203], -v[26:27]
	v_mul_f64 v[2:3], v[2:3], v[204:205]
	v_fmac_f64_e32 v[2:3], v[4:5], v[202:203]
	scratch_load_dwordx4 v[202:205], off, s15
	v_add_f64 v[24:25], v[24:25], v[2:3]
	ds_read_b128 v[2:5], v28 offset:1984
	v_add_f64 v[10:11], v[10:11], v[26:27]
	s_add_i32 s15, s14, 0x3d0
	s_addk_i32 s14, 0x3e0
	s_waitcnt vmcnt(0) lgkmcnt(0)
	v_mul_f64 v[26:27], v[4:5], v[204:205]
	v_fma_f64 v[26:27], v[2:3], v[202:203], -v[26:27]
	v_mul_f64 v[2:3], v[2:3], v[204:205]
	v_fmac_f64_e32 v[2:3], v[4:5], v[202:203]
	scratch_load_dwordx4 v[202:205], off, s15
	v_add_f64 v[24:25], v[24:25], v[2:3]
	ds_read_b128 v[2:5], v28 offset:2000
	v_add_f64 v[10:11], v[10:11], v[26:27]
	s_waitcnt vmcnt(0) lgkmcnt(0)
	v_mul_f64 v[26:27], v[4:5], v[204:205]
	v_fma_f64 v[26:27], v[2:3], v[202:203], -v[26:27]
	v_mul_f64 v[2:3], v[2:3], v[204:205]
	v_fmac_f64_e32 v[2:3], v[4:5], v[202:203]
	scratch_load_dwordx4 v[202:205], off, s14
	v_add_f64 v[24:25], v[24:25], v[2:3]
	ds_read_b128 v[2:5], v28 offset:2016
	v_add_f64 v[10:11], v[10:11], v[26:27]
	s_add_i32 s14, s13, 8
	v_cmp_eq_u32_e32 vcc, s14, v7
	s_add_i32 s13, s13, 63
	s_or_b64 s[10:11], vcc, s[10:11]
	s_waitcnt vmcnt(0) lgkmcnt(0)
	v_mul_f64 v[26:27], v[4:5], v[204:205]
	v_mul_f64 v[28:29], v[2:3], v[204:205]
	v_fma_f64 v[26:27], v[2:3], v[202:203], -v[26:27]
	v_fmac_f64_e32 v[28:29], v[4:5], v[202:203]
	v_add_f64 v[2:3], v[10:11], v[26:27]
	v_add_f64 v[4:5], v[24:25], v[28:29]
	v_mov_b32_e32 v202, s13
	s_mov_b32 s13, s14
	s_andn2_b64 exec, exec, s[10:11]
	s_cbranch_execnz .LBB127_109
; %bb.110:
	s_or_b64 exec, exec, s[10:11]
.LBB127_111:
	s_or_b64 exec, exec, s[2:3]
	v_and_b32_e32 v6, 7, v6
	v_cmp_ne_u32_e32 vcc, 0, v6
	s_and_saveexec_b64 s[2:3], vcc
	s_cbranch_execz .LBB127_115
; %bb.112:
	v_lshlrev_b32_e32 v10, 4, v202
	v_add_u32_e32 v7, 0x400, v10
	v_add_u32_e32 v201, 0, v10
	s_mov_b64 s[10:11], 0
.LBB127_113:                            ; =>This Inner Loop Header: Depth=1
	scratch_load_dwordx4 v[202:205], v201, off
	ds_read_b128 v[206:209], v7
	v_add_u32_e32 v6, -1, v6
	v_cmp_eq_u32_e32 vcc, 0, v6
	v_add_u32_e32 v7, 16, v7
	v_add_u32_e32 v201, 16, v201
	s_or_b64 s[10:11], vcc, s[10:11]
	s_waitcnt vmcnt(0) lgkmcnt(0)
	v_mul_f64 v[10:11], v[208:209], v[204:205]
	v_mul_f64 v[24:25], v[206:207], v[204:205]
	v_fma_f64 v[10:11], v[206:207], v[202:203], -v[10:11]
	v_fmac_f64_e32 v[24:25], v[208:209], v[202:203]
	v_add_f64 v[2:3], v[2:3], v[10:11]
	v_add_f64 v[4:5], v[4:5], v[24:25]
	s_andn2_b64 exec, exec, s[10:11]
	s_cbranch_execnz .LBB127_113
; %bb.114:
	s_or_b64 exec, exec, s[10:11]
.LBB127_115:
	s_or_b64 exec, exec, s[2:3]
.LBB127_116:
	s_or_b64 exec, exec, s[8:9]
	v_mov_b32_e32 v6, 0
	ds_read_b128 v[202:205], v6 offset:864
	s_waitcnt lgkmcnt(0)
	v_mul_f64 v[6:7], v[4:5], v[204:205]
	v_mul_f64 v[206:207], v[2:3], v[204:205]
	v_fma_f64 v[204:205], v[2:3], v[202:203], -v[6:7]
	v_fmac_f64_e32 v[206:207], v[4:5], v[202:203]
	scratch_store_dwordx4 off, v[204:207], off offset:864
.LBB127_117:
	s_or_b64 exec, exec, s[4:5]
	scratch_load_dwordx4 v[2:5], v113, off
	v_cmp_lt_u32_e64 s[2:3], 53, v0
	s_waitcnt vmcnt(0)
	ds_write_b128 v9, v[2:5]
	s_waitcnt lgkmcnt(0)
	; wave barrier
	s_waitcnt lgkmcnt(0)
	s_and_saveexec_b64 s[4:5], s[2:3]
	s_cbranch_execz .LBB127_131
; %bb.118:
	ds_read_b128 v[2:5], v9
	s_andn2_b64 vcc, exec, s[6:7]
	s_cbranch_vccnz .LBB127_120
; %bb.119:
	scratch_load_dwordx4 v[202:205], v8, off
	s_waitcnt vmcnt(0) lgkmcnt(0)
	v_mul_f64 v[10:11], v[2:3], v[204:205]
	v_mul_f64 v[6:7], v[4:5], v[204:205]
	v_fmac_f64_e32 v[10:11], v[4:5], v[202:203]
	v_fma_f64 v[2:3], v[2:3], v[202:203], -v[6:7]
	v_mov_b64_e32 v[4:5], v[10:11]
.LBB127_120:
	s_and_saveexec_b64 s[8:9], s[0:1]
	s_cbranch_execz .LBB127_130
; %bb.121:
	v_subrev_u32_e32 v7, 55, v0
	v_subrev_u32_e32 v6, 54, v0
	v_cmp_lt_u32_e32 vcc, 6, v7
	v_mov_b32_e32 v202, 54
	s_and_saveexec_b64 s[0:1], vcc
	s_cbranch_execz .LBB127_125
; %bb.122:
	v_and_b32_e32 v7, -8, v6
	s_mov_b32 s12, 0
	s_mov_b64 s[10:11], 0
	v_mov_b32_e32 v201, 0
	s_mov_b32 s13, 0
.LBB127_123:                            ; =>This Inner Loop Header: Depth=1
	v_readfirstlane_b32 s14, v201
	s_add_i32 s14, s14, s12
	s_add_i32 s15, s14, 0x360
	v_mov_b32_e32 v28, s12
	ds_read_b128 v[202:205], v28 offset:1888
	ds_read_b128 v[206:209], v28 offset:1904
	;; [unrolled: 1-line block ×4, first 2 shown]
	scratch_load_dwordx4 v[218:221], off, s15
	s_add_i32 s15, s14, 0x370
	s_addk_i32 s12, 0x80
	s_waitcnt vmcnt(0) lgkmcnt(3)
	v_mul_f64 v[10:11], v[204:205], v[220:221]
	v_mul_f64 v[24:25], v[202:203], v[220:221]
	v_fma_f64 v[10:11], v[202:203], v[218:219], -v[10:11]
	v_fmac_f64_e32 v[24:25], v[204:205], v[218:219]
	v_add_f64 v[10:11], v[2:3], v[10:11]
	v_add_f64 v[24:25], v[4:5], v[24:25]
	scratch_load_dwordx4 v[2:5], off, s15
	s_add_i32 s15, s14, 0x380
	s_waitcnt vmcnt(0) lgkmcnt(2)
	v_mul_f64 v[26:27], v[208:209], v[4:5]
	v_mul_f64 v[4:5], v[206:207], v[4:5]
	v_fmac_f64_e32 v[4:5], v[208:209], v[2:3]
	v_fma_f64 v[26:27], v[206:207], v[2:3], -v[26:27]
	v_add_f64 v[24:25], v[24:25], v[4:5]
	scratch_load_dwordx4 v[2:5], off, s15
	v_add_f64 v[10:11], v[10:11], v[26:27]
	s_add_i32 s15, s14, 0x390
	s_waitcnt vmcnt(0) lgkmcnt(1)
	v_mul_f64 v[26:27], v[212:213], v[4:5]
	v_mul_f64 v[4:5], v[210:211], v[4:5]
	v_fmac_f64_e32 v[4:5], v[212:213], v[2:3]
	v_fma_f64 v[26:27], v[210:211], v[2:3], -v[26:27]
	v_add_f64 v[24:25], v[24:25], v[4:5]
	scratch_load_dwordx4 v[2:5], off, s15
	s_add_i32 s15, s14, 0x3a0
	scratch_load_dwordx4 v[202:205], off, s15
	v_add_f64 v[10:11], v[10:11], v[26:27]
	s_add_i32 s15, s14, 0x3b0
	s_waitcnt vmcnt(1) lgkmcnt(0)
	v_mul_f64 v[26:27], v[216:217], v[4:5]
	v_mul_f64 v[4:5], v[214:215], v[4:5]
	v_fmac_f64_e32 v[4:5], v[216:217], v[2:3]
	v_fma_f64 v[26:27], v[214:215], v[2:3], -v[26:27]
	v_add_f64 v[24:25], v[24:25], v[4:5]
	ds_read_b128 v[2:5], v28 offset:1952
	v_add_f64 v[10:11], v[10:11], v[26:27]
	s_waitcnt vmcnt(0) lgkmcnt(0)
	v_mul_f64 v[26:27], v[4:5], v[204:205]
	v_fma_f64 v[26:27], v[2:3], v[202:203], -v[26:27]
	v_mul_f64 v[2:3], v[2:3], v[204:205]
	v_fmac_f64_e32 v[2:3], v[4:5], v[202:203]
	scratch_load_dwordx4 v[202:205], off, s15
	v_add_f64 v[24:25], v[24:25], v[2:3]
	ds_read_b128 v[2:5], v28 offset:1968
	v_add_f64 v[10:11], v[10:11], v[26:27]
	s_add_i32 s15, s14, 0x3c0
	s_addk_i32 s14, 0x3d0
	s_waitcnt vmcnt(0) lgkmcnt(0)
	v_mul_f64 v[26:27], v[4:5], v[204:205]
	v_fma_f64 v[26:27], v[2:3], v[202:203], -v[26:27]
	v_mul_f64 v[2:3], v[2:3], v[204:205]
	v_fmac_f64_e32 v[2:3], v[4:5], v[202:203]
	scratch_load_dwordx4 v[202:205], off, s15
	v_add_f64 v[24:25], v[24:25], v[2:3]
	ds_read_b128 v[2:5], v28 offset:1984
	v_add_f64 v[10:11], v[10:11], v[26:27]
	s_waitcnt vmcnt(0) lgkmcnt(0)
	v_mul_f64 v[26:27], v[4:5], v[204:205]
	v_fma_f64 v[26:27], v[2:3], v[202:203], -v[26:27]
	v_mul_f64 v[2:3], v[2:3], v[204:205]
	v_fmac_f64_e32 v[2:3], v[4:5], v[202:203]
	scratch_load_dwordx4 v[202:205], off, s14
	v_add_f64 v[24:25], v[24:25], v[2:3]
	ds_read_b128 v[2:5], v28 offset:2000
	v_add_f64 v[10:11], v[10:11], v[26:27]
	s_add_i32 s14, s13, 8
	v_cmp_eq_u32_e32 vcc, s14, v7
	s_add_i32 s13, s13, 62
	s_or_b64 s[10:11], vcc, s[10:11]
	s_waitcnt vmcnt(0) lgkmcnt(0)
	v_mul_f64 v[26:27], v[4:5], v[204:205]
	v_mul_f64 v[28:29], v[2:3], v[204:205]
	v_fma_f64 v[26:27], v[2:3], v[202:203], -v[26:27]
	v_fmac_f64_e32 v[28:29], v[4:5], v[202:203]
	v_add_f64 v[2:3], v[10:11], v[26:27]
	v_add_f64 v[4:5], v[24:25], v[28:29]
	v_mov_b32_e32 v202, s13
	s_mov_b32 s13, s14
	s_andn2_b64 exec, exec, s[10:11]
	s_cbranch_execnz .LBB127_123
; %bb.124:
	s_or_b64 exec, exec, s[10:11]
.LBB127_125:
	s_or_b64 exec, exec, s[0:1]
	v_and_b32_e32 v6, 7, v6
	v_cmp_ne_u32_e32 vcc, 0, v6
	s_and_saveexec_b64 s[0:1], vcc
	s_cbranch_execz .LBB127_129
; %bb.126:
	v_lshlrev_b32_e32 v10, 4, v202
	v_add_u32_e32 v7, 0x400, v10
	v_add_u32_e32 v201, 0, v10
	s_mov_b64 s[10:11], 0
.LBB127_127:                            ; =>This Inner Loop Header: Depth=1
	scratch_load_dwordx4 v[202:205], v201, off
	ds_read_b128 v[206:209], v7
	v_add_u32_e32 v6, -1, v6
	v_cmp_eq_u32_e32 vcc, 0, v6
	v_add_u32_e32 v7, 16, v7
	v_add_u32_e32 v201, 16, v201
	s_or_b64 s[10:11], vcc, s[10:11]
	s_waitcnt vmcnt(0) lgkmcnt(0)
	v_mul_f64 v[10:11], v[208:209], v[204:205]
	v_mul_f64 v[24:25], v[206:207], v[204:205]
	v_fma_f64 v[10:11], v[206:207], v[202:203], -v[10:11]
	v_fmac_f64_e32 v[24:25], v[208:209], v[202:203]
	v_add_f64 v[2:3], v[2:3], v[10:11]
	v_add_f64 v[4:5], v[4:5], v[24:25]
	s_andn2_b64 exec, exec, s[10:11]
	s_cbranch_execnz .LBB127_127
; %bb.128:
	s_or_b64 exec, exec, s[10:11]
.LBB127_129:
	s_or_b64 exec, exec, s[0:1]
.LBB127_130:
	s_or_b64 exec, exec, s[8:9]
	v_mov_b32_e32 v6, 0
	ds_read_b128 v[202:205], v6 offset:848
	s_waitcnt lgkmcnt(0)
	v_mul_f64 v[6:7], v[4:5], v[204:205]
	v_mul_f64 v[206:207], v[2:3], v[204:205]
	v_fma_f64 v[204:205], v[2:3], v[202:203], -v[6:7]
	v_fmac_f64_e32 v[206:207], v[4:5], v[202:203]
	scratch_store_dwordx4 off, v[204:207], off offset:848
.LBB127_131:
	s_or_b64 exec, exec, s[4:5]
	scratch_load_dwordx4 v[2:5], v149, off
	v_cmp_lt_u32_e64 s[0:1], 52, v0
	s_waitcnt vmcnt(0)
	ds_write_b128 v9, v[2:5]
	s_waitcnt lgkmcnt(0)
	; wave barrier
	s_waitcnt lgkmcnt(0)
	s_and_saveexec_b64 s[4:5], s[0:1]
	s_cbranch_execz .LBB127_145
; %bb.132:
	ds_read_b128 v[2:5], v9
	s_andn2_b64 vcc, exec, s[6:7]
	s_cbranch_vccnz .LBB127_134
; %bb.133:
	scratch_load_dwordx4 v[202:205], v8, off
	s_waitcnt vmcnt(0) lgkmcnt(0)
	v_mul_f64 v[10:11], v[2:3], v[204:205]
	v_mul_f64 v[6:7], v[4:5], v[204:205]
	v_fmac_f64_e32 v[10:11], v[4:5], v[202:203]
	v_fma_f64 v[2:3], v[2:3], v[202:203], -v[6:7]
	v_mov_b64_e32 v[4:5], v[10:11]
.LBB127_134:
	s_and_saveexec_b64 s[8:9], s[2:3]
	s_cbranch_execz .LBB127_144
; %bb.135:
	v_subrev_u32_e32 v7, 54, v0
	v_subrev_u32_e32 v6, 53, v0
	v_cmp_lt_u32_e32 vcc, 6, v7
	v_mov_b32_e32 v202, 53
	s_and_saveexec_b64 s[2:3], vcc
	s_cbranch_execz .LBB127_139
; %bb.136:
	v_and_b32_e32 v7, -8, v6
	s_mov_b32 s12, 0
	s_mov_b64 s[10:11], 0
	v_mov_b32_e32 v201, 0
	s_mov_b32 s13, 0
.LBB127_137:                            ; =>This Inner Loop Header: Depth=1
	v_readfirstlane_b32 s14, v201
	s_add_i32 s14, s14, s12
	s_add_i32 s15, s14, 0x350
	v_mov_b32_e32 v28, s12
	ds_read_b128 v[202:205], v28 offset:1872
	ds_read_b128 v[206:209], v28 offset:1888
	;; [unrolled: 1-line block ×4, first 2 shown]
	scratch_load_dwordx4 v[218:221], off, s15
	s_add_i32 s15, s14, 0x360
	s_addk_i32 s12, 0x80
	s_waitcnt vmcnt(0) lgkmcnt(3)
	v_mul_f64 v[10:11], v[204:205], v[220:221]
	v_mul_f64 v[24:25], v[202:203], v[220:221]
	v_fma_f64 v[10:11], v[202:203], v[218:219], -v[10:11]
	v_fmac_f64_e32 v[24:25], v[204:205], v[218:219]
	v_add_f64 v[10:11], v[2:3], v[10:11]
	v_add_f64 v[24:25], v[4:5], v[24:25]
	scratch_load_dwordx4 v[2:5], off, s15
	s_add_i32 s15, s14, 0x370
	s_waitcnt vmcnt(0) lgkmcnt(2)
	v_mul_f64 v[26:27], v[208:209], v[4:5]
	v_mul_f64 v[4:5], v[206:207], v[4:5]
	v_fmac_f64_e32 v[4:5], v[208:209], v[2:3]
	v_fma_f64 v[26:27], v[206:207], v[2:3], -v[26:27]
	v_add_f64 v[24:25], v[24:25], v[4:5]
	scratch_load_dwordx4 v[2:5], off, s15
	v_add_f64 v[10:11], v[10:11], v[26:27]
	s_add_i32 s15, s14, 0x380
	s_waitcnt vmcnt(0) lgkmcnt(1)
	v_mul_f64 v[26:27], v[212:213], v[4:5]
	v_mul_f64 v[4:5], v[210:211], v[4:5]
	v_fmac_f64_e32 v[4:5], v[212:213], v[2:3]
	v_fma_f64 v[26:27], v[210:211], v[2:3], -v[26:27]
	v_add_f64 v[24:25], v[24:25], v[4:5]
	scratch_load_dwordx4 v[2:5], off, s15
	s_add_i32 s15, s14, 0x390
	scratch_load_dwordx4 v[202:205], off, s15
	v_add_f64 v[10:11], v[10:11], v[26:27]
	s_add_i32 s15, s14, 0x3a0
	s_waitcnt vmcnt(1) lgkmcnt(0)
	v_mul_f64 v[26:27], v[216:217], v[4:5]
	v_mul_f64 v[4:5], v[214:215], v[4:5]
	v_fmac_f64_e32 v[4:5], v[216:217], v[2:3]
	v_fma_f64 v[26:27], v[214:215], v[2:3], -v[26:27]
	v_add_f64 v[24:25], v[24:25], v[4:5]
	ds_read_b128 v[2:5], v28 offset:1936
	v_add_f64 v[10:11], v[10:11], v[26:27]
	s_waitcnt vmcnt(0) lgkmcnt(0)
	v_mul_f64 v[26:27], v[4:5], v[204:205]
	v_fma_f64 v[26:27], v[2:3], v[202:203], -v[26:27]
	v_mul_f64 v[2:3], v[2:3], v[204:205]
	v_fmac_f64_e32 v[2:3], v[4:5], v[202:203]
	scratch_load_dwordx4 v[202:205], off, s15
	v_add_f64 v[24:25], v[24:25], v[2:3]
	ds_read_b128 v[2:5], v28 offset:1952
	v_add_f64 v[10:11], v[10:11], v[26:27]
	s_add_i32 s15, s14, 0x3b0
	s_addk_i32 s14, 0x3c0
	s_waitcnt vmcnt(0) lgkmcnt(0)
	v_mul_f64 v[26:27], v[4:5], v[204:205]
	v_fma_f64 v[26:27], v[2:3], v[202:203], -v[26:27]
	v_mul_f64 v[2:3], v[2:3], v[204:205]
	v_fmac_f64_e32 v[2:3], v[4:5], v[202:203]
	scratch_load_dwordx4 v[202:205], off, s15
	v_add_f64 v[24:25], v[24:25], v[2:3]
	ds_read_b128 v[2:5], v28 offset:1968
	v_add_f64 v[10:11], v[10:11], v[26:27]
	s_waitcnt vmcnt(0) lgkmcnt(0)
	v_mul_f64 v[26:27], v[4:5], v[204:205]
	v_fma_f64 v[26:27], v[2:3], v[202:203], -v[26:27]
	v_mul_f64 v[2:3], v[2:3], v[204:205]
	v_fmac_f64_e32 v[2:3], v[4:5], v[202:203]
	scratch_load_dwordx4 v[202:205], off, s14
	v_add_f64 v[24:25], v[24:25], v[2:3]
	ds_read_b128 v[2:5], v28 offset:1984
	v_add_f64 v[10:11], v[10:11], v[26:27]
	s_add_i32 s14, s13, 8
	v_cmp_eq_u32_e32 vcc, s14, v7
	s_add_i32 s13, s13, 61
	s_or_b64 s[10:11], vcc, s[10:11]
	s_waitcnt vmcnt(0) lgkmcnt(0)
	v_mul_f64 v[26:27], v[4:5], v[204:205]
	v_mul_f64 v[28:29], v[2:3], v[204:205]
	v_fma_f64 v[26:27], v[2:3], v[202:203], -v[26:27]
	v_fmac_f64_e32 v[28:29], v[4:5], v[202:203]
	v_add_f64 v[2:3], v[10:11], v[26:27]
	v_add_f64 v[4:5], v[24:25], v[28:29]
	v_mov_b32_e32 v202, s13
	s_mov_b32 s13, s14
	s_andn2_b64 exec, exec, s[10:11]
	s_cbranch_execnz .LBB127_137
; %bb.138:
	s_or_b64 exec, exec, s[10:11]
.LBB127_139:
	s_or_b64 exec, exec, s[2:3]
	v_and_b32_e32 v6, 7, v6
	v_cmp_ne_u32_e32 vcc, 0, v6
	s_and_saveexec_b64 s[2:3], vcc
	s_cbranch_execz .LBB127_143
; %bb.140:
	v_lshlrev_b32_e32 v10, 4, v202
	v_add_u32_e32 v7, 0x400, v10
	v_add_u32_e32 v201, 0, v10
	s_mov_b64 s[10:11], 0
.LBB127_141:                            ; =>This Inner Loop Header: Depth=1
	scratch_load_dwordx4 v[202:205], v201, off
	ds_read_b128 v[206:209], v7
	v_add_u32_e32 v6, -1, v6
	v_cmp_eq_u32_e32 vcc, 0, v6
	v_add_u32_e32 v7, 16, v7
	v_add_u32_e32 v201, 16, v201
	s_or_b64 s[10:11], vcc, s[10:11]
	s_waitcnt vmcnt(0) lgkmcnt(0)
	v_mul_f64 v[10:11], v[208:209], v[204:205]
	v_mul_f64 v[24:25], v[206:207], v[204:205]
	v_fma_f64 v[10:11], v[206:207], v[202:203], -v[10:11]
	v_fmac_f64_e32 v[24:25], v[208:209], v[202:203]
	v_add_f64 v[2:3], v[2:3], v[10:11]
	v_add_f64 v[4:5], v[4:5], v[24:25]
	s_andn2_b64 exec, exec, s[10:11]
	s_cbranch_execnz .LBB127_141
; %bb.142:
	s_or_b64 exec, exec, s[10:11]
.LBB127_143:
	s_or_b64 exec, exec, s[2:3]
.LBB127_144:
	s_or_b64 exec, exec, s[8:9]
	v_mov_b32_e32 v6, 0
	ds_read_b128 v[202:205], v6 offset:832
	s_waitcnt lgkmcnt(0)
	v_mul_f64 v[6:7], v[4:5], v[204:205]
	v_mul_f64 v[206:207], v[2:3], v[204:205]
	v_fma_f64 v[204:205], v[2:3], v[202:203], -v[6:7]
	v_fmac_f64_e32 v[206:207], v[4:5], v[202:203]
	scratch_store_dwordx4 off, v[204:207], off offset:832
.LBB127_145:
	s_or_b64 exec, exec, s[4:5]
	scratch_load_dwordx4 v[2:5], v150, off
	v_cmp_lt_u32_e64 s[2:3], 51, v0
	s_waitcnt vmcnt(0)
	ds_write_b128 v9, v[2:5]
	s_waitcnt lgkmcnt(0)
	; wave barrier
	s_waitcnt lgkmcnt(0)
	s_and_saveexec_b64 s[4:5], s[2:3]
	s_cbranch_execz .LBB127_159
; %bb.146:
	ds_read_b128 v[2:5], v9
	s_andn2_b64 vcc, exec, s[6:7]
	s_cbranch_vccnz .LBB127_148
; %bb.147:
	scratch_load_dwordx4 v[202:205], v8, off
	s_waitcnt vmcnt(0) lgkmcnt(0)
	v_mul_f64 v[10:11], v[2:3], v[204:205]
	v_mul_f64 v[6:7], v[4:5], v[204:205]
	v_fmac_f64_e32 v[10:11], v[4:5], v[202:203]
	v_fma_f64 v[2:3], v[2:3], v[202:203], -v[6:7]
	v_mov_b64_e32 v[4:5], v[10:11]
.LBB127_148:
	s_and_saveexec_b64 s[8:9], s[0:1]
	s_cbranch_execz .LBB127_158
; %bb.149:
	v_subrev_u32_e32 v7, 53, v0
	v_subrev_u32_e32 v6, 52, v0
	v_cmp_lt_u32_e32 vcc, 6, v7
	v_mov_b32_e32 v202, 52
	s_and_saveexec_b64 s[0:1], vcc
	s_cbranch_execz .LBB127_153
; %bb.150:
	v_and_b32_e32 v7, -8, v6
	s_mov_b32 s12, 0
	s_mov_b64 s[10:11], 0
	v_mov_b32_e32 v201, 0
	s_mov_b32 s13, 0
.LBB127_151:                            ; =>This Inner Loop Header: Depth=1
	v_readfirstlane_b32 s14, v201
	s_add_i32 s14, s14, s12
	s_add_i32 s15, s14, 0x340
	v_mov_b32_e32 v28, s12
	ds_read_b128 v[202:205], v28 offset:1856
	ds_read_b128 v[206:209], v28 offset:1872
	ds_read_b128 v[210:213], v28 offset:1888
	ds_read_b128 v[214:217], v28 offset:1904
	scratch_load_dwordx4 v[218:221], off, s15
	s_add_i32 s15, s14, 0x350
	s_addk_i32 s12, 0x80
	s_waitcnt vmcnt(0) lgkmcnt(3)
	v_mul_f64 v[10:11], v[204:205], v[220:221]
	v_mul_f64 v[24:25], v[202:203], v[220:221]
	v_fma_f64 v[10:11], v[202:203], v[218:219], -v[10:11]
	v_fmac_f64_e32 v[24:25], v[204:205], v[218:219]
	v_add_f64 v[10:11], v[2:3], v[10:11]
	v_add_f64 v[24:25], v[4:5], v[24:25]
	scratch_load_dwordx4 v[2:5], off, s15
	s_add_i32 s15, s14, 0x360
	s_waitcnt vmcnt(0) lgkmcnt(2)
	v_mul_f64 v[26:27], v[208:209], v[4:5]
	v_mul_f64 v[4:5], v[206:207], v[4:5]
	v_fmac_f64_e32 v[4:5], v[208:209], v[2:3]
	v_fma_f64 v[26:27], v[206:207], v[2:3], -v[26:27]
	v_add_f64 v[24:25], v[24:25], v[4:5]
	scratch_load_dwordx4 v[2:5], off, s15
	v_add_f64 v[10:11], v[10:11], v[26:27]
	s_add_i32 s15, s14, 0x370
	s_waitcnt vmcnt(0) lgkmcnt(1)
	v_mul_f64 v[26:27], v[212:213], v[4:5]
	v_mul_f64 v[4:5], v[210:211], v[4:5]
	v_fmac_f64_e32 v[4:5], v[212:213], v[2:3]
	v_fma_f64 v[26:27], v[210:211], v[2:3], -v[26:27]
	v_add_f64 v[24:25], v[24:25], v[4:5]
	scratch_load_dwordx4 v[2:5], off, s15
	s_add_i32 s15, s14, 0x380
	scratch_load_dwordx4 v[202:205], off, s15
	v_add_f64 v[10:11], v[10:11], v[26:27]
	s_add_i32 s15, s14, 0x390
	s_waitcnt vmcnt(1) lgkmcnt(0)
	v_mul_f64 v[26:27], v[216:217], v[4:5]
	v_mul_f64 v[4:5], v[214:215], v[4:5]
	v_fmac_f64_e32 v[4:5], v[216:217], v[2:3]
	v_fma_f64 v[26:27], v[214:215], v[2:3], -v[26:27]
	v_add_f64 v[24:25], v[24:25], v[4:5]
	ds_read_b128 v[2:5], v28 offset:1920
	v_add_f64 v[10:11], v[10:11], v[26:27]
	s_waitcnt vmcnt(0) lgkmcnt(0)
	v_mul_f64 v[26:27], v[4:5], v[204:205]
	v_fma_f64 v[26:27], v[2:3], v[202:203], -v[26:27]
	v_mul_f64 v[2:3], v[2:3], v[204:205]
	v_fmac_f64_e32 v[2:3], v[4:5], v[202:203]
	scratch_load_dwordx4 v[202:205], off, s15
	v_add_f64 v[24:25], v[24:25], v[2:3]
	ds_read_b128 v[2:5], v28 offset:1936
	v_add_f64 v[10:11], v[10:11], v[26:27]
	s_add_i32 s15, s14, 0x3a0
	s_addk_i32 s14, 0x3b0
	s_waitcnt vmcnt(0) lgkmcnt(0)
	v_mul_f64 v[26:27], v[4:5], v[204:205]
	v_fma_f64 v[26:27], v[2:3], v[202:203], -v[26:27]
	v_mul_f64 v[2:3], v[2:3], v[204:205]
	v_fmac_f64_e32 v[2:3], v[4:5], v[202:203]
	scratch_load_dwordx4 v[202:205], off, s15
	v_add_f64 v[24:25], v[24:25], v[2:3]
	ds_read_b128 v[2:5], v28 offset:1952
	v_add_f64 v[10:11], v[10:11], v[26:27]
	s_waitcnt vmcnt(0) lgkmcnt(0)
	v_mul_f64 v[26:27], v[4:5], v[204:205]
	v_fma_f64 v[26:27], v[2:3], v[202:203], -v[26:27]
	v_mul_f64 v[2:3], v[2:3], v[204:205]
	v_fmac_f64_e32 v[2:3], v[4:5], v[202:203]
	scratch_load_dwordx4 v[202:205], off, s14
	v_add_f64 v[24:25], v[24:25], v[2:3]
	ds_read_b128 v[2:5], v28 offset:1968
	v_add_f64 v[10:11], v[10:11], v[26:27]
	s_add_i32 s14, s13, 8
	v_cmp_eq_u32_e32 vcc, s14, v7
	s_add_i32 s13, s13, 60
	s_or_b64 s[10:11], vcc, s[10:11]
	s_waitcnt vmcnt(0) lgkmcnt(0)
	v_mul_f64 v[26:27], v[4:5], v[204:205]
	v_mul_f64 v[28:29], v[2:3], v[204:205]
	v_fma_f64 v[26:27], v[2:3], v[202:203], -v[26:27]
	v_fmac_f64_e32 v[28:29], v[4:5], v[202:203]
	v_add_f64 v[2:3], v[10:11], v[26:27]
	v_add_f64 v[4:5], v[24:25], v[28:29]
	v_mov_b32_e32 v202, s13
	s_mov_b32 s13, s14
	s_andn2_b64 exec, exec, s[10:11]
	s_cbranch_execnz .LBB127_151
; %bb.152:
	s_or_b64 exec, exec, s[10:11]
.LBB127_153:
	s_or_b64 exec, exec, s[0:1]
	v_and_b32_e32 v6, 7, v6
	v_cmp_ne_u32_e32 vcc, 0, v6
	s_and_saveexec_b64 s[0:1], vcc
	s_cbranch_execz .LBB127_157
; %bb.154:
	v_lshlrev_b32_e32 v10, 4, v202
	v_add_u32_e32 v7, 0x400, v10
	v_add_u32_e32 v201, 0, v10
	s_mov_b64 s[10:11], 0
.LBB127_155:                            ; =>This Inner Loop Header: Depth=1
	scratch_load_dwordx4 v[202:205], v201, off
	ds_read_b128 v[206:209], v7
	v_add_u32_e32 v6, -1, v6
	v_cmp_eq_u32_e32 vcc, 0, v6
	v_add_u32_e32 v7, 16, v7
	v_add_u32_e32 v201, 16, v201
	s_or_b64 s[10:11], vcc, s[10:11]
	s_waitcnt vmcnt(0) lgkmcnt(0)
	v_mul_f64 v[10:11], v[208:209], v[204:205]
	v_mul_f64 v[24:25], v[206:207], v[204:205]
	v_fma_f64 v[10:11], v[206:207], v[202:203], -v[10:11]
	v_fmac_f64_e32 v[24:25], v[208:209], v[202:203]
	v_add_f64 v[2:3], v[2:3], v[10:11]
	v_add_f64 v[4:5], v[4:5], v[24:25]
	s_andn2_b64 exec, exec, s[10:11]
	s_cbranch_execnz .LBB127_155
; %bb.156:
	s_or_b64 exec, exec, s[10:11]
.LBB127_157:
	s_or_b64 exec, exec, s[0:1]
.LBB127_158:
	s_or_b64 exec, exec, s[8:9]
	v_mov_b32_e32 v6, 0
	ds_read_b128 v[202:205], v6 offset:816
	s_waitcnt lgkmcnt(0)
	v_mul_f64 v[6:7], v[4:5], v[204:205]
	v_mul_f64 v[206:207], v[2:3], v[204:205]
	v_fma_f64 v[204:205], v[2:3], v[202:203], -v[6:7]
	v_fmac_f64_e32 v[206:207], v[4:5], v[202:203]
	scratch_store_dwordx4 off, v[204:207], off offset:816
.LBB127_159:
	s_or_b64 exec, exec, s[4:5]
	scratch_load_dwordx4 v[2:5], v151, off
	v_cmp_lt_u32_e64 s[0:1], 50, v0
	s_waitcnt vmcnt(0)
	ds_write_b128 v9, v[2:5]
	s_waitcnt lgkmcnt(0)
	; wave barrier
	s_waitcnt lgkmcnt(0)
	s_and_saveexec_b64 s[4:5], s[0:1]
	s_cbranch_execz .LBB127_173
; %bb.160:
	ds_read_b128 v[2:5], v9
	s_andn2_b64 vcc, exec, s[6:7]
	s_cbranch_vccnz .LBB127_162
; %bb.161:
	scratch_load_dwordx4 v[202:205], v8, off
	s_waitcnt vmcnt(0) lgkmcnt(0)
	v_mul_f64 v[10:11], v[2:3], v[204:205]
	v_mul_f64 v[6:7], v[4:5], v[204:205]
	v_fmac_f64_e32 v[10:11], v[4:5], v[202:203]
	v_fma_f64 v[2:3], v[2:3], v[202:203], -v[6:7]
	v_mov_b64_e32 v[4:5], v[10:11]
.LBB127_162:
	s_and_saveexec_b64 s[8:9], s[2:3]
	s_cbranch_execz .LBB127_172
; %bb.163:
	v_subrev_u32_e32 v7, 52, v0
	v_subrev_u32_e32 v6, 51, v0
	v_cmp_lt_u32_e32 vcc, 6, v7
	v_mov_b32_e32 v202, 51
	s_and_saveexec_b64 s[2:3], vcc
	s_cbranch_execz .LBB127_167
; %bb.164:
	v_and_b32_e32 v7, -8, v6
	s_mov_b32 s12, 0
	s_mov_b64 s[10:11], 0
	v_mov_b32_e32 v201, 0
	s_mov_b32 s13, 0
.LBB127_165:                            ; =>This Inner Loop Header: Depth=1
	v_readfirstlane_b32 s14, v201
	s_add_i32 s14, s14, s12
	s_add_i32 s15, s14, 0x330
	v_mov_b32_e32 v28, s12
	ds_read_b128 v[202:205], v28 offset:1840
	ds_read_b128 v[206:209], v28 offset:1856
	;; [unrolled: 1-line block ×4, first 2 shown]
	scratch_load_dwordx4 v[218:221], off, s15
	s_add_i32 s15, s14, 0x340
	s_addk_i32 s12, 0x80
	s_waitcnt vmcnt(0) lgkmcnt(3)
	v_mul_f64 v[10:11], v[204:205], v[220:221]
	v_mul_f64 v[24:25], v[202:203], v[220:221]
	v_fma_f64 v[10:11], v[202:203], v[218:219], -v[10:11]
	v_fmac_f64_e32 v[24:25], v[204:205], v[218:219]
	v_add_f64 v[10:11], v[2:3], v[10:11]
	v_add_f64 v[24:25], v[4:5], v[24:25]
	scratch_load_dwordx4 v[2:5], off, s15
	s_add_i32 s15, s14, 0x350
	s_waitcnt vmcnt(0) lgkmcnt(2)
	v_mul_f64 v[26:27], v[208:209], v[4:5]
	v_mul_f64 v[4:5], v[206:207], v[4:5]
	v_fmac_f64_e32 v[4:5], v[208:209], v[2:3]
	v_fma_f64 v[26:27], v[206:207], v[2:3], -v[26:27]
	v_add_f64 v[24:25], v[24:25], v[4:5]
	scratch_load_dwordx4 v[2:5], off, s15
	v_add_f64 v[10:11], v[10:11], v[26:27]
	s_add_i32 s15, s14, 0x360
	s_waitcnt vmcnt(0) lgkmcnt(1)
	v_mul_f64 v[26:27], v[212:213], v[4:5]
	v_mul_f64 v[4:5], v[210:211], v[4:5]
	v_fmac_f64_e32 v[4:5], v[212:213], v[2:3]
	v_fma_f64 v[26:27], v[210:211], v[2:3], -v[26:27]
	v_add_f64 v[24:25], v[24:25], v[4:5]
	scratch_load_dwordx4 v[2:5], off, s15
	s_add_i32 s15, s14, 0x370
	scratch_load_dwordx4 v[202:205], off, s15
	v_add_f64 v[10:11], v[10:11], v[26:27]
	s_add_i32 s15, s14, 0x380
	s_waitcnt vmcnt(1) lgkmcnt(0)
	v_mul_f64 v[26:27], v[216:217], v[4:5]
	v_mul_f64 v[4:5], v[214:215], v[4:5]
	v_fmac_f64_e32 v[4:5], v[216:217], v[2:3]
	v_fma_f64 v[26:27], v[214:215], v[2:3], -v[26:27]
	v_add_f64 v[24:25], v[24:25], v[4:5]
	ds_read_b128 v[2:5], v28 offset:1904
	v_add_f64 v[10:11], v[10:11], v[26:27]
	s_waitcnt vmcnt(0) lgkmcnt(0)
	v_mul_f64 v[26:27], v[4:5], v[204:205]
	v_fma_f64 v[26:27], v[2:3], v[202:203], -v[26:27]
	v_mul_f64 v[2:3], v[2:3], v[204:205]
	v_fmac_f64_e32 v[2:3], v[4:5], v[202:203]
	scratch_load_dwordx4 v[202:205], off, s15
	v_add_f64 v[24:25], v[24:25], v[2:3]
	ds_read_b128 v[2:5], v28 offset:1920
	v_add_f64 v[10:11], v[10:11], v[26:27]
	s_add_i32 s15, s14, 0x390
	s_addk_i32 s14, 0x3a0
	s_waitcnt vmcnt(0) lgkmcnt(0)
	v_mul_f64 v[26:27], v[4:5], v[204:205]
	v_fma_f64 v[26:27], v[2:3], v[202:203], -v[26:27]
	v_mul_f64 v[2:3], v[2:3], v[204:205]
	v_fmac_f64_e32 v[2:3], v[4:5], v[202:203]
	scratch_load_dwordx4 v[202:205], off, s15
	v_add_f64 v[24:25], v[24:25], v[2:3]
	ds_read_b128 v[2:5], v28 offset:1936
	v_add_f64 v[10:11], v[10:11], v[26:27]
	s_waitcnt vmcnt(0) lgkmcnt(0)
	v_mul_f64 v[26:27], v[4:5], v[204:205]
	v_fma_f64 v[26:27], v[2:3], v[202:203], -v[26:27]
	v_mul_f64 v[2:3], v[2:3], v[204:205]
	v_fmac_f64_e32 v[2:3], v[4:5], v[202:203]
	scratch_load_dwordx4 v[202:205], off, s14
	v_add_f64 v[24:25], v[24:25], v[2:3]
	ds_read_b128 v[2:5], v28 offset:1952
	v_add_f64 v[10:11], v[10:11], v[26:27]
	s_add_i32 s14, s13, 8
	v_cmp_eq_u32_e32 vcc, s14, v7
	s_add_i32 s13, s13, 59
	s_or_b64 s[10:11], vcc, s[10:11]
	s_waitcnt vmcnt(0) lgkmcnt(0)
	v_mul_f64 v[26:27], v[4:5], v[204:205]
	v_mul_f64 v[28:29], v[2:3], v[204:205]
	v_fma_f64 v[26:27], v[2:3], v[202:203], -v[26:27]
	v_fmac_f64_e32 v[28:29], v[4:5], v[202:203]
	v_add_f64 v[2:3], v[10:11], v[26:27]
	v_add_f64 v[4:5], v[24:25], v[28:29]
	v_mov_b32_e32 v202, s13
	s_mov_b32 s13, s14
	s_andn2_b64 exec, exec, s[10:11]
	s_cbranch_execnz .LBB127_165
; %bb.166:
	s_or_b64 exec, exec, s[10:11]
.LBB127_167:
	s_or_b64 exec, exec, s[2:3]
	v_and_b32_e32 v6, 7, v6
	v_cmp_ne_u32_e32 vcc, 0, v6
	s_and_saveexec_b64 s[2:3], vcc
	s_cbranch_execz .LBB127_171
; %bb.168:
	v_lshlrev_b32_e32 v10, 4, v202
	v_add_u32_e32 v7, 0x400, v10
	v_add_u32_e32 v201, 0, v10
	s_mov_b64 s[10:11], 0
.LBB127_169:                            ; =>This Inner Loop Header: Depth=1
	scratch_load_dwordx4 v[202:205], v201, off
	ds_read_b128 v[206:209], v7
	v_add_u32_e32 v6, -1, v6
	v_cmp_eq_u32_e32 vcc, 0, v6
	v_add_u32_e32 v7, 16, v7
	v_add_u32_e32 v201, 16, v201
	s_or_b64 s[10:11], vcc, s[10:11]
	s_waitcnt vmcnt(0) lgkmcnt(0)
	v_mul_f64 v[10:11], v[208:209], v[204:205]
	v_mul_f64 v[24:25], v[206:207], v[204:205]
	v_fma_f64 v[10:11], v[206:207], v[202:203], -v[10:11]
	v_fmac_f64_e32 v[24:25], v[208:209], v[202:203]
	v_add_f64 v[2:3], v[2:3], v[10:11]
	v_add_f64 v[4:5], v[4:5], v[24:25]
	s_andn2_b64 exec, exec, s[10:11]
	s_cbranch_execnz .LBB127_169
; %bb.170:
	s_or_b64 exec, exec, s[10:11]
.LBB127_171:
	s_or_b64 exec, exec, s[2:3]
.LBB127_172:
	s_or_b64 exec, exec, s[8:9]
	v_mov_b32_e32 v6, 0
	ds_read_b128 v[202:205], v6 offset:800
	s_waitcnt lgkmcnt(0)
	v_mul_f64 v[6:7], v[4:5], v[204:205]
	v_mul_f64 v[206:207], v[2:3], v[204:205]
	v_fma_f64 v[204:205], v[2:3], v[202:203], -v[6:7]
	v_fmac_f64_e32 v[206:207], v[4:5], v[202:203]
	scratch_store_dwordx4 off, v[204:207], off offset:800
.LBB127_173:
	s_or_b64 exec, exec, s[4:5]
	scratch_load_dwordx4 v[2:5], v152, off
	v_cmp_lt_u32_e64 s[2:3], 49, v0
	s_waitcnt vmcnt(0)
	ds_write_b128 v9, v[2:5]
	s_waitcnt lgkmcnt(0)
	; wave barrier
	s_waitcnt lgkmcnt(0)
	s_and_saveexec_b64 s[4:5], s[2:3]
	s_cbranch_execz .LBB127_187
; %bb.174:
	ds_read_b128 v[2:5], v9
	s_andn2_b64 vcc, exec, s[6:7]
	s_cbranch_vccnz .LBB127_176
; %bb.175:
	scratch_load_dwordx4 v[202:205], v8, off
	s_waitcnt vmcnt(0) lgkmcnt(0)
	v_mul_f64 v[10:11], v[2:3], v[204:205]
	v_mul_f64 v[6:7], v[4:5], v[204:205]
	v_fmac_f64_e32 v[10:11], v[4:5], v[202:203]
	v_fma_f64 v[2:3], v[2:3], v[202:203], -v[6:7]
	v_mov_b64_e32 v[4:5], v[10:11]
.LBB127_176:
	s_and_saveexec_b64 s[8:9], s[0:1]
	s_cbranch_execz .LBB127_186
; %bb.177:
	v_subrev_u32_e32 v7, 51, v0
	v_subrev_u32_e32 v6, 50, v0
	v_cmp_lt_u32_e32 vcc, 6, v7
	v_mov_b32_e32 v202, 50
	s_and_saveexec_b64 s[0:1], vcc
	s_cbranch_execz .LBB127_181
; %bb.178:
	v_and_b32_e32 v7, -8, v6
	s_mov_b32 s12, 0
	s_mov_b64 s[10:11], 0
	v_mov_b32_e32 v201, 0
	s_mov_b32 s13, 0
.LBB127_179:                            ; =>This Inner Loop Header: Depth=1
	v_readfirstlane_b32 s14, v201
	s_add_i32 s14, s14, s12
	s_add_i32 s15, s14, 0x320
	v_mov_b32_e32 v28, s12
	ds_read_b128 v[202:205], v28 offset:1824
	ds_read_b128 v[206:209], v28 offset:1840
	ds_read_b128 v[210:213], v28 offset:1856
	ds_read_b128 v[214:217], v28 offset:1872
	scratch_load_dwordx4 v[218:221], off, s15
	s_add_i32 s15, s14, 0x330
	s_addk_i32 s12, 0x80
	s_waitcnt vmcnt(0) lgkmcnt(3)
	v_mul_f64 v[10:11], v[204:205], v[220:221]
	v_mul_f64 v[24:25], v[202:203], v[220:221]
	v_fma_f64 v[10:11], v[202:203], v[218:219], -v[10:11]
	v_fmac_f64_e32 v[24:25], v[204:205], v[218:219]
	v_add_f64 v[10:11], v[2:3], v[10:11]
	v_add_f64 v[24:25], v[4:5], v[24:25]
	scratch_load_dwordx4 v[2:5], off, s15
	s_add_i32 s15, s14, 0x340
	s_waitcnt vmcnt(0) lgkmcnt(2)
	v_mul_f64 v[26:27], v[208:209], v[4:5]
	v_mul_f64 v[4:5], v[206:207], v[4:5]
	v_fmac_f64_e32 v[4:5], v[208:209], v[2:3]
	v_fma_f64 v[26:27], v[206:207], v[2:3], -v[26:27]
	v_add_f64 v[24:25], v[24:25], v[4:5]
	scratch_load_dwordx4 v[2:5], off, s15
	v_add_f64 v[10:11], v[10:11], v[26:27]
	s_add_i32 s15, s14, 0x350
	s_waitcnt vmcnt(0) lgkmcnt(1)
	v_mul_f64 v[26:27], v[212:213], v[4:5]
	v_mul_f64 v[4:5], v[210:211], v[4:5]
	v_fmac_f64_e32 v[4:5], v[212:213], v[2:3]
	v_fma_f64 v[26:27], v[210:211], v[2:3], -v[26:27]
	v_add_f64 v[24:25], v[24:25], v[4:5]
	scratch_load_dwordx4 v[2:5], off, s15
	s_add_i32 s15, s14, 0x360
	scratch_load_dwordx4 v[202:205], off, s15
	v_add_f64 v[10:11], v[10:11], v[26:27]
	s_add_i32 s15, s14, 0x370
	s_waitcnt vmcnt(1) lgkmcnt(0)
	v_mul_f64 v[26:27], v[216:217], v[4:5]
	v_mul_f64 v[4:5], v[214:215], v[4:5]
	v_fmac_f64_e32 v[4:5], v[216:217], v[2:3]
	v_fma_f64 v[26:27], v[214:215], v[2:3], -v[26:27]
	v_add_f64 v[24:25], v[24:25], v[4:5]
	ds_read_b128 v[2:5], v28 offset:1888
	v_add_f64 v[10:11], v[10:11], v[26:27]
	s_waitcnt vmcnt(0) lgkmcnt(0)
	v_mul_f64 v[26:27], v[4:5], v[204:205]
	v_fma_f64 v[26:27], v[2:3], v[202:203], -v[26:27]
	v_mul_f64 v[2:3], v[2:3], v[204:205]
	v_fmac_f64_e32 v[2:3], v[4:5], v[202:203]
	scratch_load_dwordx4 v[202:205], off, s15
	v_add_f64 v[24:25], v[24:25], v[2:3]
	ds_read_b128 v[2:5], v28 offset:1904
	v_add_f64 v[10:11], v[10:11], v[26:27]
	s_add_i32 s15, s14, 0x380
	s_addk_i32 s14, 0x390
	s_waitcnt vmcnt(0) lgkmcnt(0)
	v_mul_f64 v[26:27], v[4:5], v[204:205]
	v_fma_f64 v[26:27], v[2:3], v[202:203], -v[26:27]
	v_mul_f64 v[2:3], v[2:3], v[204:205]
	v_fmac_f64_e32 v[2:3], v[4:5], v[202:203]
	scratch_load_dwordx4 v[202:205], off, s15
	v_add_f64 v[24:25], v[24:25], v[2:3]
	ds_read_b128 v[2:5], v28 offset:1920
	v_add_f64 v[10:11], v[10:11], v[26:27]
	s_waitcnt vmcnt(0) lgkmcnt(0)
	v_mul_f64 v[26:27], v[4:5], v[204:205]
	v_fma_f64 v[26:27], v[2:3], v[202:203], -v[26:27]
	v_mul_f64 v[2:3], v[2:3], v[204:205]
	v_fmac_f64_e32 v[2:3], v[4:5], v[202:203]
	scratch_load_dwordx4 v[202:205], off, s14
	v_add_f64 v[24:25], v[24:25], v[2:3]
	ds_read_b128 v[2:5], v28 offset:1936
	v_add_f64 v[10:11], v[10:11], v[26:27]
	s_add_i32 s14, s13, 8
	v_cmp_eq_u32_e32 vcc, s14, v7
	s_add_i32 s13, s13, 58
	s_or_b64 s[10:11], vcc, s[10:11]
	s_waitcnt vmcnt(0) lgkmcnt(0)
	v_mul_f64 v[26:27], v[4:5], v[204:205]
	v_mul_f64 v[28:29], v[2:3], v[204:205]
	v_fma_f64 v[26:27], v[2:3], v[202:203], -v[26:27]
	v_fmac_f64_e32 v[28:29], v[4:5], v[202:203]
	v_add_f64 v[2:3], v[10:11], v[26:27]
	v_add_f64 v[4:5], v[24:25], v[28:29]
	v_mov_b32_e32 v202, s13
	s_mov_b32 s13, s14
	s_andn2_b64 exec, exec, s[10:11]
	s_cbranch_execnz .LBB127_179
; %bb.180:
	s_or_b64 exec, exec, s[10:11]
.LBB127_181:
	s_or_b64 exec, exec, s[0:1]
	v_and_b32_e32 v6, 7, v6
	v_cmp_ne_u32_e32 vcc, 0, v6
	s_and_saveexec_b64 s[0:1], vcc
	s_cbranch_execz .LBB127_185
; %bb.182:
	v_lshlrev_b32_e32 v10, 4, v202
	v_add_u32_e32 v7, 0x400, v10
	v_add_u32_e32 v201, 0, v10
	s_mov_b64 s[10:11], 0
.LBB127_183:                            ; =>This Inner Loop Header: Depth=1
	scratch_load_dwordx4 v[202:205], v201, off
	ds_read_b128 v[206:209], v7
	v_add_u32_e32 v6, -1, v6
	v_cmp_eq_u32_e32 vcc, 0, v6
	v_add_u32_e32 v7, 16, v7
	v_add_u32_e32 v201, 16, v201
	s_or_b64 s[10:11], vcc, s[10:11]
	s_waitcnt vmcnt(0) lgkmcnt(0)
	v_mul_f64 v[10:11], v[208:209], v[204:205]
	v_mul_f64 v[24:25], v[206:207], v[204:205]
	v_fma_f64 v[10:11], v[206:207], v[202:203], -v[10:11]
	v_fmac_f64_e32 v[24:25], v[208:209], v[202:203]
	v_add_f64 v[2:3], v[2:3], v[10:11]
	v_add_f64 v[4:5], v[4:5], v[24:25]
	s_andn2_b64 exec, exec, s[10:11]
	s_cbranch_execnz .LBB127_183
; %bb.184:
	s_or_b64 exec, exec, s[10:11]
.LBB127_185:
	s_or_b64 exec, exec, s[0:1]
.LBB127_186:
	s_or_b64 exec, exec, s[8:9]
	v_mov_b32_e32 v6, 0
	ds_read_b128 v[202:205], v6 offset:784
	s_waitcnt lgkmcnt(0)
	v_mul_f64 v[6:7], v[4:5], v[204:205]
	v_mul_f64 v[206:207], v[2:3], v[204:205]
	v_fma_f64 v[204:205], v[2:3], v[202:203], -v[6:7]
	v_fmac_f64_e32 v[206:207], v[4:5], v[202:203]
	scratch_store_dwordx4 off, v[204:207], off offset:784
.LBB127_187:
	s_or_b64 exec, exec, s[4:5]
	scratch_load_dwordx4 v[2:5], v153, off
	v_cmp_lt_u32_e64 s[0:1], 48, v0
	s_waitcnt vmcnt(0)
	ds_write_b128 v9, v[2:5]
	s_waitcnt lgkmcnt(0)
	; wave barrier
	s_waitcnt lgkmcnt(0)
	s_and_saveexec_b64 s[4:5], s[0:1]
	s_cbranch_execz .LBB127_201
; %bb.188:
	ds_read_b128 v[2:5], v9
	s_andn2_b64 vcc, exec, s[6:7]
	s_cbranch_vccnz .LBB127_190
; %bb.189:
	scratch_load_dwordx4 v[202:205], v8, off
	s_waitcnt vmcnt(0) lgkmcnt(0)
	v_mul_f64 v[10:11], v[2:3], v[204:205]
	v_mul_f64 v[6:7], v[4:5], v[204:205]
	v_fmac_f64_e32 v[10:11], v[4:5], v[202:203]
	v_fma_f64 v[2:3], v[2:3], v[202:203], -v[6:7]
	v_mov_b64_e32 v[4:5], v[10:11]
.LBB127_190:
	s_and_saveexec_b64 s[8:9], s[2:3]
	s_cbranch_execz .LBB127_200
; %bb.191:
	v_subrev_u32_e32 v7, 50, v0
	v_subrev_u32_e32 v6, 49, v0
	v_cmp_lt_u32_e32 vcc, 6, v7
	v_mov_b32_e32 v202, 49
	s_and_saveexec_b64 s[2:3], vcc
	s_cbranch_execz .LBB127_195
; %bb.192:
	v_and_b32_e32 v7, -8, v6
	s_mov_b32 s12, 0
	s_mov_b64 s[10:11], 0
	v_mov_b32_e32 v201, 0
	s_mov_b32 s13, 0
.LBB127_193:                            ; =>This Inner Loop Header: Depth=1
	v_readfirstlane_b32 s14, v201
	s_add_i32 s14, s14, s12
	s_add_i32 s15, s14, 0x310
	v_mov_b32_e32 v28, s12
	ds_read_b128 v[202:205], v28 offset:1808
	ds_read_b128 v[206:209], v28 offset:1824
	;; [unrolled: 1-line block ×4, first 2 shown]
	scratch_load_dwordx4 v[218:221], off, s15
	s_add_i32 s15, s14, 0x320
	s_addk_i32 s12, 0x80
	s_waitcnt vmcnt(0) lgkmcnt(3)
	v_mul_f64 v[10:11], v[204:205], v[220:221]
	v_mul_f64 v[24:25], v[202:203], v[220:221]
	v_fma_f64 v[10:11], v[202:203], v[218:219], -v[10:11]
	v_fmac_f64_e32 v[24:25], v[204:205], v[218:219]
	v_add_f64 v[10:11], v[2:3], v[10:11]
	v_add_f64 v[24:25], v[4:5], v[24:25]
	scratch_load_dwordx4 v[2:5], off, s15
	s_add_i32 s15, s14, 0x330
	s_waitcnt vmcnt(0) lgkmcnt(2)
	v_mul_f64 v[26:27], v[208:209], v[4:5]
	v_mul_f64 v[4:5], v[206:207], v[4:5]
	v_fmac_f64_e32 v[4:5], v[208:209], v[2:3]
	v_fma_f64 v[26:27], v[206:207], v[2:3], -v[26:27]
	v_add_f64 v[24:25], v[24:25], v[4:5]
	scratch_load_dwordx4 v[2:5], off, s15
	v_add_f64 v[10:11], v[10:11], v[26:27]
	s_add_i32 s15, s14, 0x340
	s_waitcnt vmcnt(0) lgkmcnt(1)
	v_mul_f64 v[26:27], v[212:213], v[4:5]
	v_mul_f64 v[4:5], v[210:211], v[4:5]
	v_fmac_f64_e32 v[4:5], v[212:213], v[2:3]
	v_fma_f64 v[26:27], v[210:211], v[2:3], -v[26:27]
	v_add_f64 v[24:25], v[24:25], v[4:5]
	scratch_load_dwordx4 v[2:5], off, s15
	s_add_i32 s15, s14, 0x350
	scratch_load_dwordx4 v[202:205], off, s15
	v_add_f64 v[10:11], v[10:11], v[26:27]
	s_add_i32 s15, s14, 0x360
	s_waitcnt vmcnt(1) lgkmcnt(0)
	v_mul_f64 v[26:27], v[216:217], v[4:5]
	v_mul_f64 v[4:5], v[214:215], v[4:5]
	v_fmac_f64_e32 v[4:5], v[216:217], v[2:3]
	v_fma_f64 v[26:27], v[214:215], v[2:3], -v[26:27]
	v_add_f64 v[24:25], v[24:25], v[4:5]
	ds_read_b128 v[2:5], v28 offset:1872
	v_add_f64 v[10:11], v[10:11], v[26:27]
	s_waitcnt vmcnt(0) lgkmcnt(0)
	v_mul_f64 v[26:27], v[4:5], v[204:205]
	v_fma_f64 v[26:27], v[2:3], v[202:203], -v[26:27]
	v_mul_f64 v[2:3], v[2:3], v[204:205]
	v_fmac_f64_e32 v[2:3], v[4:5], v[202:203]
	scratch_load_dwordx4 v[202:205], off, s15
	v_add_f64 v[24:25], v[24:25], v[2:3]
	ds_read_b128 v[2:5], v28 offset:1888
	v_add_f64 v[10:11], v[10:11], v[26:27]
	s_add_i32 s15, s14, 0x370
	s_addk_i32 s14, 0x380
	s_waitcnt vmcnt(0) lgkmcnt(0)
	v_mul_f64 v[26:27], v[4:5], v[204:205]
	v_fma_f64 v[26:27], v[2:3], v[202:203], -v[26:27]
	v_mul_f64 v[2:3], v[2:3], v[204:205]
	v_fmac_f64_e32 v[2:3], v[4:5], v[202:203]
	scratch_load_dwordx4 v[202:205], off, s15
	v_add_f64 v[24:25], v[24:25], v[2:3]
	ds_read_b128 v[2:5], v28 offset:1904
	v_add_f64 v[10:11], v[10:11], v[26:27]
	s_waitcnt vmcnt(0) lgkmcnt(0)
	v_mul_f64 v[26:27], v[4:5], v[204:205]
	v_fma_f64 v[26:27], v[2:3], v[202:203], -v[26:27]
	v_mul_f64 v[2:3], v[2:3], v[204:205]
	v_fmac_f64_e32 v[2:3], v[4:5], v[202:203]
	scratch_load_dwordx4 v[202:205], off, s14
	v_add_f64 v[24:25], v[24:25], v[2:3]
	ds_read_b128 v[2:5], v28 offset:1920
	v_add_f64 v[10:11], v[10:11], v[26:27]
	s_add_i32 s14, s13, 8
	v_cmp_eq_u32_e32 vcc, s14, v7
	s_add_i32 s13, s13, 57
	s_or_b64 s[10:11], vcc, s[10:11]
	s_waitcnt vmcnt(0) lgkmcnt(0)
	v_mul_f64 v[26:27], v[4:5], v[204:205]
	v_mul_f64 v[28:29], v[2:3], v[204:205]
	v_fma_f64 v[26:27], v[2:3], v[202:203], -v[26:27]
	v_fmac_f64_e32 v[28:29], v[4:5], v[202:203]
	v_add_f64 v[2:3], v[10:11], v[26:27]
	v_add_f64 v[4:5], v[24:25], v[28:29]
	v_mov_b32_e32 v202, s13
	s_mov_b32 s13, s14
	s_andn2_b64 exec, exec, s[10:11]
	s_cbranch_execnz .LBB127_193
; %bb.194:
	s_or_b64 exec, exec, s[10:11]
.LBB127_195:
	s_or_b64 exec, exec, s[2:3]
	v_and_b32_e32 v6, 7, v6
	v_cmp_ne_u32_e32 vcc, 0, v6
	s_and_saveexec_b64 s[2:3], vcc
	s_cbranch_execz .LBB127_199
; %bb.196:
	v_lshlrev_b32_e32 v10, 4, v202
	v_add_u32_e32 v7, 0x400, v10
	v_add_u32_e32 v201, 0, v10
	s_mov_b64 s[10:11], 0
.LBB127_197:                            ; =>This Inner Loop Header: Depth=1
	scratch_load_dwordx4 v[202:205], v201, off
	ds_read_b128 v[206:209], v7
	v_add_u32_e32 v6, -1, v6
	v_cmp_eq_u32_e32 vcc, 0, v6
	v_add_u32_e32 v7, 16, v7
	v_add_u32_e32 v201, 16, v201
	s_or_b64 s[10:11], vcc, s[10:11]
	s_waitcnt vmcnt(0) lgkmcnt(0)
	v_mul_f64 v[10:11], v[208:209], v[204:205]
	v_mul_f64 v[24:25], v[206:207], v[204:205]
	v_fma_f64 v[10:11], v[206:207], v[202:203], -v[10:11]
	v_fmac_f64_e32 v[24:25], v[208:209], v[202:203]
	v_add_f64 v[2:3], v[2:3], v[10:11]
	v_add_f64 v[4:5], v[4:5], v[24:25]
	s_andn2_b64 exec, exec, s[10:11]
	s_cbranch_execnz .LBB127_197
; %bb.198:
	s_or_b64 exec, exec, s[10:11]
.LBB127_199:
	s_or_b64 exec, exec, s[2:3]
.LBB127_200:
	s_or_b64 exec, exec, s[8:9]
	v_mov_b32_e32 v6, 0
	ds_read_b128 v[202:205], v6 offset:768
	s_waitcnt lgkmcnt(0)
	v_mul_f64 v[6:7], v[4:5], v[204:205]
	v_mul_f64 v[206:207], v[2:3], v[204:205]
	v_fma_f64 v[204:205], v[2:3], v[202:203], -v[6:7]
	v_fmac_f64_e32 v[206:207], v[4:5], v[202:203]
	scratch_store_dwordx4 off, v[204:207], off offset:768
.LBB127_201:
	s_or_b64 exec, exec, s[4:5]
	scratch_load_dwordx4 v[2:5], v154, off
	v_cmp_lt_u32_e64 s[2:3], 47, v0
	s_waitcnt vmcnt(0)
	ds_write_b128 v9, v[2:5]
	s_waitcnt lgkmcnt(0)
	; wave barrier
	s_waitcnt lgkmcnt(0)
	s_and_saveexec_b64 s[4:5], s[2:3]
	s_cbranch_execz .LBB127_215
; %bb.202:
	ds_read_b128 v[2:5], v9
	s_andn2_b64 vcc, exec, s[6:7]
	s_cbranch_vccnz .LBB127_204
; %bb.203:
	scratch_load_dwordx4 v[202:205], v8, off
	s_waitcnt vmcnt(0) lgkmcnt(0)
	v_mul_f64 v[10:11], v[2:3], v[204:205]
	v_mul_f64 v[6:7], v[4:5], v[204:205]
	v_fmac_f64_e32 v[10:11], v[4:5], v[202:203]
	v_fma_f64 v[2:3], v[2:3], v[202:203], -v[6:7]
	v_mov_b64_e32 v[4:5], v[10:11]
.LBB127_204:
	s_and_saveexec_b64 s[8:9], s[0:1]
	s_cbranch_execz .LBB127_214
; %bb.205:
	v_subrev_u32_e32 v6, 49, v0
	v_cmp_lt_u32_e32 vcc, 6, v6
	v_mov_b32_e32 v6, 48
	s_and_saveexec_b64 s[0:1], vcc
	s_cbranch_execz .LBB127_209
; %bb.206:
	v_and_b32_e32 v6, 56, v0
	s_mov_b32 s12, 48
	s_mov_b32 s13, 0
	s_mov_b64 s[10:11], 0
	v_mov_b32_e32 v7, 0
.LBB127_207:                            ; =>This Inner Loop Header: Depth=1
	s_nop 0
	v_readfirstlane_b32 s14, v7
	s_add_i32 s14, s14, s13
	s_add_i32 s15, s14, 0x300
	v_mov_b32_e32 v28, s13
	ds_read_b128 v[202:205], v28 offset:1792
	ds_read_b128 v[206:209], v28 offset:1808
	;; [unrolled: 1-line block ×4, first 2 shown]
	scratch_load_dwordx4 v[218:221], off, s15
	s_add_i32 s15, s14, 0x310
	s_add_i32 s12, s12, 8
	s_addk_i32 s13, 0x80
	v_cmp_eq_u32_e32 vcc, s12, v6
	s_waitcnt vmcnt(0) lgkmcnt(3)
	v_mul_f64 v[10:11], v[204:205], v[220:221]
	v_mul_f64 v[24:25], v[202:203], v[220:221]
	v_fma_f64 v[10:11], v[202:203], v[218:219], -v[10:11]
	v_fmac_f64_e32 v[24:25], v[204:205], v[218:219]
	v_add_f64 v[10:11], v[2:3], v[10:11]
	v_add_f64 v[24:25], v[4:5], v[24:25]
	scratch_load_dwordx4 v[2:5], off, s15
	s_add_i32 s15, s14, 0x320
	s_waitcnt vmcnt(0) lgkmcnt(2)
	v_mul_f64 v[26:27], v[208:209], v[4:5]
	v_mul_f64 v[4:5], v[206:207], v[4:5]
	v_fmac_f64_e32 v[4:5], v[208:209], v[2:3]
	v_fma_f64 v[26:27], v[206:207], v[2:3], -v[26:27]
	v_add_f64 v[24:25], v[24:25], v[4:5]
	scratch_load_dwordx4 v[2:5], off, s15
	v_add_f64 v[10:11], v[10:11], v[26:27]
	s_add_i32 s15, s14, 0x330
	s_waitcnt vmcnt(0) lgkmcnt(1)
	v_mul_f64 v[26:27], v[212:213], v[4:5]
	v_mul_f64 v[4:5], v[210:211], v[4:5]
	v_fmac_f64_e32 v[4:5], v[212:213], v[2:3]
	v_fma_f64 v[26:27], v[210:211], v[2:3], -v[26:27]
	v_add_f64 v[24:25], v[24:25], v[4:5]
	scratch_load_dwordx4 v[2:5], off, s15
	s_add_i32 s15, s14, 0x340
	scratch_load_dwordx4 v[202:205], off, s15
	v_add_f64 v[10:11], v[10:11], v[26:27]
	s_add_i32 s15, s14, 0x350
	s_waitcnt vmcnt(1) lgkmcnt(0)
	v_mul_f64 v[26:27], v[216:217], v[4:5]
	v_mul_f64 v[4:5], v[214:215], v[4:5]
	v_fmac_f64_e32 v[4:5], v[216:217], v[2:3]
	v_fma_f64 v[26:27], v[214:215], v[2:3], -v[26:27]
	v_add_f64 v[24:25], v[24:25], v[4:5]
	ds_read_b128 v[2:5], v28 offset:1856
	v_add_f64 v[10:11], v[10:11], v[26:27]
	s_waitcnt vmcnt(0) lgkmcnt(0)
	v_mul_f64 v[26:27], v[4:5], v[204:205]
	v_fma_f64 v[26:27], v[2:3], v[202:203], -v[26:27]
	v_mul_f64 v[2:3], v[2:3], v[204:205]
	v_fmac_f64_e32 v[2:3], v[4:5], v[202:203]
	scratch_load_dwordx4 v[202:205], off, s15
	v_add_f64 v[24:25], v[24:25], v[2:3]
	ds_read_b128 v[2:5], v28 offset:1872
	v_add_f64 v[10:11], v[10:11], v[26:27]
	s_add_i32 s15, s14, 0x360
	s_addk_i32 s14, 0x370
	s_or_b64 s[10:11], vcc, s[10:11]
	s_waitcnt vmcnt(0) lgkmcnt(0)
	v_mul_f64 v[26:27], v[4:5], v[204:205]
	v_fma_f64 v[26:27], v[2:3], v[202:203], -v[26:27]
	v_mul_f64 v[2:3], v[2:3], v[204:205]
	v_fmac_f64_e32 v[2:3], v[4:5], v[202:203]
	scratch_load_dwordx4 v[202:205], off, s15
	v_add_f64 v[24:25], v[24:25], v[2:3]
	ds_read_b128 v[2:5], v28 offset:1888
	v_add_f64 v[10:11], v[10:11], v[26:27]
	s_waitcnt vmcnt(0) lgkmcnt(0)
	v_mul_f64 v[26:27], v[4:5], v[204:205]
	v_fma_f64 v[26:27], v[2:3], v[202:203], -v[26:27]
	v_mul_f64 v[2:3], v[2:3], v[204:205]
	v_fmac_f64_e32 v[2:3], v[4:5], v[202:203]
	scratch_load_dwordx4 v[202:205], off, s14
	v_add_f64 v[24:25], v[24:25], v[2:3]
	ds_read_b128 v[2:5], v28 offset:1904
	v_add_f64 v[10:11], v[10:11], v[26:27]
	s_waitcnt vmcnt(0) lgkmcnt(0)
	v_mul_f64 v[26:27], v[4:5], v[204:205]
	v_mul_f64 v[28:29], v[2:3], v[204:205]
	v_fma_f64 v[26:27], v[2:3], v[202:203], -v[26:27]
	v_fmac_f64_e32 v[28:29], v[4:5], v[202:203]
	v_add_f64 v[2:3], v[10:11], v[26:27]
	v_add_f64 v[4:5], v[24:25], v[28:29]
	s_andn2_b64 exec, exec, s[10:11]
	s_cbranch_execnz .LBB127_207
; %bb.208:
	s_or_b64 exec, exec, s[10:11]
.LBB127_209:
	s_or_b64 exec, exec, s[0:1]
	v_and_b32_e32 v7, 7, v0
	v_cmp_ne_u32_e32 vcc, 0, v7
	s_and_saveexec_b64 s[0:1], vcc
	s_cbranch_execz .LBB127_213
; %bb.210:
	v_lshlrev_b32_e32 v10, 4, v6
	v_or_b32_e32 v6, 0x400, v10
	v_add_u32_e32 v201, 0, v10
	s_mov_b64 s[10:11], 0
.LBB127_211:                            ; =>This Inner Loop Header: Depth=1
	scratch_load_dwordx4 v[202:205], v201, off
	ds_read_b128 v[206:209], v6
	v_add_u32_e32 v7, -1, v7
	v_cmp_eq_u32_e32 vcc, 0, v7
	v_add_u32_e32 v6, 16, v6
	v_add_u32_e32 v201, 16, v201
	s_or_b64 s[10:11], vcc, s[10:11]
	s_waitcnt vmcnt(0) lgkmcnt(0)
	v_mul_f64 v[10:11], v[208:209], v[204:205]
	v_mul_f64 v[24:25], v[206:207], v[204:205]
	v_fma_f64 v[10:11], v[206:207], v[202:203], -v[10:11]
	v_fmac_f64_e32 v[24:25], v[208:209], v[202:203]
	v_add_f64 v[2:3], v[2:3], v[10:11]
	v_add_f64 v[4:5], v[4:5], v[24:25]
	s_andn2_b64 exec, exec, s[10:11]
	s_cbranch_execnz .LBB127_211
; %bb.212:
	s_or_b64 exec, exec, s[10:11]
.LBB127_213:
	s_or_b64 exec, exec, s[0:1]
.LBB127_214:
	s_or_b64 exec, exec, s[8:9]
	v_mov_b32_e32 v6, 0
	ds_read_b128 v[202:205], v6 offset:752
	s_waitcnt lgkmcnt(0)
	v_mul_f64 v[6:7], v[4:5], v[204:205]
	v_mul_f64 v[206:207], v[2:3], v[204:205]
	v_fma_f64 v[204:205], v[2:3], v[202:203], -v[6:7]
	v_fmac_f64_e32 v[206:207], v[4:5], v[202:203]
	scratch_store_dwordx4 off, v[204:207], off offset:752
.LBB127_215:
	s_or_b64 exec, exec, s[4:5]
	scratch_load_dwordx4 v[2:5], v155, off
	v_cmp_lt_u32_e64 s[0:1], 46, v0
	s_waitcnt vmcnt(0)
	ds_write_b128 v9, v[2:5]
	s_waitcnt lgkmcnt(0)
	; wave barrier
	s_waitcnt lgkmcnt(0)
	s_and_saveexec_b64 s[4:5], s[0:1]
	s_cbranch_execz .LBB127_229
; %bb.216:
	ds_read_b128 v[2:5], v9
	s_andn2_b64 vcc, exec, s[6:7]
	s_cbranch_vccnz .LBB127_218
; %bb.217:
	scratch_load_dwordx4 v[202:205], v8, off
	s_waitcnt vmcnt(0) lgkmcnt(0)
	v_mul_f64 v[10:11], v[2:3], v[204:205]
	v_mul_f64 v[6:7], v[4:5], v[204:205]
	v_fmac_f64_e32 v[10:11], v[4:5], v[202:203]
	v_fma_f64 v[2:3], v[2:3], v[202:203], -v[6:7]
	v_mov_b64_e32 v[4:5], v[10:11]
.LBB127_218:
	s_and_saveexec_b64 s[8:9], s[2:3]
	s_cbranch_execz .LBB127_228
; %bb.219:
	v_subrev_u32_e32 v7, 48, v0
	v_subrev_u32_e32 v6, 47, v0
	v_cmp_lt_u32_e32 vcc, 6, v7
	v_mov_b32_e32 v202, 47
	s_and_saveexec_b64 s[2:3], vcc
	s_cbranch_execz .LBB127_223
; %bb.220:
	v_and_b32_e32 v7, -8, v6
	s_mov_b32 s12, 0
	s_mov_b64 s[10:11], 0
	v_mov_b32_e32 v201, 0
	s_mov_b32 s13, 0
.LBB127_221:                            ; =>This Inner Loop Header: Depth=1
	v_readfirstlane_b32 s14, v201
	s_add_i32 s14, s14, s12
	s_add_i32 s15, s14, 0x2f0
	v_mov_b32_e32 v28, s12
	ds_read_b128 v[202:205], v28 offset:1776
	ds_read_b128 v[206:209], v28 offset:1792
	;; [unrolled: 1-line block ×4, first 2 shown]
	scratch_load_dwordx4 v[218:221], off, s15
	s_add_i32 s15, s14, 0x300
	s_addk_i32 s12, 0x80
	s_waitcnt vmcnt(0) lgkmcnt(3)
	v_mul_f64 v[10:11], v[204:205], v[220:221]
	v_mul_f64 v[24:25], v[202:203], v[220:221]
	v_fma_f64 v[10:11], v[202:203], v[218:219], -v[10:11]
	v_fmac_f64_e32 v[24:25], v[204:205], v[218:219]
	v_add_f64 v[10:11], v[2:3], v[10:11]
	v_add_f64 v[24:25], v[4:5], v[24:25]
	scratch_load_dwordx4 v[2:5], off, s15
	s_add_i32 s15, s14, 0x310
	s_waitcnt vmcnt(0) lgkmcnt(2)
	v_mul_f64 v[26:27], v[208:209], v[4:5]
	v_mul_f64 v[4:5], v[206:207], v[4:5]
	v_fmac_f64_e32 v[4:5], v[208:209], v[2:3]
	v_fma_f64 v[26:27], v[206:207], v[2:3], -v[26:27]
	v_add_f64 v[24:25], v[24:25], v[4:5]
	scratch_load_dwordx4 v[2:5], off, s15
	v_add_f64 v[10:11], v[10:11], v[26:27]
	s_add_i32 s15, s14, 0x320
	s_waitcnt vmcnt(0) lgkmcnt(1)
	v_mul_f64 v[26:27], v[212:213], v[4:5]
	v_mul_f64 v[4:5], v[210:211], v[4:5]
	v_fmac_f64_e32 v[4:5], v[212:213], v[2:3]
	v_fma_f64 v[26:27], v[210:211], v[2:3], -v[26:27]
	v_add_f64 v[24:25], v[24:25], v[4:5]
	scratch_load_dwordx4 v[2:5], off, s15
	s_add_i32 s15, s14, 0x330
	scratch_load_dwordx4 v[202:205], off, s15
	v_add_f64 v[10:11], v[10:11], v[26:27]
	s_add_i32 s15, s14, 0x340
	s_waitcnt vmcnt(1) lgkmcnt(0)
	v_mul_f64 v[26:27], v[216:217], v[4:5]
	v_mul_f64 v[4:5], v[214:215], v[4:5]
	v_fmac_f64_e32 v[4:5], v[216:217], v[2:3]
	v_fma_f64 v[26:27], v[214:215], v[2:3], -v[26:27]
	v_add_f64 v[24:25], v[24:25], v[4:5]
	ds_read_b128 v[2:5], v28 offset:1840
	v_add_f64 v[10:11], v[10:11], v[26:27]
	s_waitcnt vmcnt(0) lgkmcnt(0)
	v_mul_f64 v[26:27], v[4:5], v[204:205]
	v_fma_f64 v[26:27], v[2:3], v[202:203], -v[26:27]
	v_mul_f64 v[2:3], v[2:3], v[204:205]
	v_fmac_f64_e32 v[2:3], v[4:5], v[202:203]
	scratch_load_dwordx4 v[202:205], off, s15
	v_add_f64 v[24:25], v[24:25], v[2:3]
	ds_read_b128 v[2:5], v28 offset:1856
	v_add_f64 v[10:11], v[10:11], v[26:27]
	s_add_i32 s15, s14, 0x350
	s_addk_i32 s14, 0x360
	s_waitcnt vmcnt(0) lgkmcnt(0)
	v_mul_f64 v[26:27], v[4:5], v[204:205]
	v_fma_f64 v[26:27], v[2:3], v[202:203], -v[26:27]
	v_mul_f64 v[2:3], v[2:3], v[204:205]
	v_fmac_f64_e32 v[2:3], v[4:5], v[202:203]
	scratch_load_dwordx4 v[202:205], off, s15
	v_add_f64 v[24:25], v[24:25], v[2:3]
	ds_read_b128 v[2:5], v28 offset:1872
	v_add_f64 v[10:11], v[10:11], v[26:27]
	s_waitcnt vmcnt(0) lgkmcnt(0)
	v_mul_f64 v[26:27], v[4:5], v[204:205]
	v_fma_f64 v[26:27], v[2:3], v[202:203], -v[26:27]
	v_mul_f64 v[2:3], v[2:3], v[204:205]
	v_fmac_f64_e32 v[2:3], v[4:5], v[202:203]
	scratch_load_dwordx4 v[202:205], off, s14
	v_add_f64 v[24:25], v[24:25], v[2:3]
	ds_read_b128 v[2:5], v28 offset:1888
	v_add_f64 v[10:11], v[10:11], v[26:27]
	s_add_i32 s14, s13, 8
	v_cmp_eq_u32_e32 vcc, s14, v7
	s_add_i32 s13, s13, 55
	s_or_b64 s[10:11], vcc, s[10:11]
	s_waitcnt vmcnt(0) lgkmcnt(0)
	v_mul_f64 v[26:27], v[4:5], v[204:205]
	v_mul_f64 v[28:29], v[2:3], v[204:205]
	v_fma_f64 v[26:27], v[2:3], v[202:203], -v[26:27]
	v_fmac_f64_e32 v[28:29], v[4:5], v[202:203]
	v_add_f64 v[2:3], v[10:11], v[26:27]
	v_add_f64 v[4:5], v[24:25], v[28:29]
	v_mov_b32_e32 v202, s13
	s_mov_b32 s13, s14
	s_andn2_b64 exec, exec, s[10:11]
	s_cbranch_execnz .LBB127_221
; %bb.222:
	s_or_b64 exec, exec, s[10:11]
.LBB127_223:
	s_or_b64 exec, exec, s[2:3]
	v_and_b32_e32 v6, 7, v6
	v_cmp_ne_u32_e32 vcc, 0, v6
	s_and_saveexec_b64 s[2:3], vcc
	s_cbranch_execz .LBB127_227
; %bb.224:
	v_lshlrev_b32_e32 v10, 4, v202
	v_add_u32_e32 v7, 0x400, v10
	v_add_u32_e32 v201, 0, v10
	s_mov_b64 s[10:11], 0
.LBB127_225:                            ; =>This Inner Loop Header: Depth=1
	scratch_load_dwordx4 v[202:205], v201, off
	ds_read_b128 v[206:209], v7
	v_add_u32_e32 v6, -1, v6
	v_cmp_eq_u32_e32 vcc, 0, v6
	v_add_u32_e32 v7, 16, v7
	v_add_u32_e32 v201, 16, v201
	s_or_b64 s[10:11], vcc, s[10:11]
	s_waitcnt vmcnt(0) lgkmcnt(0)
	v_mul_f64 v[10:11], v[208:209], v[204:205]
	v_mul_f64 v[24:25], v[206:207], v[204:205]
	v_fma_f64 v[10:11], v[206:207], v[202:203], -v[10:11]
	v_fmac_f64_e32 v[24:25], v[208:209], v[202:203]
	v_add_f64 v[2:3], v[2:3], v[10:11]
	v_add_f64 v[4:5], v[4:5], v[24:25]
	s_andn2_b64 exec, exec, s[10:11]
	s_cbranch_execnz .LBB127_225
; %bb.226:
	s_or_b64 exec, exec, s[10:11]
.LBB127_227:
	s_or_b64 exec, exec, s[2:3]
.LBB127_228:
	s_or_b64 exec, exec, s[8:9]
	v_mov_b32_e32 v6, 0
	ds_read_b128 v[202:205], v6 offset:736
	s_waitcnt lgkmcnt(0)
	v_mul_f64 v[6:7], v[4:5], v[204:205]
	v_mul_f64 v[206:207], v[2:3], v[204:205]
	v_fma_f64 v[204:205], v[2:3], v[202:203], -v[6:7]
	v_fmac_f64_e32 v[206:207], v[4:5], v[202:203]
	scratch_store_dwordx4 off, v[204:207], off offset:736
.LBB127_229:
	s_or_b64 exec, exec, s[4:5]
	scratch_load_dwordx4 v[2:5], v156, off
	v_cmp_lt_u32_e64 s[2:3], 45, v0
	s_waitcnt vmcnt(0)
	ds_write_b128 v9, v[2:5]
	s_waitcnt lgkmcnt(0)
	; wave barrier
	s_waitcnt lgkmcnt(0)
	s_and_saveexec_b64 s[4:5], s[2:3]
	s_cbranch_execz .LBB127_243
; %bb.230:
	ds_read_b128 v[2:5], v9
	s_andn2_b64 vcc, exec, s[6:7]
	s_cbranch_vccnz .LBB127_232
; %bb.231:
	scratch_load_dwordx4 v[202:205], v8, off
	s_waitcnt vmcnt(0) lgkmcnt(0)
	v_mul_f64 v[10:11], v[2:3], v[204:205]
	v_mul_f64 v[6:7], v[4:5], v[204:205]
	v_fmac_f64_e32 v[10:11], v[4:5], v[202:203]
	v_fma_f64 v[2:3], v[2:3], v[202:203], -v[6:7]
	v_mov_b64_e32 v[4:5], v[10:11]
.LBB127_232:
	s_and_saveexec_b64 s[8:9], s[0:1]
	s_cbranch_execz .LBB127_242
; %bb.233:
	v_subrev_u32_e32 v7, 47, v0
	v_subrev_u32_e32 v6, 46, v0
	v_cmp_lt_u32_e32 vcc, 6, v7
	v_mov_b32_e32 v202, 46
	s_and_saveexec_b64 s[0:1], vcc
	s_cbranch_execz .LBB127_237
; %bb.234:
	v_and_b32_e32 v7, -8, v6
	s_mov_b32 s12, 0
	s_mov_b64 s[10:11], 0
	v_mov_b32_e32 v201, 0
	s_mov_b32 s13, 0
.LBB127_235:                            ; =>This Inner Loop Header: Depth=1
	v_readfirstlane_b32 s14, v201
	s_add_i32 s14, s14, s12
	s_add_i32 s15, s14, 0x2e0
	v_mov_b32_e32 v28, s12
	ds_read_b128 v[202:205], v28 offset:1760
	ds_read_b128 v[206:209], v28 offset:1776
	;; [unrolled: 1-line block ×4, first 2 shown]
	scratch_load_dwordx4 v[218:221], off, s15
	s_add_i32 s15, s14, 0x2f0
	s_addk_i32 s12, 0x80
	s_waitcnt vmcnt(0) lgkmcnt(3)
	v_mul_f64 v[10:11], v[204:205], v[220:221]
	v_mul_f64 v[24:25], v[202:203], v[220:221]
	v_fma_f64 v[10:11], v[202:203], v[218:219], -v[10:11]
	v_fmac_f64_e32 v[24:25], v[204:205], v[218:219]
	v_add_f64 v[10:11], v[2:3], v[10:11]
	v_add_f64 v[24:25], v[4:5], v[24:25]
	scratch_load_dwordx4 v[2:5], off, s15
	s_add_i32 s15, s14, 0x300
	s_waitcnt vmcnt(0) lgkmcnt(2)
	v_mul_f64 v[26:27], v[208:209], v[4:5]
	v_mul_f64 v[4:5], v[206:207], v[4:5]
	v_fmac_f64_e32 v[4:5], v[208:209], v[2:3]
	v_fma_f64 v[26:27], v[206:207], v[2:3], -v[26:27]
	v_add_f64 v[24:25], v[24:25], v[4:5]
	scratch_load_dwordx4 v[2:5], off, s15
	v_add_f64 v[10:11], v[10:11], v[26:27]
	s_add_i32 s15, s14, 0x310
	s_waitcnt vmcnt(0) lgkmcnt(1)
	v_mul_f64 v[26:27], v[212:213], v[4:5]
	v_mul_f64 v[4:5], v[210:211], v[4:5]
	v_fmac_f64_e32 v[4:5], v[212:213], v[2:3]
	v_fma_f64 v[26:27], v[210:211], v[2:3], -v[26:27]
	v_add_f64 v[24:25], v[24:25], v[4:5]
	scratch_load_dwordx4 v[2:5], off, s15
	s_add_i32 s15, s14, 0x320
	scratch_load_dwordx4 v[202:205], off, s15
	v_add_f64 v[10:11], v[10:11], v[26:27]
	s_add_i32 s15, s14, 0x330
	s_waitcnt vmcnt(1) lgkmcnt(0)
	v_mul_f64 v[26:27], v[216:217], v[4:5]
	v_mul_f64 v[4:5], v[214:215], v[4:5]
	v_fmac_f64_e32 v[4:5], v[216:217], v[2:3]
	v_fma_f64 v[26:27], v[214:215], v[2:3], -v[26:27]
	v_add_f64 v[24:25], v[24:25], v[4:5]
	ds_read_b128 v[2:5], v28 offset:1824
	v_add_f64 v[10:11], v[10:11], v[26:27]
	s_waitcnt vmcnt(0) lgkmcnt(0)
	v_mul_f64 v[26:27], v[4:5], v[204:205]
	v_fma_f64 v[26:27], v[2:3], v[202:203], -v[26:27]
	v_mul_f64 v[2:3], v[2:3], v[204:205]
	v_fmac_f64_e32 v[2:3], v[4:5], v[202:203]
	scratch_load_dwordx4 v[202:205], off, s15
	v_add_f64 v[24:25], v[24:25], v[2:3]
	ds_read_b128 v[2:5], v28 offset:1840
	v_add_f64 v[10:11], v[10:11], v[26:27]
	s_add_i32 s15, s14, 0x340
	s_addk_i32 s14, 0x350
	s_waitcnt vmcnt(0) lgkmcnt(0)
	v_mul_f64 v[26:27], v[4:5], v[204:205]
	v_fma_f64 v[26:27], v[2:3], v[202:203], -v[26:27]
	v_mul_f64 v[2:3], v[2:3], v[204:205]
	v_fmac_f64_e32 v[2:3], v[4:5], v[202:203]
	scratch_load_dwordx4 v[202:205], off, s15
	v_add_f64 v[24:25], v[24:25], v[2:3]
	ds_read_b128 v[2:5], v28 offset:1856
	v_add_f64 v[10:11], v[10:11], v[26:27]
	s_waitcnt vmcnt(0) lgkmcnt(0)
	v_mul_f64 v[26:27], v[4:5], v[204:205]
	v_fma_f64 v[26:27], v[2:3], v[202:203], -v[26:27]
	v_mul_f64 v[2:3], v[2:3], v[204:205]
	v_fmac_f64_e32 v[2:3], v[4:5], v[202:203]
	scratch_load_dwordx4 v[202:205], off, s14
	v_add_f64 v[24:25], v[24:25], v[2:3]
	ds_read_b128 v[2:5], v28 offset:1872
	v_add_f64 v[10:11], v[10:11], v[26:27]
	s_add_i32 s14, s13, 8
	v_cmp_eq_u32_e32 vcc, s14, v7
	s_add_i32 s13, s13, 54
	s_or_b64 s[10:11], vcc, s[10:11]
	s_waitcnt vmcnt(0) lgkmcnt(0)
	v_mul_f64 v[26:27], v[4:5], v[204:205]
	v_mul_f64 v[28:29], v[2:3], v[204:205]
	v_fma_f64 v[26:27], v[2:3], v[202:203], -v[26:27]
	v_fmac_f64_e32 v[28:29], v[4:5], v[202:203]
	v_add_f64 v[2:3], v[10:11], v[26:27]
	v_add_f64 v[4:5], v[24:25], v[28:29]
	v_mov_b32_e32 v202, s13
	s_mov_b32 s13, s14
	s_andn2_b64 exec, exec, s[10:11]
	s_cbranch_execnz .LBB127_235
; %bb.236:
	s_or_b64 exec, exec, s[10:11]
.LBB127_237:
	s_or_b64 exec, exec, s[0:1]
	v_and_b32_e32 v6, 7, v6
	v_cmp_ne_u32_e32 vcc, 0, v6
	s_and_saveexec_b64 s[0:1], vcc
	s_cbranch_execz .LBB127_241
; %bb.238:
	v_lshlrev_b32_e32 v10, 4, v202
	v_add_u32_e32 v7, 0x400, v10
	v_add_u32_e32 v201, 0, v10
	s_mov_b64 s[10:11], 0
.LBB127_239:                            ; =>This Inner Loop Header: Depth=1
	scratch_load_dwordx4 v[202:205], v201, off
	ds_read_b128 v[206:209], v7
	v_add_u32_e32 v6, -1, v6
	v_cmp_eq_u32_e32 vcc, 0, v6
	v_add_u32_e32 v7, 16, v7
	v_add_u32_e32 v201, 16, v201
	s_or_b64 s[10:11], vcc, s[10:11]
	s_waitcnt vmcnt(0) lgkmcnt(0)
	v_mul_f64 v[10:11], v[208:209], v[204:205]
	v_mul_f64 v[24:25], v[206:207], v[204:205]
	v_fma_f64 v[10:11], v[206:207], v[202:203], -v[10:11]
	v_fmac_f64_e32 v[24:25], v[208:209], v[202:203]
	v_add_f64 v[2:3], v[2:3], v[10:11]
	v_add_f64 v[4:5], v[4:5], v[24:25]
	s_andn2_b64 exec, exec, s[10:11]
	s_cbranch_execnz .LBB127_239
; %bb.240:
	s_or_b64 exec, exec, s[10:11]
.LBB127_241:
	s_or_b64 exec, exec, s[0:1]
.LBB127_242:
	s_or_b64 exec, exec, s[8:9]
	v_mov_b32_e32 v6, 0
	ds_read_b128 v[202:205], v6 offset:720
	s_waitcnt lgkmcnt(0)
	v_mul_f64 v[6:7], v[4:5], v[204:205]
	v_mul_f64 v[206:207], v[2:3], v[204:205]
	v_fma_f64 v[204:205], v[2:3], v[202:203], -v[6:7]
	v_fmac_f64_e32 v[206:207], v[4:5], v[202:203]
	scratch_store_dwordx4 off, v[204:207], off offset:720
.LBB127_243:
	s_or_b64 exec, exec, s[4:5]
	scratch_load_dwordx4 v[2:5], v157, off
	v_cmp_lt_u32_e64 s[0:1], 44, v0
	s_waitcnt vmcnt(0)
	ds_write_b128 v9, v[2:5]
	s_waitcnt lgkmcnt(0)
	; wave barrier
	s_waitcnt lgkmcnt(0)
	s_and_saveexec_b64 s[4:5], s[0:1]
	s_cbranch_execz .LBB127_257
; %bb.244:
	ds_read_b128 v[2:5], v9
	s_andn2_b64 vcc, exec, s[6:7]
	s_cbranch_vccnz .LBB127_246
; %bb.245:
	scratch_load_dwordx4 v[202:205], v8, off
	s_waitcnt vmcnt(0) lgkmcnt(0)
	v_mul_f64 v[10:11], v[2:3], v[204:205]
	v_mul_f64 v[6:7], v[4:5], v[204:205]
	v_fmac_f64_e32 v[10:11], v[4:5], v[202:203]
	v_fma_f64 v[2:3], v[2:3], v[202:203], -v[6:7]
	v_mov_b64_e32 v[4:5], v[10:11]
.LBB127_246:
	s_and_saveexec_b64 s[8:9], s[2:3]
	s_cbranch_execz .LBB127_256
; %bb.247:
	v_subrev_u32_e32 v7, 46, v0
	v_subrev_u32_e32 v6, 45, v0
	v_cmp_lt_u32_e32 vcc, 6, v7
	v_mov_b32_e32 v202, 45
	s_and_saveexec_b64 s[2:3], vcc
	s_cbranch_execz .LBB127_251
; %bb.248:
	v_and_b32_e32 v7, -8, v6
	s_mov_b32 s12, 0
	s_mov_b64 s[10:11], 0
	v_mov_b32_e32 v201, 0
	s_mov_b32 s13, 0
.LBB127_249:                            ; =>This Inner Loop Header: Depth=1
	v_readfirstlane_b32 s14, v201
	s_add_i32 s14, s14, s12
	s_add_i32 s15, s14, 0x2d0
	v_mov_b32_e32 v28, s12
	ds_read_b128 v[202:205], v28 offset:1744
	ds_read_b128 v[206:209], v28 offset:1760
	;; [unrolled: 1-line block ×4, first 2 shown]
	scratch_load_dwordx4 v[218:221], off, s15
	s_add_i32 s15, s14, 0x2e0
	s_addk_i32 s12, 0x80
	s_waitcnt vmcnt(0) lgkmcnt(3)
	v_mul_f64 v[10:11], v[204:205], v[220:221]
	v_mul_f64 v[24:25], v[202:203], v[220:221]
	v_fma_f64 v[10:11], v[202:203], v[218:219], -v[10:11]
	v_fmac_f64_e32 v[24:25], v[204:205], v[218:219]
	v_add_f64 v[10:11], v[2:3], v[10:11]
	v_add_f64 v[24:25], v[4:5], v[24:25]
	scratch_load_dwordx4 v[2:5], off, s15
	s_add_i32 s15, s14, 0x2f0
	s_waitcnt vmcnt(0) lgkmcnt(2)
	v_mul_f64 v[26:27], v[208:209], v[4:5]
	v_mul_f64 v[4:5], v[206:207], v[4:5]
	v_fmac_f64_e32 v[4:5], v[208:209], v[2:3]
	v_fma_f64 v[26:27], v[206:207], v[2:3], -v[26:27]
	v_add_f64 v[24:25], v[24:25], v[4:5]
	scratch_load_dwordx4 v[2:5], off, s15
	v_add_f64 v[10:11], v[10:11], v[26:27]
	s_add_i32 s15, s14, 0x300
	s_waitcnt vmcnt(0) lgkmcnt(1)
	v_mul_f64 v[26:27], v[212:213], v[4:5]
	v_mul_f64 v[4:5], v[210:211], v[4:5]
	v_fmac_f64_e32 v[4:5], v[212:213], v[2:3]
	v_fma_f64 v[26:27], v[210:211], v[2:3], -v[26:27]
	v_add_f64 v[24:25], v[24:25], v[4:5]
	scratch_load_dwordx4 v[2:5], off, s15
	s_add_i32 s15, s14, 0x310
	scratch_load_dwordx4 v[202:205], off, s15
	v_add_f64 v[10:11], v[10:11], v[26:27]
	s_add_i32 s15, s14, 0x320
	s_waitcnt vmcnt(1) lgkmcnt(0)
	v_mul_f64 v[26:27], v[216:217], v[4:5]
	v_mul_f64 v[4:5], v[214:215], v[4:5]
	v_fmac_f64_e32 v[4:5], v[216:217], v[2:3]
	v_fma_f64 v[26:27], v[214:215], v[2:3], -v[26:27]
	v_add_f64 v[24:25], v[24:25], v[4:5]
	ds_read_b128 v[2:5], v28 offset:1808
	v_add_f64 v[10:11], v[10:11], v[26:27]
	s_waitcnt vmcnt(0) lgkmcnt(0)
	v_mul_f64 v[26:27], v[4:5], v[204:205]
	v_fma_f64 v[26:27], v[2:3], v[202:203], -v[26:27]
	v_mul_f64 v[2:3], v[2:3], v[204:205]
	v_fmac_f64_e32 v[2:3], v[4:5], v[202:203]
	scratch_load_dwordx4 v[202:205], off, s15
	v_add_f64 v[24:25], v[24:25], v[2:3]
	ds_read_b128 v[2:5], v28 offset:1824
	v_add_f64 v[10:11], v[10:11], v[26:27]
	s_add_i32 s15, s14, 0x330
	s_addk_i32 s14, 0x340
	s_waitcnt vmcnt(0) lgkmcnt(0)
	v_mul_f64 v[26:27], v[4:5], v[204:205]
	v_fma_f64 v[26:27], v[2:3], v[202:203], -v[26:27]
	v_mul_f64 v[2:3], v[2:3], v[204:205]
	v_fmac_f64_e32 v[2:3], v[4:5], v[202:203]
	scratch_load_dwordx4 v[202:205], off, s15
	v_add_f64 v[24:25], v[24:25], v[2:3]
	ds_read_b128 v[2:5], v28 offset:1840
	v_add_f64 v[10:11], v[10:11], v[26:27]
	s_waitcnt vmcnt(0) lgkmcnt(0)
	v_mul_f64 v[26:27], v[4:5], v[204:205]
	v_fma_f64 v[26:27], v[2:3], v[202:203], -v[26:27]
	v_mul_f64 v[2:3], v[2:3], v[204:205]
	v_fmac_f64_e32 v[2:3], v[4:5], v[202:203]
	scratch_load_dwordx4 v[202:205], off, s14
	v_add_f64 v[24:25], v[24:25], v[2:3]
	ds_read_b128 v[2:5], v28 offset:1856
	v_add_f64 v[10:11], v[10:11], v[26:27]
	s_add_i32 s14, s13, 8
	v_cmp_eq_u32_e32 vcc, s14, v7
	s_add_i32 s13, s13, 53
	s_or_b64 s[10:11], vcc, s[10:11]
	s_waitcnt vmcnt(0) lgkmcnt(0)
	v_mul_f64 v[26:27], v[4:5], v[204:205]
	v_mul_f64 v[28:29], v[2:3], v[204:205]
	v_fma_f64 v[26:27], v[2:3], v[202:203], -v[26:27]
	v_fmac_f64_e32 v[28:29], v[4:5], v[202:203]
	v_add_f64 v[2:3], v[10:11], v[26:27]
	v_add_f64 v[4:5], v[24:25], v[28:29]
	v_mov_b32_e32 v202, s13
	s_mov_b32 s13, s14
	s_andn2_b64 exec, exec, s[10:11]
	s_cbranch_execnz .LBB127_249
; %bb.250:
	s_or_b64 exec, exec, s[10:11]
.LBB127_251:
	s_or_b64 exec, exec, s[2:3]
	v_and_b32_e32 v6, 7, v6
	v_cmp_ne_u32_e32 vcc, 0, v6
	s_and_saveexec_b64 s[2:3], vcc
	s_cbranch_execz .LBB127_255
; %bb.252:
	v_lshlrev_b32_e32 v10, 4, v202
	v_add_u32_e32 v7, 0x400, v10
	v_add_u32_e32 v201, 0, v10
	s_mov_b64 s[10:11], 0
.LBB127_253:                            ; =>This Inner Loop Header: Depth=1
	scratch_load_dwordx4 v[202:205], v201, off
	ds_read_b128 v[206:209], v7
	v_add_u32_e32 v6, -1, v6
	v_cmp_eq_u32_e32 vcc, 0, v6
	v_add_u32_e32 v7, 16, v7
	v_add_u32_e32 v201, 16, v201
	s_or_b64 s[10:11], vcc, s[10:11]
	s_waitcnt vmcnt(0) lgkmcnt(0)
	v_mul_f64 v[10:11], v[208:209], v[204:205]
	v_mul_f64 v[24:25], v[206:207], v[204:205]
	v_fma_f64 v[10:11], v[206:207], v[202:203], -v[10:11]
	v_fmac_f64_e32 v[24:25], v[208:209], v[202:203]
	v_add_f64 v[2:3], v[2:3], v[10:11]
	v_add_f64 v[4:5], v[4:5], v[24:25]
	s_andn2_b64 exec, exec, s[10:11]
	s_cbranch_execnz .LBB127_253
; %bb.254:
	s_or_b64 exec, exec, s[10:11]
.LBB127_255:
	s_or_b64 exec, exec, s[2:3]
.LBB127_256:
	s_or_b64 exec, exec, s[8:9]
	v_mov_b32_e32 v6, 0
	ds_read_b128 v[202:205], v6 offset:704
	s_waitcnt lgkmcnt(0)
	v_mul_f64 v[6:7], v[4:5], v[204:205]
	v_mul_f64 v[206:207], v[2:3], v[204:205]
	v_fma_f64 v[204:205], v[2:3], v[202:203], -v[6:7]
	v_fmac_f64_e32 v[206:207], v[4:5], v[202:203]
	scratch_store_dwordx4 off, v[204:207], off offset:704
.LBB127_257:
	s_or_b64 exec, exec, s[4:5]
	scratch_load_dwordx4 v[2:5], v158, off
	v_cmp_lt_u32_e64 s[2:3], 43, v0
	s_waitcnt vmcnt(0)
	ds_write_b128 v9, v[2:5]
	s_waitcnt lgkmcnt(0)
	; wave barrier
	s_waitcnt lgkmcnt(0)
	s_and_saveexec_b64 s[4:5], s[2:3]
	s_cbranch_execz .LBB127_271
; %bb.258:
	ds_read_b128 v[2:5], v9
	s_andn2_b64 vcc, exec, s[6:7]
	s_cbranch_vccnz .LBB127_260
; %bb.259:
	scratch_load_dwordx4 v[202:205], v8, off
	s_waitcnt vmcnt(0) lgkmcnt(0)
	v_mul_f64 v[10:11], v[2:3], v[204:205]
	v_mul_f64 v[6:7], v[4:5], v[204:205]
	v_fmac_f64_e32 v[10:11], v[4:5], v[202:203]
	v_fma_f64 v[2:3], v[2:3], v[202:203], -v[6:7]
	v_mov_b64_e32 v[4:5], v[10:11]
.LBB127_260:
	s_and_saveexec_b64 s[8:9], s[0:1]
	s_cbranch_execz .LBB127_270
; %bb.261:
	v_subrev_u32_e32 v7, 45, v0
	v_subrev_u32_e32 v6, 44, v0
	v_cmp_lt_u32_e32 vcc, 6, v7
	v_mov_b32_e32 v202, 44
	s_and_saveexec_b64 s[0:1], vcc
	s_cbranch_execz .LBB127_265
; %bb.262:
	v_and_b32_e32 v7, -8, v6
	s_mov_b32 s12, 0
	s_mov_b64 s[10:11], 0
	v_mov_b32_e32 v201, 0
	s_mov_b32 s13, 0
.LBB127_263:                            ; =>This Inner Loop Header: Depth=1
	v_readfirstlane_b32 s14, v201
	s_add_i32 s14, s14, s12
	s_add_i32 s15, s14, 0x2c0
	v_mov_b32_e32 v28, s12
	ds_read_b128 v[202:205], v28 offset:1728
	ds_read_b128 v[206:209], v28 offset:1744
	;; [unrolled: 1-line block ×4, first 2 shown]
	scratch_load_dwordx4 v[218:221], off, s15
	s_add_i32 s15, s14, 0x2d0
	s_addk_i32 s12, 0x80
	s_waitcnt vmcnt(0) lgkmcnt(3)
	v_mul_f64 v[10:11], v[204:205], v[220:221]
	v_mul_f64 v[24:25], v[202:203], v[220:221]
	v_fma_f64 v[10:11], v[202:203], v[218:219], -v[10:11]
	v_fmac_f64_e32 v[24:25], v[204:205], v[218:219]
	v_add_f64 v[10:11], v[2:3], v[10:11]
	v_add_f64 v[24:25], v[4:5], v[24:25]
	scratch_load_dwordx4 v[2:5], off, s15
	s_add_i32 s15, s14, 0x2e0
	s_waitcnt vmcnt(0) lgkmcnt(2)
	v_mul_f64 v[26:27], v[208:209], v[4:5]
	v_mul_f64 v[4:5], v[206:207], v[4:5]
	v_fmac_f64_e32 v[4:5], v[208:209], v[2:3]
	v_fma_f64 v[26:27], v[206:207], v[2:3], -v[26:27]
	v_add_f64 v[24:25], v[24:25], v[4:5]
	scratch_load_dwordx4 v[2:5], off, s15
	v_add_f64 v[10:11], v[10:11], v[26:27]
	s_add_i32 s15, s14, 0x2f0
	s_waitcnt vmcnt(0) lgkmcnt(1)
	v_mul_f64 v[26:27], v[212:213], v[4:5]
	v_mul_f64 v[4:5], v[210:211], v[4:5]
	v_fmac_f64_e32 v[4:5], v[212:213], v[2:3]
	v_fma_f64 v[26:27], v[210:211], v[2:3], -v[26:27]
	v_add_f64 v[24:25], v[24:25], v[4:5]
	scratch_load_dwordx4 v[2:5], off, s15
	s_add_i32 s15, s14, 0x300
	scratch_load_dwordx4 v[202:205], off, s15
	v_add_f64 v[10:11], v[10:11], v[26:27]
	s_add_i32 s15, s14, 0x310
	s_waitcnt vmcnt(1) lgkmcnt(0)
	v_mul_f64 v[26:27], v[216:217], v[4:5]
	v_mul_f64 v[4:5], v[214:215], v[4:5]
	v_fmac_f64_e32 v[4:5], v[216:217], v[2:3]
	v_fma_f64 v[26:27], v[214:215], v[2:3], -v[26:27]
	v_add_f64 v[24:25], v[24:25], v[4:5]
	ds_read_b128 v[2:5], v28 offset:1792
	v_add_f64 v[10:11], v[10:11], v[26:27]
	s_waitcnt vmcnt(0) lgkmcnt(0)
	v_mul_f64 v[26:27], v[4:5], v[204:205]
	v_fma_f64 v[26:27], v[2:3], v[202:203], -v[26:27]
	v_mul_f64 v[2:3], v[2:3], v[204:205]
	v_fmac_f64_e32 v[2:3], v[4:5], v[202:203]
	scratch_load_dwordx4 v[202:205], off, s15
	v_add_f64 v[24:25], v[24:25], v[2:3]
	ds_read_b128 v[2:5], v28 offset:1808
	v_add_f64 v[10:11], v[10:11], v[26:27]
	s_add_i32 s15, s14, 0x320
	s_addk_i32 s14, 0x330
	s_waitcnt vmcnt(0) lgkmcnt(0)
	v_mul_f64 v[26:27], v[4:5], v[204:205]
	v_fma_f64 v[26:27], v[2:3], v[202:203], -v[26:27]
	v_mul_f64 v[2:3], v[2:3], v[204:205]
	v_fmac_f64_e32 v[2:3], v[4:5], v[202:203]
	scratch_load_dwordx4 v[202:205], off, s15
	v_add_f64 v[24:25], v[24:25], v[2:3]
	ds_read_b128 v[2:5], v28 offset:1824
	v_add_f64 v[10:11], v[10:11], v[26:27]
	s_waitcnt vmcnt(0) lgkmcnt(0)
	v_mul_f64 v[26:27], v[4:5], v[204:205]
	v_fma_f64 v[26:27], v[2:3], v[202:203], -v[26:27]
	v_mul_f64 v[2:3], v[2:3], v[204:205]
	v_fmac_f64_e32 v[2:3], v[4:5], v[202:203]
	scratch_load_dwordx4 v[202:205], off, s14
	v_add_f64 v[24:25], v[24:25], v[2:3]
	ds_read_b128 v[2:5], v28 offset:1840
	v_add_f64 v[10:11], v[10:11], v[26:27]
	s_add_i32 s14, s13, 8
	v_cmp_eq_u32_e32 vcc, s14, v7
	s_add_i32 s13, s13, 52
	s_or_b64 s[10:11], vcc, s[10:11]
	s_waitcnt vmcnt(0) lgkmcnt(0)
	v_mul_f64 v[26:27], v[4:5], v[204:205]
	v_mul_f64 v[28:29], v[2:3], v[204:205]
	v_fma_f64 v[26:27], v[2:3], v[202:203], -v[26:27]
	v_fmac_f64_e32 v[28:29], v[4:5], v[202:203]
	v_add_f64 v[2:3], v[10:11], v[26:27]
	v_add_f64 v[4:5], v[24:25], v[28:29]
	v_mov_b32_e32 v202, s13
	s_mov_b32 s13, s14
	s_andn2_b64 exec, exec, s[10:11]
	s_cbranch_execnz .LBB127_263
; %bb.264:
	s_or_b64 exec, exec, s[10:11]
.LBB127_265:
	s_or_b64 exec, exec, s[0:1]
	v_and_b32_e32 v6, 7, v6
	v_cmp_ne_u32_e32 vcc, 0, v6
	s_and_saveexec_b64 s[0:1], vcc
	s_cbranch_execz .LBB127_269
; %bb.266:
	v_lshlrev_b32_e32 v10, 4, v202
	v_add_u32_e32 v7, 0x400, v10
	v_add_u32_e32 v201, 0, v10
	s_mov_b64 s[10:11], 0
.LBB127_267:                            ; =>This Inner Loop Header: Depth=1
	scratch_load_dwordx4 v[202:205], v201, off
	ds_read_b128 v[206:209], v7
	v_add_u32_e32 v6, -1, v6
	v_cmp_eq_u32_e32 vcc, 0, v6
	v_add_u32_e32 v7, 16, v7
	v_add_u32_e32 v201, 16, v201
	s_or_b64 s[10:11], vcc, s[10:11]
	s_waitcnt vmcnt(0) lgkmcnt(0)
	v_mul_f64 v[10:11], v[208:209], v[204:205]
	v_mul_f64 v[24:25], v[206:207], v[204:205]
	v_fma_f64 v[10:11], v[206:207], v[202:203], -v[10:11]
	v_fmac_f64_e32 v[24:25], v[208:209], v[202:203]
	v_add_f64 v[2:3], v[2:3], v[10:11]
	v_add_f64 v[4:5], v[4:5], v[24:25]
	s_andn2_b64 exec, exec, s[10:11]
	s_cbranch_execnz .LBB127_267
; %bb.268:
	s_or_b64 exec, exec, s[10:11]
.LBB127_269:
	s_or_b64 exec, exec, s[0:1]
.LBB127_270:
	s_or_b64 exec, exec, s[8:9]
	v_mov_b32_e32 v6, 0
	ds_read_b128 v[202:205], v6 offset:688
	s_waitcnt lgkmcnt(0)
	v_mul_f64 v[6:7], v[4:5], v[204:205]
	v_mul_f64 v[206:207], v[2:3], v[204:205]
	v_fma_f64 v[204:205], v[2:3], v[202:203], -v[6:7]
	v_fmac_f64_e32 v[206:207], v[4:5], v[202:203]
	scratch_store_dwordx4 off, v[204:207], off offset:688
.LBB127_271:
	s_or_b64 exec, exec, s[4:5]
	scratch_load_dwordx4 v[2:5], v159, off
	v_cmp_lt_u32_e64 s[0:1], 42, v0
	s_waitcnt vmcnt(0)
	ds_write_b128 v9, v[2:5]
	s_waitcnt lgkmcnt(0)
	; wave barrier
	s_waitcnt lgkmcnt(0)
	s_and_saveexec_b64 s[4:5], s[0:1]
	s_cbranch_execz .LBB127_285
; %bb.272:
	ds_read_b128 v[2:5], v9
	s_andn2_b64 vcc, exec, s[6:7]
	s_cbranch_vccnz .LBB127_274
; %bb.273:
	scratch_load_dwordx4 v[202:205], v8, off
	s_waitcnt vmcnt(0) lgkmcnt(0)
	v_mul_f64 v[10:11], v[2:3], v[204:205]
	v_mul_f64 v[6:7], v[4:5], v[204:205]
	v_fmac_f64_e32 v[10:11], v[4:5], v[202:203]
	v_fma_f64 v[2:3], v[2:3], v[202:203], -v[6:7]
	v_mov_b64_e32 v[4:5], v[10:11]
.LBB127_274:
	s_and_saveexec_b64 s[8:9], s[2:3]
	s_cbranch_execz .LBB127_284
; %bb.275:
	v_subrev_u32_e32 v7, 44, v0
	v_subrev_u32_e32 v6, 43, v0
	v_cmp_lt_u32_e32 vcc, 6, v7
	v_mov_b32_e32 v202, 43
	s_and_saveexec_b64 s[2:3], vcc
	s_cbranch_execz .LBB127_279
; %bb.276:
	v_and_b32_e32 v7, -8, v6
	s_mov_b32 s12, 0
	s_mov_b64 s[10:11], 0
	v_mov_b32_e32 v201, 0
	s_mov_b32 s13, 0
.LBB127_277:                            ; =>This Inner Loop Header: Depth=1
	v_readfirstlane_b32 s14, v201
	s_add_i32 s14, s14, s12
	s_add_i32 s15, s14, 0x2b0
	v_mov_b32_e32 v28, s12
	ds_read_b128 v[202:205], v28 offset:1712
	ds_read_b128 v[206:209], v28 offset:1728
	;; [unrolled: 1-line block ×4, first 2 shown]
	scratch_load_dwordx4 v[218:221], off, s15
	s_add_i32 s15, s14, 0x2c0
	s_addk_i32 s12, 0x80
	s_waitcnt vmcnt(0) lgkmcnt(3)
	v_mul_f64 v[10:11], v[204:205], v[220:221]
	v_mul_f64 v[24:25], v[202:203], v[220:221]
	v_fma_f64 v[10:11], v[202:203], v[218:219], -v[10:11]
	v_fmac_f64_e32 v[24:25], v[204:205], v[218:219]
	v_add_f64 v[10:11], v[2:3], v[10:11]
	v_add_f64 v[24:25], v[4:5], v[24:25]
	scratch_load_dwordx4 v[2:5], off, s15
	s_add_i32 s15, s14, 0x2d0
	s_waitcnt vmcnt(0) lgkmcnt(2)
	v_mul_f64 v[26:27], v[208:209], v[4:5]
	v_mul_f64 v[4:5], v[206:207], v[4:5]
	v_fmac_f64_e32 v[4:5], v[208:209], v[2:3]
	v_fma_f64 v[26:27], v[206:207], v[2:3], -v[26:27]
	v_add_f64 v[24:25], v[24:25], v[4:5]
	scratch_load_dwordx4 v[2:5], off, s15
	v_add_f64 v[10:11], v[10:11], v[26:27]
	s_add_i32 s15, s14, 0x2e0
	s_waitcnt vmcnt(0) lgkmcnt(1)
	v_mul_f64 v[26:27], v[212:213], v[4:5]
	v_mul_f64 v[4:5], v[210:211], v[4:5]
	v_fmac_f64_e32 v[4:5], v[212:213], v[2:3]
	v_fma_f64 v[26:27], v[210:211], v[2:3], -v[26:27]
	v_add_f64 v[24:25], v[24:25], v[4:5]
	scratch_load_dwordx4 v[2:5], off, s15
	s_add_i32 s15, s14, 0x2f0
	scratch_load_dwordx4 v[202:205], off, s15
	v_add_f64 v[10:11], v[10:11], v[26:27]
	s_add_i32 s15, s14, 0x300
	s_waitcnt vmcnt(1) lgkmcnt(0)
	v_mul_f64 v[26:27], v[216:217], v[4:5]
	v_mul_f64 v[4:5], v[214:215], v[4:5]
	v_fmac_f64_e32 v[4:5], v[216:217], v[2:3]
	v_fma_f64 v[26:27], v[214:215], v[2:3], -v[26:27]
	v_add_f64 v[24:25], v[24:25], v[4:5]
	ds_read_b128 v[2:5], v28 offset:1776
	v_add_f64 v[10:11], v[10:11], v[26:27]
	s_waitcnt vmcnt(0) lgkmcnt(0)
	v_mul_f64 v[26:27], v[4:5], v[204:205]
	v_fma_f64 v[26:27], v[2:3], v[202:203], -v[26:27]
	v_mul_f64 v[2:3], v[2:3], v[204:205]
	v_fmac_f64_e32 v[2:3], v[4:5], v[202:203]
	scratch_load_dwordx4 v[202:205], off, s15
	v_add_f64 v[24:25], v[24:25], v[2:3]
	ds_read_b128 v[2:5], v28 offset:1792
	v_add_f64 v[10:11], v[10:11], v[26:27]
	s_add_i32 s15, s14, 0x310
	s_addk_i32 s14, 0x320
	s_waitcnt vmcnt(0) lgkmcnt(0)
	v_mul_f64 v[26:27], v[4:5], v[204:205]
	v_fma_f64 v[26:27], v[2:3], v[202:203], -v[26:27]
	v_mul_f64 v[2:3], v[2:3], v[204:205]
	v_fmac_f64_e32 v[2:3], v[4:5], v[202:203]
	scratch_load_dwordx4 v[202:205], off, s15
	v_add_f64 v[24:25], v[24:25], v[2:3]
	ds_read_b128 v[2:5], v28 offset:1808
	v_add_f64 v[10:11], v[10:11], v[26:27]
	s_waitcnt vmcnt(0) lgkmcnt(0)
	v_mul_f64 v[26:27], v[4:5], v[204:205]
	v_fma_f64 v[26:27], v[2:3], v[202:203], -v[26:27]
	v_mul_f64 v[2:3], v[2:3], v[204:205]
	v_fmac_f64_e32 v[2:3], v[4:5], v[202:203]
	scratch_load_dwordx4 v[202:205], off, s14
	v_add_f64 v[24:25], v[24:25], v[2:3]
	ds_read_b128 v[2:5], v28 offset:1824
	v_add_f64 v[10:11], v[10:11], v[26:27]
	s_add_i32 s14, s13, 8
	v_cmp_eq_u32_e32 vcc, s14, v7
	s_add_i32 s13, s13, 51
	s_or_b64 s[10:11], vcc, s[10:11]
	s_waitcnt vmcnt(0) lgkmcnt(0)
	v_mul_f64 v[26:27], v[4:5], v[204:205]
	v_mul_f64 v[28:29], v[2:3], v[204:205]
	v_fma_f64 v[26:27], v[2:3], v[202:203], -v[26:27]
	v_fmac_f64_e32 v[28:29], v[4:5], v[202:203]
	v_add_f64 v[2:3], v[10:11], v[26:27]
	v_add_f64 v[4:5], v[24:25], v[28:29]
	v_mov_b32_e32 v202, s13
	s_mov_b32 s13, s14
	s_andn2_b64 exec, exec, s[10:11]
	s_cbranch_execnz .LBB127_277
; %bb.278:
	s_or_b64 exec, exec, s[10:11]
.LBB127_279:
	s_or_b64 exec, exec, s[2:3]
	v_and_b32_e32 v6, 7, v6
	v_cmp_ne_u32_e32 vcc, 0, v6
	s_and_saveexec_b64 s[2:3], vcc
	s_cbranch_execz .LBB127_283
; %bb.280:
	v_lshlrev_b32_e32 v10, 4, v202
	v_add_u32_e32 v7, 0x400, v10
	v_add_u32_e32 v201, 0, v10
	s_mov_b64 s[10:11], 0
.LBB127_281:                            ; =>This Inner Loop Header: Depth=1
	scratch_load_dwordx4 v[202:205], v201, off
	ds_read_b128 v[206:209], v7
	v_add_u32_e32 v6, -1, v6
	v_cmp_eq_u32_e32 vcc, 0, v6
	v_add_u32_e32 v7, 16, v7
	v_add_u32_e32 v201, 16, v201
	s_or_b64 s[10:11], vcc, s[10:11]
	s_waitcnt vmcnt(0) lgkmcnt(0)
	v_mul_f64 v[10:11], v[208:209], v[204:205]
	v_mul_f64 v[24:25], v[206:207], v[204:205]
	v_fma_f64 v[10:11], v[206:207], v[202:203], -v[10:11]
	v_fmac_f64_e32 v[24:25], v[208:209], v[202:203]
	v_add_f64 v[2:3], v[2:3], v[10:11]
	v_add_f64 v[4:5], v[4:5], v[24:25]
	s_andn2_b64 exec, exec, s[10:11]
	s_cbranch_execnz .LBB127_281
; %bb.282:
	s_or_b64 exec, exec, s[10:11]
.LBB127_283:
	s_or_b64 exec, exec, s[2:3]
.LBB127_284:
	s_or_b64 exec, exec, s[8:9]
	v_mov_b32_e32 v6, 0
	ds_read_b128 v[202:205], v6 offset:672
	s_waitcnt lgkmcnt(0)
	v_mul_f64 v[6:7], v[4:5], v[204:205]
	v_mul_f64 v[206:207], v[2:3], v[204:205]
	v_fma_f64 v[204:205], v[2:3], v[202:203], -v[6:7]
	v_fmac_f64_e32 v[206:207], v[4:5], v[202:203]
	scratch_store_dwordx4 off, v[204:207], off offset:672
.LBB127_285:
	s_or_b64 exec, exec, s[4:5]
	scratch_load_dwordx4 v[2:5], v160, off
	v_cmp_lt_u32_e64 s[2:3], 41, v0
	s_waitcnt vmcnt(0)
	ds_write_b128 v9, v[2:5]
	s_waitcnt lgkmcnt(0)
	; wave barrier
	s_waitcnt lgkmcnt(0)
	s_and_saveexec_b64 s[4:5], s[2:3]
	s_cbranch_execz .LBB127_299
; %bb.286:
	ds_read_b128 v[2:5], v9
	s_andn2_b64 vcc, exec, s[6:7]
	s_cbranch_vccnz .LBB127_288
; %bb.287:
	scratch_load_dwordx4 v[202:205], v8, off
	s_waitcnt vmcnt(0) lgkmcnt(0)
	v_mul_f64 v[10:11], v[2:3], v[204:205]
	v_mul_f64 v[6:7], v[4:5], v[204:205]
	v_fmac_f64_e32 v[10:11], v[4:5], v[202:203]
	v_fma_f64 v[2:3], v[2:3], v[202:203], -v[6:7]
	v_mov_b64_e32 v[4:5], v[10:11]
.LBB127_288:
	s_and_saveexec_b64 s[8:9], s[0:1]
	s_cbranch_execz .LBB127_298
; %bb.289:
	v_subrev_u32_e32 v7, 43, v0
	v_subrev_u32_e32 v6, 42, v0
	v_cmp_lt_u32_e32 vcc, 6, v7
	v_mov_b32_e32 v202, 42
	s_and_saveexec_b64 s[0:1], vcc
	s_cbranch_execz .LBB127_293
; %bb.290:
	v_and_b32_e32 v7, -8, v6
	s_mov_b32 s12, 0
	s_mov_b64 s[10:11], 0
	v_mov_b32_e32 v201, 0
	s_mov_b32 s13, 0
.LBB127_291:                            ; =>This Inner Loop Header: Depth=1
	v_readfirstlane_b32 s14, v201
	s_add_i32 s14, s14, s12
	s_add_i32 s15, s14, 0x2a0
	v_mov_b32_e32 v28, s12
	ds_read_b128 v[202:205], v28 offset:1696
	ds_read_b128 v[206:209], v28 offset:1712
	;; [unrolled: 1-line block ×4, first 2 shown]
	scratch_load_dwordx4 v[218:221], off, s15
	s_add_i32 s15, s14, 0x2b0
	s_addk_i32 s12, 0x80
	s_waitcnt vmcnt(0) lgkmcnt(3)
	v_mul_f64 v[10:11], v[204:205], v[220:221]
	v_mul_f64 v[24:25], v[202:203], v[220:221]
	v_fma_f64 v[10:11], v[202:203], v[218:219], -v[10:11]
	v_fmac_f64_e32 v[24:25], v[204:205], v[218:219]
	v_add_f64 v[10:11], v[2:3], v[10:11]
	v_add_f64 v[24:25], v[4:5], v[24:25]
	scratch_load_dwordx4 v[2:5], off, s15
	s_add_i32 s15, s14, 0x2c0
	s_waitcnt vmcnt(0) lgkmcnt(2)
	v_mul_f64 v[26:27], v[208:209], v[4:5]
	v_mul_f64 v[4:5], v[206:207], v[4:5]
	v_fmac_f64_e32 v[4:5], v[208:209], v[2:3]
	v_fma_f64 v[26:27], v[206:207], v[2:3], -v[26:27]
	v_add_f64 v[24:25], v[24:25], v[4:5]
	scratch_load_dwordx4 v[2:5], off, s15
	v_add_f64 v[10:11], v[10:11], v[26:27]
	s_add_i32 s15, s14, 0x2d0
	s_waitcnt vmcnt(0) lgkmcnt(1)
	v_mul_f64 v[26:27], v[212:213], v[4:5]
	v_mul_f64 v[4:5], v[210:211], v[4:5]
	v_fmac_f64_e32 v[4:5], v[212:213], v[2:3]
	v_fma_f64 v[26:27], v[210:211], v[2:3], -v[26:27]
	v_add_f64 v[24:25], v[24:25], v[4:5]
	scratch_load_dwordx4 v[2:5], off, s15
	s_add_i32 s15, s14, 0x2e0
	scratch_load_dwordx4 v[202:205], off, s15
	v_add_f64 v[10:11], v[10:11], v[26:27]
	s_add_i32 s15, s14, 0x2f0
	s_waitcnt vmcnt(1) lgkmcnt(0)
	v_mul_f64 v[26:27], v[216:217], v[4:5]
	v_mul_f64 v[4:5], v[214:215], v[4:5]
	v_fmac_f64_e32 v[4:5], v[216:217], v[2:3]
	v_fma_f64 v[26:27], v[214:215], v[2:3], -v[26:27]
	v_add_f64 v[24:25], v[24:25], v[4:5]
	ds_read_b128 v[2:5], v28 offset:1760
	v_add_f64 v[10:11], v[10:11], v[26:27]
	s_waitcnt vmcnt(0) lgkmcnt(0)
	v_mul_f64 v[26:27], v[4:5], v[204:205]
	v_fma_f64 v[26:27], v[2:3], v[202:203], -v[26:27]
	v_mul_f64 v[2:3], v[2:3], v[204:205]
	v_fmac_f64_e32 v[2:3], v[4:5], v[202:203]
	scratch_load_dwordx4 v[202:205], off, s15
	v_add_f64 v[24:25], v[24:25], v[2:3]
	ds_read_b128 v[2:5], v28 offset:1776
	v_add_f64 v[10:11], v[10:11], v[26:27]
	s_add_i32 s15, s14, 0x300
	s_addk_i32 s14, 0x310
	s_waitcnt vmcnt(0) lgkmcnt(0)
	v_mul_f64 v[26:27], v[4:5], v[204:205]
	v_fma_f64 v[26:27], v[2:3], v[202:203], -v[26:27]
	v_mul_f64 v[2:3], v[2:3], v[204:205]
	v_fmac_f64_e32 v[2:3], v[4:5], v[202:203]
	scratch_load_dwordx4 v[202:205], off, s15
	v_add_f64 v[24:25], v[24:25], v[2:3]
	ds_read_b128 v[2:5], v28 offset:1792
	v_add_f64 v[10:11], v[10:11], v[26:27]
	s_waitcnt vmcnt(0) lgkmcnt(0)
	v_mul_f64 v[26:27], v[4:5], v[204:205]
	v_fma_f64 v[26:27], v[2:3], v[202:203], -v[26:27]
	v_mul_f64 v[2:3], v[2:3], v[204:205]
	v_fmac_f64_e32 v[2:3], v[4:5], v[202:203]
	scratch_load_dwordx4 v[202:205], off, s14
	v_add_f64 v[24:25], v[24:25], v[2:3]
	ds_read_b128 v[2:5], v28 offset:1808
	v_add_f64 v[10:11], v[10:11], v[26:27]
	s_add_i32 s14, s13, 8
	v_cmp_eq_u32_e32 vcc, s14, v7
	s_add_i32 s13, s13, 50
	s_or_b64 s[10:11], vcc, s[10:11]
	s_waitcnt vmcnt(0) lgkmcnt(0)
	v_mul_f64 v[26:27], v[4:5], v[204:205]
	v_mul_f64 v[28:29], v[2:3], v[204:205]
	v_fma_f64 v[26:27], v[2:3], v[202:203], -v[26:27]
	v_fmac_f64_e32 v[28:29], v[4:5], v[202:203]
	v_add_f64 v[2:3], v[10:11], v[26:27]
	v_add_f64 v[4:5], v[24:25], v[28:29]
	v_mov_b32_e32 v202, s13
	s_mov_b32 s13, s14
	s_andn2_b64 exec, exec, s[10:11]
	s_cbranch_execnz .LBB127_291
; %bb.292:
	s_or_b64 exec, exec, s[10:11]
.LBB127_293:
	s_or_b64 exec, exec, s[0:1]
	v_and_b32_e32 v6, 7, v6
	v_cmp_ne_u32_e32 vcc, 0, v6
	s_and_saveexec_b64 s[0:1], vcc
	s_cbranch_execz .LBB127_297
; %bb.294:
	v_lshlrev_b32_e32 v10, 4, v202
	v_add_u32_e32 v7, 0x400, v10
	v_add_u32_e32 v201, 0, v10
	s_mov_b64 s[10:11], 0
.LBB127_295:                            ; =>This Inner Loop Header: Depth=1
	scratch_load_dwordx4 v[202:205], v201, off
	ds_read_b128 v[206:209], v7
	v_add_u32_e32 v6, -1, v6
	v_cmp_eq_u32_e32 vcc, 0, v6
	v_add_u32_e32 v7, 16, v7
	v_add_u32_e32 v201, 16, v201
	s_or_b64 s[10:11], vcc, s[10:11]
	s_waitcnt vmcnt(0) lgkmcnt(0)
	v_mul_f64 v[10:11], v[208:209], v[204:205]
	v_mul_f64 v[24:25], v[206:207], v[204:205]
	v_fma_f64 v[10:11], v[206:207], v[202:203], -v[10:11]
	v_fmac_f64_e32 v[24:25], v[208:209], v[202:203]
	v_add_f64 v[2:3], v[2:3], v[10:11]
	v_add_f64 v[4:5], v[4:5], v[24:25]
	s_andn2_b64 exec, exec, s[10:11]
	s_cbranch_execnz .LBB127_295
; %bb.296:
	s_or_b64 exec, exec, s[10:11]
.LBB127_297:
	s_or_b64 exec, exec, s[0:1]
.LBB127_298:
	s_or_b64 exec, exec, s[8:9]
	v_mov_b32_e32 v6, 0
	ds_read_b128 v[202:205], v6 offset:656
	s_waitcnt lgkmcnt(0)
	v_mul_f64 v[6:7], v[4:5], v[204:205]
	v_mul_f64 v[206:207], v[2:3], v[204:205]
	v_fma_f64 v[204:205], v[2:3], v[202:203], -v[6:7]
	v_fmac_f64_e32 v[206:207], v[4:5], v[202:203]
	scratch_store_dwordx4 off, v[204:207], off offset:656
.LBB127_299:
	s_or_b64 exec, exec, s[4:5]
	scratch_load_dwordx4 v[2:5], v161, off
	v_cmp_lt_u32_e64 s[0:1], 40, v0
	s_waitcnt vmcnt(0)
	ds_write_b128 v9, v[2:5]
	s_waitcnt lgkmcnt(0)
	; wave barrier
	s_waitcnt lgkmcnt(0)
	s_and_saveexec_b64 s[4:5], s[0:1]
	s_cbranch_execz .LBB127_313
; %bb.300:
	ds_read_b128 v[2:5], v9
	s_andn2_b64 vcc, exec, s[6:7]
	s_cbranch_vccnz .LBB127_302
; %bb.301:
	scratch_load_dwordx4 v[202:205], v8, off
	s_waitcnt vmcnt(0) lgkmcnt(0)
	v_mul_f64 v[10:11], v[2:3], v[204:205]
	v_mul_f64 v[6:7], v[4:5], v[204:205]
	v_fmac_f64_e32 v[10:11], v[4:5], v[202:203]
	v_fma_f64 v[2:3], v[2:3], v[202:203], -v[6:7]
	v_mov_b64_e32 v[4:5], v[10:11]
.LBB127_302:
	s_and_saveexec_b64 s[8:9], s[2:3]
	s_cbranch_execz .LBB127_312
; %bb.303:
	v_subrev_u32_e32 v7, 42, v0
	v_subrev_u32_e32 v6, 41, v0
	v_cmp_lt_u32_e32 vcc, 6, v7
	v_mov_b32_e32 v202, 41
	s_and_saveexec_b64 s[2:3], vcc
	s_cbranch_execz .LBB127_307
; %bb.304:
	v_and_b32_e32 v7, -8, v6
	s_mov_b32 s12, 0
	s_mov_b64 s[10:11], 0
	v_mov_b32_e32 v201, 0
	s_mov_b32 s13, 0
.LBB127_305:                            ; =>This Inner Loop Header: Depth=1
	v_readfirstlane_b32 s14, v201
	s_add_i32 s14, s14, s12
	s_add_i32 s15, s14, 0x290
	v_mov_b32_e32 v28, s12
	ds_read_b128 v[202:205], v28 offset:1680
	ds_read_b128 v[206:209], v28 offset:1696
	ds_read_b128 v[210:213], v28 offset:1712
	ds_read_b128 v[214:217], v28 offset:1728
	scratch_load_dwordx4 v[218:221], off, s15
	s_add_i32 s15, s14, 0x2a0
	s_addk_i32 s12, 0x80
	s_waitcnt vmcnt(0) lgkmcnt(3)
	v_mul_f64 v[10:11], v[204:205], v[220:221]
	v_mul_f64 v[24:25], v[202:203], v[220:221]
	v_fma_f64 v[10:11], v[202:203], v[218:219], -v[10:11]
	v_fmac_f64_e32 v[24:25], v[204:205], v[218:219]
	v_add_f64 v[10:11], v[2:3], v[10:11]
	v_add_f64 v[24:25], v[4:5], v[24:25]
	scratch_load_dwordx4 v[2:5], off, s15
	s_add_i32 s15, s14, 0x2b0
	s_waitcnt vmcnt(0) lgkmcnt(2)
	v_mul_f64 v[26:27], v[208:209], v[4:5]
	v_mul_f64 v[4:5], v[206:207], v[4:5]
	v_fmac_f64_e32 v[4:5], v[208:209], v[2:3]
	v_fma_f64 v[26:27], v[206:207], v[2:3], -v[26:27]
	v_add_f64 v[24:25], v[24:25], v[4:5]
	scratch_load_dwordx4 v[2:5], off, s15
	v_add_f64 v[10:11], v[10:11], v[26:27]
	s_add_i32 s15, s14, 0x2c0
	s_waitcnt vmcnt(0) lgkmcnt(1)
	v_mul_f64 v[26:27], v[212:213], v[4:5]
	v_mul_f64 v[4:5], v[210:211], v[4:5]
	v_fmac_f64_e32 v[4:5], v[212:213], v[2:3]
	v_fma_f64 v[26:27], v[210:211], v[2:3], -v[26:27]
	v_add_f64 v[24:25], v[24:25], v[4:5]
	scratch_load_dwordx4 v[2:5], off, s15
	s_add_i32 s15, s14, 0x2d0
	scratch_load_dwordx4 v[202:205], off, s15
	v_add_f64 v[10:11], v[10:11], v[26:27]
	s_add_i32 s15, s14, 0x2e0
	s_waitcnt vmcnt(1) lgkmcnt(0)
	v_mul_f64 v[26:27], v[216:217], v[4:5]
	v_mul_f64 v[4:5], v[214:215], v[4:5]
	v_fmac_f64_e32 v[4:5], v[216:217], v[2:3]
	v_fma_f64 v[26:27], v[214:215], v[2:3], -v[26:27]
	v_add_f64 v[24:25], v[24:25], v[4:5]
	ds_read_b128 v[2:5], v28 offset:1744
	v_add_f64 v[10:11], v[10:11], v[26:27]
	s_waitcnt vmcnt(0) lgkmcnt(0)
	v_mul_f64 v[26:27], v[4:5], v[204:205]
	v_fma_f64 v[26:27], v[2:3], v[202:203], -v[26:27]
	v_mul_f64 v[2:3], v[2:3], v[204:205]
	v_fmac_f64_e32 v[2:3], v[4:5], v[202:203]
	scratch_load_dwordx4 v[202:205], off, s15
	v_add_f64 v[24:25], v[24:25], v[2:3]
	ds_read_b128 v[2:5], v28 offset:1760
	v_add_f64 v[10:11], v[10:11], v[26:27]
	s_add_i32 s15, s14, 0x2f0
	s_addk_i32 s14, 0x300
	s_waitcnt vmcnt(0) lgkmcnt(0)
	v_mul_f64 v[26:27], v[4:5], v[204:205]
	v_fma_f64 v[26:27], v[2:3], v[202:203], -v[26:27]
	v_mul_f64 v[2:3], v[2:3], v[204:205]
	v_fmac_f64_e32 v[2:3], v[4:5], v[202:203]
	scratch_load_dwordx4 v[202:205], off, s15
	v_add_f64 v[24:25], v[24:25], v[2:3]
	ds_read_b128 v[2:5], v28 offset:1776
	v_add_f64 v[10:11], v[10:11], v[26:27]
	s_waitcnt vmcnt(0) lgkmcnt(0)
	v_mul_f64 v[26:27], v[4:5], v[204:205]
	v_fma_f64 v[26:27], v[2:3], v[202:203], -v[26:27]
	v_mul_f64 v[2:3], v[2:3], v[204:205]
	v_fmac_f64_e32 v[2:3], v[4:5], v[202:203]
	scratch_load_dwordx4 v[202:205], off, s14
	v_add_f64 v[24:25], v[24:25], v[2:3]
	ds_read_b128 v[2:5], v28 offset:1792
	v_add_f64 v[10:11], v[10:11], v[26:27]
	s_add_i32 s14, s13, 8
	v_cmp_eq_u32_e32 vcc, s14, v7
	s_add_i32 s13, s13, 49
	s_or_b64 s[10:11], vcc, s[10:11]
	s_waitcnt vmcnt(0) lgkmcnt(0)
	v_mul_f64 v[26:27], v[4:5], v[204:205]
	v_mul_f64 v[28:29], v[2:3], v[204:205]
	v_fma_f64 v[26:27], v[2:3], v[202:203], -v[26:27]
	v_fmac_f64_e32 v[28:29], v[4:5], v[202:203]
	v_add_f64 v[2:3], v[10:11], v[26:27]
	v_add_f64 v[4:5], v[24:25], v[28:29]
	v_mov_b32_e32 v202, s13
	s_mov_b32 s13, s14
	s_andn2_b64 exec, exec, s[10:11]
	s_cbranch_execnz .LBB127_305
; %bb.306:
	s_or_b64 exec, exec, s[10:11]
.LBB127_307:
	s_or_b64 exec, exec, s[2:3]
	v_and_b32_e32 v6, 7, v6
	v_cmp_ne_u32_e32 vcc, 0, v6
	s_and_saveexec_b64 s[2:3], vcc
	s_cbranch_execz .LBB127_311
; %bb.308:
	v_lshlrev_b32_e32 v10, 4, v202
	v_add_u32_e32 v7, 0x400, v10
	v_add_u32_e32 v201, 0, v10
	s_mov_b64 s[10:11], 0
.LBB127_309:                            ; =>This Inner Loop Header: Depth=1
	scratch_load_dwordx4 v[202:205], v201, off
	ds_read_b128 v[206:209], v7
	v_add_u32_e32 v6, -1, v6
	v_cmp_eq_u32_e32 vcc, 0, v6
	v_add_u32_e32 v7, 16, v7
	v_add_u32_e32 v201, 16, v201
	s_or_b64 s[10:11], vcc, s[10:11]
	s_waitcnt vmcnt(0) lgkmcnt(0)
	v_mul_f64 v[10:11], v[208:209], v[204:205]
	v_mul_f64 v[24:25], v[206:207], v[204:205]
	v_fma_f64 v[10:11], v[206:207], v[202:203], -v[10:11]
	v_fmac_f64_e32 v[24:25], v[208:209], v[202:203]
	v_add_f64 v[2:3], v[2:3], v[10:11]
	v_add_f64 v[4:5], v[4:5], v[24:25]
	s_andn2_b64 exec, exec, s[10:11]
	s_cbranch_execnz .LBB127_309
; %bb.310:
	s_or_b64 exec, exec, s[10:11]
.LBB127_311:
	s_or_b64 exec, exec, s[2:3]
.LBB127_312:
	s_or_b64 exec, exec, s[8:9]
	v_mov_b32_e32 v6, 0
	ds_read_b128 v[202:205], v6 offset:640
	s_waitcnt lgkmcnt(0)
	v_mul_f64 v[6:7], v[4:5], v[204:205]
	v_mul_f64 v[206:207], v[2:3], v[204:205]
	v_fma_f64 v[204:205], v[2:3], v[202:203], -v[6:7]
	v_fmac_f64_e32 v[206:207], v[4:5], v[202:203]
	scratch_store_dwordx4 off, v[204:207], off offset:640
.LBB127_313:
	s_or_b64 exec, exec, s[4:5]
	scratch_load_dwordx4 v[2:5], v162, off
	v_cmp_lt_u32_e64 s[2:3], 39, v0
	s_waitcnt vmcnt(0)
	ds_write_b128 v9, v[2:5]
	s_waitcnt lgkmcnt(0)
	; wave barrier
	s_waitcnt lgkmcnt(0)
	s_and_saveexec_b64 s[4:5], s[2:3]
	s_cbranch_execz .LBB127_327
; %bb.314:
	ds_read_b128 v[2:5], v9
	s_andn2_b64 vcc, exec, s[6:7]
	s_cbranch_vccnz .LBB127_316
; %bb.315:
	scratch_load_dwordx4 v[202:205], v8, off
	s_waitcnt vmcnt(0) lgkmcnt(0)
	v_mul_f64 v[10:11], v[2:3], v[204:205]
	v_mul_f64 v[6:7], v[4:5], v[204:205]
	v_fmac_f64_e32 v[10:11], v[4:5], v[202:203]
	v_fma_f64 v[2:3], v[2:3], v[202:203], -v[6:7]
	v_mov_b64_e32 v[4:5], v[10:11]
.LBB127_316:
	s_and_saveexec_b64 s[8:9], s[0:1]
	s_cbranch_execz .LBB127_326
; %bb.317:
	v_subrev_u32_e32 v6, 41, v0
	v_cmp_lt_u32_e32 vcc, 6, v6
	v_mov_b32_e32 v6, 40
	s_and_saveexec_b64 s[0:1], vcc
	s_cbranch_execz .LBB127_321
; %bb.318:
	v_and_b32_e32 v6, 56, v0
	s_mov_b32 s12, 40
	s_mov_b32 s13, 0
	s_mov_b64 s[10:11], 0
	v_mov_b32_e32 v7, 0
.LBB127_319:                            ; =>This Inner Loop Header: Depth=1
	s_nop 0
	v_readfirstlane_b32 s14, v7
	s_add_i32 s14, s14, s13
	s_add_i32 s15, s14, 0x280
	v_mov_b32_e32 v28, s13
	ds_read_b128 v[202:205], v28 offset:1664
	ds_read_b128 v[206:209], v28 offset:1680
	;; [unrolled: 1-line block ×4, first 2 shown]
	scratch_load_dwordx4 v[218:221], off, s15
	s_add_i32 s15, s14, 0x290
	s_add_i32 s12, s12, 8
	s_addk_i32 s13, 0x80
	v_cmp_eq_u32_e32 vcc, s12, v6
	s_waitcnt vmcnt(0) lgkmcnt(3)
	v_mul_f64 v[10:11], v[204:205], v[220:221]
	v_mul_f64 v[24:25], v[202:203], v[220:221]
	v_fma_f64 v[10:11], v[202:203], v[218:219], -v[10:11]
	v_fmac_f64_e32 v[24:25], v[204:205], v[218:219]
	v_add_f64 v[10:11], v[2:3], v[10:11]
	v_add_f64 v[24:25], v[4:5], v[24:25]
	scratch_load_dwordx4 v[2:5], off, s15
	s_add_i32 s15, s14, 0x2a0
	s_waitcnt vmcnt(0) lgkmcnt(2)
	v_mul_f64 v[26:27], v[208:209], v[4:5]
	v_mul_f64 v[4:5], v[206:207], v[4:5]
	v_fmac_f64_e32 v[4:5], v[208:209], v[2:3]
	v_fma_f64 v[26:27], v[206:207], v[2:3], -v[26:27]
	v_add_f64 v[24:25], v[24:25], v[4:5]
	scratch_load_dwordx4 v[2:5], off, s15
	v_add_f64 v[10:11], v[10:11], v[26:27]
	s_add_i32 s15, s14, 0x2b0
	s_waitcnt vmcnt(0) lgkmcnt(1)
	v_mul_f64 v[26:27], v[212:213], v[4:5]
	v_mul_f64 v[4:5], v[210:211], v[4:5]
	v_fmac_f64_e32 v[4:5], v[212:213], v[2:3]
	v_fma_f64 v[26:27], v[210:211], v[2:3], -v[26:27]
	v_add_f64 v[24:25], v[24:25], v[4:5]
	scratch_load_dwordx4 v[2:5], off, s15
	s_add_i32 s15, s14, 0x2c0
	scratch_load_dwordx4 v[202:205], off, s15
	v_add_f64 v[10:11], v[10:11], v[26:27]
	s_add_i32 s15, s14, 0x2d0
	s_waitcnt vmcnt(1) lgkmcnt(0)
	v_mul_f64 v[26:27], v[216:217], v[4:5]
	v_mul_f64 v[4:5], v[214:215], v[4:5]
	v_fmac_f64_e32 v[4:5], v[216:217], v[2:3]
	v_fma_f64 v[26:27], v[214:215], v[2:3], -v[26:27]
	v_add_f64 v[24:25], v[24:25], v[4:5]
	ds_read_b128 v[2:5], v28 offset:1728
	v_add_f64 v[10:11], v[10:11], v[26:27]
	s_waitcnt vmcnt(0) lgkmcnt(0)
	v_mul_f64 v[26:27], v[4:5], v[204:205]
	v_fma_f64 v[26:27], v[2:3], v[202:203], -v[26:27]
	v_mul_f64 v[2:3], v[2:3], v[204:205]
	v_fmac_f64_e32 v[2:3], v[4:5], v[202:203]
	scratch_load_dwordx4 v[202:205], off, s15
	v_add_f64 v[24:25], v[24:25], v[2:3]
	ds_read_b128 v[2:5], v28 offset:1744
	v_add_f64 v[10:11], v[10:11], v[26:27]
	s_add_i32 s15, s14, 0x2e0
	s_addk_i32 s14, 0x2f0
	s_or_b64 s[10:11], vcc, s[10:11]
	s_waitcnt vmcnt(0) lgkmcnt(0)
	v_mul_f64 v[26:27], v[4:5], v[204:205]
	v_fma_f64 v[26:27], v[2:3], v[202:203], -v[26:27]
	v_mul_f64 v[2:3], v[2:3], v[204:205]
	v_fmac_f64_e32 v[2:3], v[4:5], v[202:203]
	scratch_load_dwordx4 v[202:205], off, s15
	v_add_f64 v[24:25], v[24:25], v[2:3]
	ds_read_b128 v[2:5], v28 offset:1760
	v_add_f64 v[10:11], v[10:11], v[26:27]
	s_waitcnt vmcnt(0) lgkmcnt(0)
	v_mul_f64 v[26:27], v[4:5], v[204:205]
	v_fma_f64 v[26:27], v[2:3], v[202:203], -v[26:27]
	v_mul_f64 v[2:3], v[2:3], v[204:205]
	v_fmac_f64_e32 v[2:3], v[4:5], v[202:203]
	scratch_load_dwordx4 v[202:205], off, s14
	v_add_f64 v[24:25], v[24:25], v[2:3]
	ds_read_b128 v[2:5], v28 offset:1776
	v_add_f64 v[10:11], v[10:11], v[26:27]
	s_waitcnt vmcnt(0) lgkmcnt(0)
	v_mul_f64 v[26:27], v[4:5], v[204:205]
	v_mul_f64 v[28:29], v[2:3], v[204:205]
	v_fma_f64 v[26:27], v[2:3], v[202:203], -v[26:27]
	v_fmac_f64_e32 v[28:29], v[4:5], v[202:203]
	v_add_f64 v[2:3], v[10:11], v[26:27]
	v_add_f64 v[4:5], v[24:25], v[28:29]
	s_andn2_b64 exec, exec, s[10:11]
	s_cbranch_execnz .LBB127_319
; %bb.320:
	s_or_b64 exec, exec, s[10:11]
.LBB127_321:
	s_or_b64 exec, exec, s[0:1]
	v_and_b32_e32 v7, 7, v0
	v_cmp_ne_u32_e32 vcc, 0, v7
	s_and_saveexec_b64 s[0:1], vcc
	s_cbranch_execz .LBB127_325
; %bb.322:
	v_lshlrev_b32_e32 v10, 4, v6
	v_or_b32_e32 v6, 0x400, v10
	v_add_u32_e32 v201, 0, v10
	s_mov_b64 s[10:11], 0
.LBB127_323:                            ; =>This Inner Loop Header: Depth=1
	scratch_load_dwordx4 v[202:205], v201, off
	ds_read_b128 v[206:209], v6
	v_add_u32_e32 v7, -1, v7
	v_cmp_eq_u32_e32 vcc, 0, v7
	v_add_u32_e32 v6, 16, v6
	v_add_u32_e32 v201, 16, v201
	s_or_b64 s[10:11], vcc, s[10:11]
	s_waitcnt vmcnt(0) lgkmcnt(0)
	v_mul_f64 v[10:11], v[208:209], v[204:205]
	v_mul_f64 v[24:25], v[206:207], v[204:205]
	v_fma_f64 v[10:11], v[206:207], v[202:203], -v[10:11]
	v_fmac_f64_e32 v[24:25], v[208:209], v[202:203]
	v_add_f64 v[2:3], v[2:3], v[10:11]
	v_add_f64 v[4:5], v[4:5], v[24:25]
	s_andn2_b64 exec, exec, s[10:11]
	s_cbranch_execnz .LBB127_323
; %bb.324:
	s_or_b64 exec, exec, s[10:11]
.LBB127_325:
	s_or_b64 exec, exec, s[0:1]
.LBB127_326:
	s_or_b64 exec, exec, s[8:9]
	v_mov_b32_e32 v6, 0
	ds_read_b128 v[202:205], v6 offset:624
	s_waitcnt lgkmcnt(0)
	v_mul_f64 v[6:7], v[4:5], v[204:205]
	v_mul_f64 v[206:207], v[2:3], v[204:205]
	v_fma_f64 v[204:205], v[2:3], v[202:203], -v[6:7]
	v_fmac_f64_e32 v[206:207], v[4:5], v[202:203]
	scratch_store_dwordx4 off, v[204:207], off offset:624
.LBB127_327:
	s_or_b64 exec, exec, s[4:5]
	scratch_load_dwordx4 v[2:5], v163, off
	v_cmp_lt_u32_e64 s[0:1], 38, v0
	s_waitcnt vmcnt(0)
	ds_write_b128 v9, v[2:5]
	s_waitcnt lgkmcnt(0)
	; wave barrier
	s_waitcnt lgkmcnt(0)
	s_and_saveexec_b64 s[4:5], s[0:1]
	s_cbranch_execz .LBB127_341
; %bb.328:
	ds_read_b128 v[2:5], v9
	s_andn2_b64 vcc, exec, s[6:7]
	s_cbranch_vccnz .LBB127_330
; %bb.329:
	scratch_load_dwordx4 v[202:205], v8, off
	s_waitcnt vmcnt(0) lgkmcnt(0)
	v_mul_f64 v[10:11], v[2:3], v[204:205]
	v_mul_f64 v[6:7], v[4:5], v[204:205]
	v_fmac_f64_e32 v[10:11], v[4:5], v[202:203]
	v_fma_f64 v[2:3], v[2:3], v[202:203], -v[6:7]
	v_mov_b64_e32 v[4:5], v[10:11]
.LBB127_330:
	s_and_saveexec_b64 s[8:9], s[2:3]
	s_cbranch_execz .LBB127_340
; %bb.331:
	v_subrev_u32_e32 v7, 40, v0
	v_subrev_u32_e32 v6, 39, v0
	v_cmp_lt_u32_e32 vcc, 6, v7
	v_mov_b32_e32 v202, 39
	s_and_saveexec_b64 s[2:3], vcc
	s_cbranch_execz .LBB127_335
; %bb.332:
	v_and_b32_e32 v7, -8, v6
	s_mov_b32 s12, 0
	s_mov_b64 s[10:11], 0
	v_mov_b32_e32 v201, 0
	s_mov_b32 s13, 0
.LBB127_333:                            ; =>This Inner Loop Header: Depth=1
	v_readfirstlane_b32 s14, v201
	s_add_i32 s14, s14, s12
	s_add_i32 s15, s14, 0x270
	v_mov_b32_e32 v28, s12
	ds_read_b128 v[202:205], v28 offset:1648
	ds_read_b128 v[206:209], v28 offset:1664
	;; [unrolled: 1-line block ×4, first 2 shown]
	scratch_load_dwordx4 v[218:221], off, s15
	s_add_i32 s15, s14, 0x280
	s_addk_i32 s12, 0x80
	s_waitcnt vmcnt(0) lgkmcnt(3)
	v_mul_f64 v[10:11], v[204:205], v[220:221]
	v_mul_f64 v[24:25], v[202:203], v[220:221]
	v_fma_f64 v[10:11], v[202:203], v[218:219], -v[10:11]
	v_fmac_f64_e32 v[24:25], v[204:205], v[218:219]
	v_add_f64 v[10:11], v[2:3], v[10:11]
	v_add_f64 v[24:25], v[4:5], v[24:25]
	scratch_load_dwordx4 v[2:5], off, s15
	s_add_i32 s15, s14, 0x290
	s_waitcnt vmcnt(0) lgkmcnt(2)
	v_mul_f64 v[26:27], v[208:209], v[4:5]
	v_mul_f64 v[4:5], v[206:207], v[4:5]
	v_fmac_f64_e32 v[4:5], v[208:209], v[2:3]
	v_fma_f64 v[26:27], v[206:207], v[2:3], -v[26:27]
	v_add_f64 v[24:25], v[24:25], v[4:5]
	scratch_load_dwordx4 v[2:5], off, s15
	v_add_f64 v[10:11], v[10:11], v[26:27]
	s_add_i32 s15, s14, 0x2a0
	s_waitcnt vmcnt(0) lgkmcnt(1)
	v_mul_f64 v[26:27], v[212:213], v[4:5]
	v_mul_f64 v[4:5], v[210:211], v[4:5]
	v_fmac_f64_e32 v[4:5], v[212:213], v[2:3]
	v_fma_f64 v[26:27], v[210:211], v[2:3], -v[26:27]
	v_add_f64 v[24:25], v[24:25], v[4:5]
	scratch_load_dwordx4 v[2:5], off, s15
	s_add_i32 s15, s14, 0x2b0
	scratch_load_dwordx4 v[202:205], off, s15
	v_add_f64 v[10:11], v[10:11], v[26:27]
	s_add_i32 s15, s14, 0x2c0
	s_waitcnt vmcnt(1) lgkmcnt(0)
	v_mul_f64 v[26:27], v[216:217], v[4:5]
	v_mul_f64 v[4:5], v[214:215], v[4:5]
	v_fmac_f64_e32 v[4:5], v[216:217], v[2:3]
	v_fma_f64 v[26:27], v[214:215], v[2:3], -v[26:27]
	v_add_f64 v[24:25], v[24:25], v[4:5]
	ds_read_b128 v[2:5], v28 offset:1712
	v_add_f64 v[10:11], v[10:11], v[26:27]
	s_waitcnt vmcnt(0) lgkmcnt(0)
	v_mul_f64 v[26:27], v[4:5], v[204:205]
	v_fma_f64 v[26:27], v[2:3], v[202:203], -v[26:27]
	v_mul_f64 v[2:3], v[2:3], v[204:205]
	v_fmac_f64_e32 v[2:3], v[4:5], v[202:203]
	scratch_load_dwordx4 v[202:205], off, s15
	v_add_f64 v[24:25], v[24:25], v[2:3]
	ds_read_b128 v[2:5], v28 offset:1728
	v_add_f64 v[10:11], v[10:11], v[26:27]
	s_add_i32 s15, s14, 0x2d0
	s_addk_i32 s14, 0x2e0
	s_waitcnt vmcnt(0) lgkmcnt(0)
	v_mul_f64 v[26:27], v[4:5], v[204:205]
	v_fma_f64 v[26:27], v[2:3], v[202:203], -v[26:27]
	v_mul_f64 v[2:3], v[2:3], v[204:205]
	v_fmac_f64_e32 v[2:3], v[4:5], v[202:203]
	scratch_load_dwordx4 v[202:205], off, s15
	v_add_f64 v[24:25], v[24:25], v[2:3]
	ds_read_b128 v[2:5], v28 offset:1744
	v_add_f64 v[10:11], v[10:11], v[26:27]
	s_waitcnt vmcnt(0) lgkmcnt(0)
	v_mul_f64 v[26:27], v[4:5], v[204:205]
	v_fma_f64 v[26:27], v[2:3], v[202:203], -v[26:27]
	v_mul_f64 v[2:3], v[2:3], v[204:205]
	v_fmac_f64_e32 v[2:3], v[4:5], v[202:203]
	scratch_load_dwordx4 v[202:205], off, s14
	v_add_f64 v[24:25], v[24:25], v[2:3]
	ds_read_b128 v[2:5], v28 offset:1760
	v_add_f64 v[10:11], v[10:11], v[26:27]
	s_add_i32 s14, s13, 8
	v_cmp_eq_u32_e32 vcc, s14, v7
	s_add_i32 s13, s13, 47
	s_or_b64 s[10:11], vcc, s[10:11]
	s_waitcnt vmcnt(0) lgkmcnt(0)
	v_mul_f64 v[26:27], v[4:5], v[204:205]
	v_mul_f64 v[28:29], v[2:3], v[204:205]
	v_fma_f64 v[26:27], v[2:3], v[202:203], -v[26:27]
	v_fmac_f64_e32 v[28:29], v[4:5], v[202:203]
	v_add_f64 v[2:3], v[10:11], v[26:27]
	v_add_f64 v[4:5], v[24:25], v[28:29]
	v_mov_b32_e32 v202, s13
	s_mov_b32 s13, s14
	s_andn2_b64 exec, exec, s[10:11]
	s_cbranch_execnz .LBB127_333
; %bb.334:
	s_or_b64 exec, exec, s[10:11]
.LBB127_335:
	s_or_b64 exec, exec, s[2:3]
	v_and_b32_e32 v6, 7, v6
	v_cmp_ne_u32_e32 vcc, 0, v6
	s_and_saveexec_b64 s[2:3], vcc
	s_cbranch_execz .LBB127_339
; %bb.336:
	v_lshlrev_b32_e32 v10, 4, v202
	v_add_u32_e32 v7, 0x400, v10
	v_add_u32_e32 v201, 0, v10
	s_mov_b64 s[10:11], 0
.LBB127_337:                            ; =>This Inner Loop Header: Depth=1
	scratch_load_dwordx4 v[202:205], v201, off
	ds_read_b128 v[206:209], v7
	v_add_u32_e32 v6, -1, v6
	v_cmp_eq_u32_e32 vcc, 0, v6
	v_add_u32_e32 v7, 16, v7
	v_add_u32_e32 v201, 16, v201
	s_or_b64 s[10:11], vcc, s[10:11]
	s_waitcnt vmcnt(0) lgkmcnt(0)
	v_mul_f64 v[10:11], v[208:209], v[204:205]
	v_mul_f64 v[24:25], v[206:207], v[204:205]
	v_fma_f64 v[10:11], v[206:207], v[202:203], -v[10:11]
	v_fmac_f64_e32 v[24:25], v[208:209], v[202:203]
	v_add_f64 v[2:3], v[2:3], v[10:11]
	v_add_f64 v[4:5], v[4:5], v[24:25]
	s_andn2_b64 exec, exec, s[10:11]
	s_cbranch_execnz .LBB127_337
; %bb.338:
	s_or_b64 exec, exec, s[10:11]
.LBB127_339:
	s_or_b64 exec, exec, s[2:3]
.LBB127_340:
	s_or_b64 exec, exec, s[8:9]
	v_mov_b32_e32 v6, 0
	ds_read_b128 v[202:205], v6 offset:608
	s_waitcnt lgkmcnt(0)
	v_mul_f64 v[6:7], v[4:5], v[204:205]
	v_mul_f64 v[206:207], v[2:3], v[204:205]
	v_fma_f64 v[204:205], v[2:3], v[202:203], -v[6:7]
	v_fmac_f64_e32 v[206:207], v[4:5], v[202:203]
	scratch_store_dwordx4 off, v[204:207], off offset:608
.LBB127_341:
	s_or_b64 exec, exec, s[4:5]
	scratch_load_dwordx4 v[2:5], v164, off
	v_cmp_lt_u32_e64 s[2:3], 37, v0
	s_waitcnt vmcnt(0)
	ds_write_b128 v9, v[2:5]
	s_waitcnt lgkmcnt(0)
	; wave barrier
	s_waitcnt lgkmcnt(0)
	s_and_saveexec_b64 s[4:5], s[2:3]
	s_cbranch_execz .LBB127_355
; %bb.342:
	ds_read_b128 v[2:5], v9
	s_andn2_b64 vcc, exec, s[6:7]
	s_cbranch_vccnz .LBB127_344
; %bb.343:
	scratch_load_dwordx4 v[202:205], v8, off
	s_waitcnt vmcnt(0) lgkmcnt(0)
	v_mul_f64 v[10:11], v[2:3], v[204:205]
	v_mul_f64 v[6:7], v[4:5], v[204:205]
	v_fmac_f64_e32 v[10:11], v[4:5], v[202:203]
	v_fma_f64 v[2:3], v[2:3], v[202:203], -v[6:7]
	v_mov_b64_e32 v[4:5], v[10:11]
.LBB127_344:
	s_and_saveexec_b64 s[8:9], s[0:1]
	s_cbranch_execz .LBB127_354
; %bb.345:
	v_subrev_u32_e32 v7, 39, v0
	v_subrev_u32_e32 v6, 38, v0
	v_cmp_lt_u32_e32 vcc, 6, v7
	v_mov_b32_e32 v202, 38
	s_and_saveexec_b64 s[0:1], vcc
	s_cbranch_execz .LBB127_349
; %bb.346:
	v_and_b32_e32 v7, -8, v6
	s_mov_b32 s12, 0
	s_mov_b64 s[10:11], 0
	v_mov_b32_e32 v201, 0
	s_mov_b32 s13, 0
.LBB127_347:                            ; =>This Inner Loop Header: Depth=1
	v_readfirstlane_b32 s14, v201
	s_add_i32 s14, s14, s12
	s_add_i32 s15, s14, 0x260
	v_mov_b32_e32 v28, s12
	ds_read_b128 v[202:205], v28 offset:1632
	ds_read_b128 v[206:209], v28 offset:1648
	;; [unrolled: 1-line block ×4, first 2 shown]
	scratch_load_dwordx4 v[218:221], off, s15
	s_add_i32 s15, s14, 0x270
	s_addk_i32 s12, 0x80
	s_waitcnt vmcnt(0) lgkmcnt(3)
	v_mul_f64 v[10:11], v[204:205], v[220:221]
	v_mul_f64 v[24:25], v[202:203], v[220:221]
	v_fma_f64 v[10:11], v[202:203], v[218:219], -v[10:11]
	v_fmac_f64_e32 v[24:25], v[204:205], v[218:219]
	v_add_f64 v[10:11], v[2:3], v[10:11]
	v_add_f64 v[24:25], v[4:5], v[24:25]
	scratch_load_dwordx4 v[2:5], off, s15
	s_add_i32 s15, s14, 0x280
	s_waitcnt vmcnt(0) lgkmcnt(2)
	v_mul_f64 v[26:27], v[208:209], v[4:5]
	v_mul_f64 v[4:5], v[206:207], v[4:5]
	v_fmac_f64_e32 v[4:5], v[208:209], v[2:3]
	v_fma_f64 v[26:27], v[206:207], v[2:3], -v[26:27]
	v_add_f64 v[24:25], v[24:25], v[4:5]
	scratch_load_dwordx4 v[2:5], off, s15
	v_add_f64 v[10:11], v[10:11], v[26:27]
	s_add_i32 s15, s14, 0x290
	s_waitcnt vmcnt(0) lgkmcnt(1)
	v_mul_f64 v[26:27], v[212:213], v[4:5]
	v_mul_f64 v[4:5], v[210:211], v[4:5]
	v_fmac_f64_e32 v[4:5], v[212:213], v[2:3]
	v_fma_f64 v[26:27], v[210:211], v[2:3], -v[26:27]
	v_add_f64 v[24:25], v[24:25], v[4:5]
	scratch_load_dwordx4 v[2:5], off, s15
	s_add_i32 s15, s14, 0x2a0
	scratch_load_dwordx4 v[202:205], off, s15
	v_add_f64 v[10:11], v[10:11], v[26:27]
	s_add_i32 s15, s14, 0x2b0
	s_waitcnt vmcnt(1) lgkmcnt(0)
	v_mul_f64 v[26:27], v[216:217], v[4:5]
	v_mul_f64 v[4:5], v[214:215], v[4:5]
	v_fmac_f64_e32 v[4:5], v[216:217], v[2:3]
	v_fma_f64 v[26:27], v[214:215], v[2:3], -v[26:27]
	v_add_f64 v[24:25], v[24:25], v[4:5]
	ds_read_b128 v[2:5], v28 offset:1696
	v_add_f64 v[10:11], v[10:11], v[26:27]
	s_waitcnt vmcnt(0) lgkmcnt(0)
	v_mul_f64 v[26:27], v[4:5], v[204:205]
	v_fma_f64 v[26:27], v[2:3], v[202:203], -v[26:27]
	v_mul_f64 v[2:3], v[2:3], v[204:205]
	v_fmac_f64_e32 v[2:3], v[4:5], v[202:203]
	scratch_load_dwordx4 v[202:205], off, s15
	v_add_f64 v[24:25], v[24:25], v[2:3]
	ds_read_b128 v[2:5], v28 offset:1712
	v_add_f64 v[10:11], v[10:11], v[26:27]
	s_add_i32 s15, s14, 0x2c0
	s_addk_i32 s14, 0x2d0
	s_waitcnt vmcnt(0) lgkmcnt(0)
	v_mul_f64 v[26:27], v[4:5], v[204:205]
	v_fma_f64 v[26:27], v[2:3], v[202:203], -v[26:27]
	v_mul_f64 v[2:3], v[2:3], v[204:205]
	v_fmac_f64_e32 v[2:3], v[4:5], v[202:203]
	scratch_load_dwordx4 v[202:205], off, s15
	v_add_f64 v[24:25], v[24:25], v[2:3]
	ds_read_b128 v[2:5], v28 offset:1728
	v_add_f64 v[10:11], v[10:11], v[26:27]
	s_waitcnt vmcnt(0) lgkmcnt(0)
	v_mul_f64 v[26:27], v[4:5], v[204:205]
	v_fma_f64 v[26:27], v[2:3], v[202:203], -v[26:27]
	v_mul_f64 v[2:3], v[2:3], v[204:205]
	v_fmac_f64_e32 v[2:3], v[4:5], v[202:203]
	scratch_load_dwordx4 v[202:205], off, s14
	v_add_f64 v[24:25], v[24:25], v[2:3]
	ds_read_b128 v[2:5], v28 offset:1744
	v_add_f64 v[10:11], v[10:11], v[26:27]
	s_add_i32 s14, s13, 8
	v_cmp_eq_u32_e32 vcc, s14, v7
	s_add_i32 s13, s13, 46
	s_or_b64 s[10:11], vcc, s[10:11]
	s_waitcnt vmcnt(0) lgkmcnt(0)
	v_mul_f64 v[26:27], v[4:5], v[204:205]
	v_mul_f64 v[28:29], v[2:3], v[204:205]
	v_fma_f64 v[26:27], v[2:3], v[202:203], -v[26:27]
	v_fmac_f64_e32 v[28:29], v[4:5], v[202:203]
	v_add_f64 v[2:3], v[10:11], v[26:27]
	v_add_f64 v[4:5], v[24:25], v[28:29]
	v_mov_b32_e32 v202, s13
	s_mov_b32 s13, s14
	s_andn2_b64 exec, exec, s[10:11]
	s_cbranch_execnz .LBB127_347
; %bb.348:
	s_or_b64 exec, exec, s[10:11]
.LBB127_349:
	s_or_b64 exec, exec, s[0:1]
	v_and_b32_e32 v6, 7, v6
	v_cmp_ne_u32_e32 vcc, 0, v6
	s_and_saveexec_b64 s[0:1], vcc
	s_cbranch_execz .LBB127_353
; %bb.350:
	v_lshlrev_b32_e32 v10, 4, v202
	v_add_u32_e32 v7, 0x400, v10
	v_add_u32_e32 v201, 0, v10
	s_mov_b64 s[10:11], 0
.LBB127_351:                            ; =>This Inner Loop Header: Depth=1
	scratch_load_dwordx4 v[202:205], v201, off
	ds_read_b128 v[206:209], v7
	v_add_u32_e32 v6, -1, v6
	v_cmp_eq_u32_e32 vcc, 0, v6
	v_add_u32_e32 v7, 16, v7
	v_add_u32_e32 v201, 16, v201
	s_or_b64 s[10:11], vcc, s[10:11]
	s_waitcnt vmcnt(0) lgkmcnt(0)
	v_mul_f64 v[10:11], v[208:209], v[204:205]
	v_mul_f64 v[24:25], v[206:207], v[204:205]
	v_fma_f64 v[10:11], v[206:207], v[202:203], -v[10:11]
	v_fmac_f64_e32 v[24:25], v[208:209], v[202:203]
	v_add_f64 v[2:3], v[2:3], v[10:11]
	v_add_f64 v[4:5], v[4:5], v[24:25]
	s_andn2_b64 exec, exec, s[10:11]
	s_cbranch_execnz .LBB127_351
; %bb.352:
	s_or_b64 exec, exec, s[10:11]
.LBB127_353:
	s_or_b64 exec, exec, s[0:1]
.LBB127_354:
	s_or_b64 exec, exec, s[8:9]
	v_mov_b32_e32 v6, 0
	ds_read_b128 v[202:205], v6 offset:592
	s_waitcnt lgkmcnt(0)
	v_mul_f64 v[6:7], v[4:5], v[204:205]
	v_mul_f64 v[206:207], v[2:3], v[204:205]
	v_fma_f64 v[204:205], v[2:3], v[202:203], -v[6:7]
	v_fmac_f64_e32 v[206:207], v[4:5], v[202:203]
	scratch_store_dwordx4 off, v[204:207], off offset:592
.LBB127_355:
	s_or_b64 exec, exec, s[4:5]
	scratch_load_dwordx4 v[2:5], v165, off
	v_cmp_lt_u32_e64 s[0:1], 36, v0
	s_waitcnt vmcnt(0)
	ds_write_b128 v9, v[2:5]
	s_waitcnt lgkmcnt(0)
	; wave barrier
	s_waitcnt lgkmcnt(0)
	s_and_saveexec_b64 s[4:5], s[0:1]
	s_cbranch_execz .LBB127_369
; %bb.356:
	ds_read_b128 v[2:5], v9
	s_andn2_b64 vcc, exec, s[6:7]
	s_cbranch_vccnz .LBB127_358
; %bb.357:
	scratch_load_dwordx4 v[202:205], v8, off
	s_waitcnt vmcnt(0) lgkmcnt(0)
	v_mul_f64 v[10:11], v[2:3], v[204:205]
	v_mul_f64 v[6:7], v[4:5], v[204:205]
	v_fmac_f64_e32 v[10:11], v[4:5], v[202:203]
	v_fma_f64 v[2:3], v[2:3], v[202:203], -v[6:7]
	v_mov_b64_e32 v[4:5], v[10:11]
.LBB127_358:
	s_and_saveexec_b64 s[8:9], s[2:3]
	s_cbranch_execz .LBB127_368
; %bb.359:
	v_subrev_u32_e32 v7, 38, v0
	v_subrev_u32_e32 v6, 37, v0
	v_cmp_lt_u32_e32 vcc, 6, v7
	v_mov_b32_e32 v202, 37
	s_and_saveexec_b64 s[2:3], vcc
	s_cbranch_execz .LBB127_363
; %bb.360:
	v_and_b32_e32 v7, -8, v6
	s_mov_b32 s12, 0
	s_mov_b64 s[10:11], 0
	v_mov_b32_e32 v201, 0
	s_mov_b32 s13, 0
.LBB127_361:                            ; =>This Inner Loop Header: Depth=1
	v_readfirstlane_b32 s14, v201
	s_add_i32 s14, s14, s12
	s_add_i32 s15, s14, 0x250
	v_mov_b32_e32 v28, s12
	ds_read_b128 v[202:205], v28 offset:1616
	ds_read_b128 v[206:209], v28 offset:1632
	;; [unrolled: 1-line block ×4, first 2 shown]
	scratch_load_dwordx4 v[218:221], off, s15
	s_add_i32 s15, s14, 0x260
	s_addk_i32 s12, 0x80
	s_waitcnt vmcnt(0) lgkmcnt(3)
	v_mul_f64 v[10:11], v[204:205], v[220:221]
	v_mul_f64 v[24:25], v[202:203], v[220:221]
	v_fma_f64 v[10:11], v[202:203], v[218:219], -v[10:11]
	v_fmac_f64_e32 v[24:25], v[204:205], v[218:219]
	v_add_f64 v[10:11], v[2:3], v[10:11]
	v_add_f64 v[24:25], v[4:5], v[24:25]
	scratch_load_dwordx4 v[2:5], off, s15
	s_add_i32 s15, s14, 0x270
	s_waitcnt vmcnt(0) lgkmcnt(2)
	v_mul_f64 v[26:27], v[208:209], v[4:5]
	v_mul_f64 v[4:5], v[206:207], v[4:5]
	v_fmac_f64_e32 v[4:5], v[208:209], v[2:3]
	v_fma_f64 v[26:27], v[206:207], v[2:3], -v[26:27]
	v_add_f64 v[24:25], v[24:25], v[4:5]
	scratch_load_dwordx4 v[2:5], off, s15
	v_add_f64 v[10:11], v[10:11], v[26:27]
	s_add_i32 s15, s14, 0x280
	s_waitcnt vmcnt(0) lgkmcnt(1)
	v_mul_f64 v[26:27], v[212:213], v[4:5]
	v_mul_f64 v[4:5], v[210:211], v[4:5]
	v_fmac_f64_e32 v[4:5], v[212:213], v[2:3]
	v_fma_f64 v[26:27], v[210:211], v[2:3], -v[26:27]
	v_add_f64 v[24:25], v[24:25], v[4:5]
	scratch_load_dwordx4 v[2:5], off, s15
	s_add_i32 s15, s14, 0x290
	scratch_load_dwordx4 v[202:205], off, s15
	v_add_f64 v[10:11], v[10:11], v[26:27]
	s_add_i32 s15, s14, 0x2a0
	s_waitcnt vmcnt(1) lgkmcnt(0)
	v_mul_f64 v[26:27], v[216:217], v[4:5]
	v_mul_f64 v[4:5], v[214:215], v[4:5]
	v_fmac_f64_e32 v[4:5], v[216:217], v[2:3]
	v_fma_f64 v[26:27], v[214:215], v[2:3], -v[26:27]
	v_add_f64 v[24:25], v[24:25], v[4:5]
	ds_read_b128 v[2:5], v28 offset:1680
	v_add_f64 v[10:11], v[10:11], v[26:27]
	s_waitcnt vmcnt(0) lgkmcnt(0)
	v_mul_f64 v[26:27], v[4:5], v[204:205]
	v_fma_f64 v[26:27], v[2:3], v[202:203], -v[26:27]
	v_mul_f64 v[2:3], v[2:3], v[204:205]
	v_fmac_f64_e32 v[2:3], v[4:5], v[202:203]
	scratch_load_dwordx4 v[202:205], off, s15
	v_add_f64 v[24:25], v[24:25], v[2:3]
	ds_read_b128 v[2:5], v28 offset:1696
	v_add_f64 v[10:11], v[10:11], v[26:27]
	s_add_i32 s15, s14, 0x2b0
	s_addk_i32 s14, 0x2c0
	s_waitcnt vmcnt(0) lgkmcnt(0)
	v_mul_f64 v[26:27], v[4:5], v[204:205]
	v_fma_f64 v[26:27], v[2:3], v[202:203], -v[26:27]
	v_mul_f64 v[2:3], v[2:3], v[204:205]
	v_fmac_f64_e32 v[2:3], v[4:5], v[202:203]
	scratch_load_dwordx4 v[202:205], off, s15
	v_add_f64 v[24:25], v[24:25], v[2:3]
	ds_read_b128 v[2:5], v28 offset:1712
	v_add_f64 v[10:11], v[10:11], v[26:27]
	s_waitcnt vmcnt(0) lgkmcnt(0)
	v_mul_f64 v[26:27], v[4:5], v[204:205]
	v_fma_f64 v[26:27], v[2:3], v[202:203], -v[26:27]
	v_mul_f64 v[2:3], v[2:3], v[204:205]
	v_fmac_f64_e32 v[2:3], v[4:5], v[202:203]
	scratch_load_dwordx4 v[202:205], off, s14
	v_add_f64 v[24:25], v[24:25], v[2:3]
	ds_read_b128 v[2:5], v28 offset:1728
	v_add_f64 v[10:11], v[10:11], v[26:27]
	s_add_i32 s14, s13, 8
	v_cmp_eq_u32_e32 vcc, s14, v7
	s_add_i32 s13, s13, 45
	s_or_b64 s[10:11], vcc, s[10:11]
	s_waitcnt vmcnt(0) lgkmcnt(0)
	v_mul_f64 v[26:27], v[4:5], v[204:205]
	v_mul_f64 v[28:29], v[2:3], v[204:205]
	v_fma_f64 v[26:27], v[2:3], v[202:203], -v[26:27]
	v_fmac_f64_e32 v[28:29], v[4:5], v[202:203]
	v_add_f64 v[2:3], v[10:11], v[26:27]
	v_add_f64 v[4:5], v[24:25], v[28:29]
	v_mov_b32_e32 v202, s13
	s_mov_b32 s13, s14
	s_andn2_b64 exec, exec, s[10:11]
	s_cbranch_execnz .LBB127_361
; %bb.362:
	s_or_b64 exec, exec, s[10:11]
.LBB127_363:
	s_or_b64 exec, exec, s[2:3]
	v_and_b32_e32 v6, 7, v6
	v_cmp_ne_u32_e32 vcc, 0, v6
	s_and_saveexec_b64 s[2:3], vcc
	s_cbranch_execz .LBB127_367
; %bb.364:
	v_lshlrev_b32_e32 v10, 4, v202
	v_add_u32_e32 v7, 0x400, v10
	v_add_u32_e32 v201, 0, v10
	s_mov_b64 s[10:11], 0
.LBB127_365:                            ; =>This Inner Loop Header: Depth=1
	scratch_load_dwordx4 v[202:205], v201, off
	ds_read_b128 v[206:209], v7
	v_add_u32_e32 v6, -1, v6
	v_cmp_eq_u32_e32 vcc, 0, v6
	v_add_u32_e32 v7, 16, v7
	v_add_u32_e32 v201, 16, v201
	s_or_b64 s[10:11], vcc, s[10:11]
	s_waitcnt vmcnt(0) lgkmcnt(0)
	v_mul_f64 v[10:11], v[208:209], v[204:205]
	v_mul_f64 v[24:25], v[206:207], v[204:205]
	v_fma_f64 v[10:11], v[206:207], v[202:203], -v[10:11]
	v_fmac_f64_e32 v[24:25], v[208:209], v[202:203]
	v_add_f64 v[2:3], v[2:3], v[10:11]
	v_add_f64 v[4:5], v[4:5], v[24:25]
	s_andn2_b64 exec, exec, s[10:11]
	s_cbranch_execnz .LBB127_365
; %bb.366:
	s_or_b64 exec, exec, s[10:11]
.LBB127_367:
	s_or_b64 exec, exec, s[2:3]
.LBB127_368:
	s_or_b64 exec, exec, s[8:9]
	v_mov_b32_e32 v6, 0
	ds_read_b128 v[202:205], v6 offset:576
	s_waitcnt lgkmcnt(0)
	v_mul_f64 v[6:7], v[4:5], v[204:205]
	v_mul_f64 v[206:207], v[2:3], v[204:205]
	v_fma_f64 v[204:205], v[2:3], v[202:203], -v[6:7]
	v_fmac_f64_e32 v[206:207], v[4:5], v[202:203]
	scratch_store_dwordx4 off, v[204:207], off offset:576
.LBB127_369:
	s_or_b64 exec, exec, s[4:5]
	scratch_load_dwordx4 v[2:5], v166, off
	v_cmp_lt_u32_e64 s[2:3], 35, v0
	s_waitcnt vmcnt(0)
	ds_write_b128 v9, v[2:5]
	s_waitcnt lgkmcnt(0)
	; wave barrier
	s_waitcnt lgkmcnt(0)
	s_and_saveexec_b64 s[4:5], s[2:3]
	s_cbranch_execz .LBB127_383
; %bb.370:
	ds_read_b128 v[2:5], v9
	s_andn2_b64 vcc, exec, s[6:7]
	s_cbranch_vccnz .LBB127_372
; %bb.371:
	scratch_load_dwordx4 v[202:205], v8, off
	s_waitcnt vmcnt(0) lgkmcnt(0)
	v_mul_f64 v[10:11], v[2:3], v[204:205]
	v_mul_f64 v[6:7], v[4:5], v[204:205]
	v_fmac_f64_e32 v[10:11], v[4:5], v[202:203]
	v_fma_f64 v[2:3], v[2:3], v[202:203], -v[6:7]
	v_mov_b64_e32 v[4:5], v[10:11]
.LBB127_372:
	s_and_saveexec_b64 s[8:9], s[0:1]
	s_cbranch_execz .LBB127_382
; %bb.373:
	v_subrev_u32_e32 v7, 37, v0
	v_subrev_u32_e32 v6, 36, v0
	v_cmp_lt_u32_e32 vcc, 6, v7
	v_mov_b32_e32 v202, 36
	s_and_saveexec_b64 s[0:1], vcc
	s_cbranch_execz .LBB127_377
; %bb.374:
	v_and_b32_e32 v7, -8, v6
	s_mov_b32 s12, 0
	s_mov_b64 s[10:11], 0
	v_mov_b32_e32 v201, 0
	s_mov_b32 s13, 0
.LBB127_375:                            ; =>This Inner Loop Header: Depth=1
	v_readfirstlane_b32 s14, v201
	s_add_i32 s14, s14, s12
	s_add_i32 s15, s14, 0x240
	v_mov_b32_e32 v28, s12
	ds_read_b128 v[202:205], v28 offset:1600
	ds_read_b128 v[206:209], v28 offset:1616
	;; [unrolled: 1-line block ×4, first 2 shown]
	scratch_load_dwordx4 v[218:221], off, s15
	s_add_i32 s15, s14, 0x250
	s_addk_i32 s12, 0x80
	s_waitcnt vmcnt(0) lgkmcnt(3)
	v_mul_f64 v[10:11], v[204:205], v[220:221]
	v_mul_f64 v[24:25], v[202:203], v[220:221]
	v_fma_f64 v[10:11], v[202:203], v[218:219], -v[10:11]
	v_fmac_f64_e32 v[24:25], v[204:205], v[218:219]
	v_add_f64 v[10:11], v[2:3], v[10:11]
	v_add_f64 v[24:25], v[4:5], v[24:25]
	scratch_load_dwordx4 v[2:5], off, s15
	s_add_i32 s15, s14, 0x260
	s_waitcnt vmcnt(0) lgkmcnt(2)
	v_mul_f64 v[26:27], v[208:209], v[4:5]
	v_mul_f64 v[4:5], v[206:207], v[4:5]
	v_fmac_f64_e32 v[4:5], v[208:209], v[2:3]
	v_fma_f64 v[26:27], v[206:207], v[2:3], -v[26:27]
	v_add_f64 v[24:25], v[24:25], v[4:5]
	scratch_load_dwordx4 v[2:5], off, s15
	v_add_f64 v[10:11], v[10:11], v[26:27]
	s_add_i32 s15, s14, 0x270
	s_waitcnt vmcnt(0) lgkmcnt(1)
	v_mul_f64 v[26:27], v[212:213], v[4:5]
	v_mul_f64 v[4:5], v[210:211], v[4:5]
	v_fmac_f64_e32 v[4:5], v[212:213], v[2:3]
	v_fma_f64 v[26:27], v[210:211], v[2:3], -v[26:27]
	v_add_f64 v[24:25], v[24:25], v[4:5]
	scratch_load_dwordx4 v[2:5], off, s15
	s_add_i32 s15, s14, 0x280
	scratch_load_dwordx4 v[202:205], off, s15
	v_add_f64 v[10:11], v[10:11], v[26:27]
	s_add_i32 s15, s14, 0x290
	s_waitcnt vmcnt(1) lgkmcnt(0)
	v_mul_f64 v[26:27], v[216:217], v[4:5]
	v_mul_f64 v[4:5], v[214:215], v[4:5]
	v_fmac_f64_e32 v[4:5], v[216:217], v[2:3]
	v_fma_f64 v[26:27], v[214:215], v[2:3], -v[26:27]
	v_add_f64 v[24:25], v[24:25], v[4:5]
	ds_read_b128 v[2:5], v28 offset:1664
	v_add_f64 v[10:11], v[10:11], v[26:27]
	s_waitcnt vmcnt(0) lgkmcnt(0)
	v_mul_f64 v[26:27], v[4:5], v[204:205]
	v_fma_f64 v[26:27], v[2:3], v[202:203], -v[26:27]
	v_mul_f64 v[2:3], v[2:3], v[204:205]
	v_fmac_f64_e32 v[2:3], v[4:5], v[202:203]
	scratch_load_dwordx4 v[202:205], off, s15
	v_add_f64 v[24:25], v[24:25], v[2:3]
	ds_read_b128 v[2:5], v28 offset:1680
	v_add_f64 v[10:11], v[10:11], v[26:27]
	s_add_i32 s15, s14, 0x2a0
	s_addk_i32 s14, 0x2b0
	s_waitcnt vmcnt(0) lgkmcnt(0)
	v_mul_f64 v[26:27], v[4:5], v[204:205]
	v_fma_f64 v[26:27], v[2:3], v[202:203], -v[26:27]
	v_mul_f64 v[2:3], v[2:3], v[204:205]
	v_fmac_f64_e32 v[2:3], v[4:5], v[202:203]
	scratch_load_dwordx4 v[202:205], off, s15
	v_add_f64 v[24:25], v[24:25], v[2:3]
	ds_read_b128 v[2:5], v28 offset:1696
	v_add_f64 v[10:11], v[10:11], v[26:27]
	s_waitcnt vmcnt(0) lgkmcnt(0)
	v_mul_f64 v[26:27], v[4:5], v[204:205]
	v_fma_f64 v[26:27], v[2:3], v[202:203], -v[26:27]
	v_mul_f64 v[2:3], v[2:3], v[204:205]
	v_fmac_f64_e32 v[2:3], v[4:5], v[202:203]
	scratch_load_dwordx4 v[202:205], off, s14
	v_add_f64 v[24:25], v[24:25], v[2:3]
	ds_read_b128 v[2:5], v28 offset:1712
	v_add_f64 v[10:11], v[10:11], v[26:27]
	s_add_i32 s14, s13, 8
	v_cmp_eq_u32_e32 vcc, s14, v7
	s_add_i32 s13, s13, 44
	s_or_b64 s[10:11], vcc, s[10:11]
	s_waitcnt vmcnt(0) lgkmcnt(0)
	v_mul_f64 v[26:27], v[4:5], v[204:205]
	v_mul_f64 v[28:29], v[2:3], v[204:205]
	v_fma_f64 v[26:27], v[2:3], v[202:203], -v[26:27]
	v_fmac_f64_e32 v[28:29], v[4:5], v[202:203]
	v_add_f64 v[2:3], v[10:11], v[26:27]
	v_add_f64 v[4:5], v[24:25], v[28:29]
	v_mov_b32_e32 v202, s13
	s_mov_b32 s13, s14
	s_andn2_b64 exec, exec, s[10:11]
	s_cbranch_execnz .LBB127_375
; %bb.376:
	s_or_b64 exec, exec, s[10:11]
.LBB127_377:
	s_or_b64 exec, exec, s[0:1]
	v_and_b32_e32 v6, 7, v6
	v_cmp_ne_u32_e32 vcc, 0, v6
	s_and_saveexec_b64 s[0:1], vcc
	s_cbranch_execz .LBB127_381
; %bb.378:
	v_lshlrev_b32_e32 v10, 4, v202
	v_add_u32_e32 v7, 0x400, v10
	v_add_u32_e32 v201, 0, v10
	s_mov_b64 s[10:11], 0
.LBB127_379:                            ; =>This Inner Loop Header: Depth=1
	scratch_load_dwordx4 v[202:205], v201, off
	ds_read_b128 v[206:209], v7
	v_add_u32_e32 v6, -1, v6
	v_cmp_eq_u32_e32 vcc, 0, v6
	v_add_u32_e32 v7, 16, v7
	v_add_u32_e32 v201, 16, v201
	s_or_b64 s[10:11], vcc, s[10:11]
	s_waitcnt vmcnt(0) lgkmcnt(0)
	v_mul_f64 v[10:11], v[208:209], v[204:205]
	v_mul_f64 v[24:25], v[206:207], v[204:205]
	v_fma_f64 v[10:11], v[206:207], v[202:203], -v[10:11]
	v_fmac_f64_e32 v[24:25], v[208:209], v[202:203]
	v_add_f64 v[2:3], v[2:3], v[10:11]
	v_add_f64 v[4:5], v[4:5], v[24:25]
	s_andn2_b64 exec, exec, s[10:11]
	s_cbranch_execnz .LBB127_379
; %bb.380:
	s_or_b64 exec, exec, s[10:11]
.LBB127_381:
	s_or_b64 exec, exec, s[0:1]
.LBB127_382:
	s_or_b64 exec, exec, s[8:9]
	v_mov_b32_e32 v6, 0
	ds_read_b128 v[202:205], v6 offset:560
	s_waitcnt lgkmcnt(0)
	v_mul_f64 v[6:7], v[4:5], v[204:205]
	v_mul_f64 v[206:207], v[2:3], v[204:205]
	v_fma_f64 v[204:205], v[2:3], v[202:203], -v[6:7]
	v_fmac_f64_e32 v[206:207], v[4:5], v[202:203]
	scratch_store_dwordx4 off, v[204:207], off offset:560
.LBB127_383:
	s_or_b64 exec, exec, s[4:5]
	scratch_load_dwordx4 v[2:5], v167, off
	v_cmp_lt_u32_e64 s[0:1], 34, v0
	s_waitcnt vmcnt(0)
	ds_write_b128 v9, v[2:5]
	s_waitcnt lgkmcnt(0)
	; wave barrier
	s_waitcnt lgkmcnt(0)
	s_and_saveexec_b64 s[4:5], s[0:1]
	s_cbranch_execz .LBB127_397
; %bb.384:
	ds_read_b128 v[2:5], v9
	s_andn2_b64 vcc, exec, s[6:7]
	s_cbranch_vccnz .LBB127_386
; %bb.385:
	scratch_load_dwordx4 v[202:205], v8, off
	s_waitcnt vmcnt(0) lgkmcnt(0)
	v_mul_f64 v[10:11], v[2:3], v[204:205]
	v_mul_f64 v[6:7], v[4:5], v[204:205]
	v_fmac_f64_e32 v[10:11], v[4:5], v[202:203]
	v_fma_f64 v[2:3], v[2:3], v[202:203], -v[6:7]
	v_mov_b64_e32 v[4:5], v[10:11]
.LBB127_386:
	s_and_saveexec_b64 s[8:9], s[2:3]
	s_cbranch_execz .LBB127_396
; %bb.387:
	v_subrev_u32_e32 v7, 36, v0
	v_subrev_u32_e32 v6, 35, v0
	v_cmp_lt_u32_e32 vcc, 6, v7
	v_mov_b32_e32 v202, 35
	s_and_saveexec_b64 s[2:3], vcc
	s_cbranch_execz .LBB127_391
; %bb.388:
	v_and_b32_e32 v7, -8, v6
	s_mov_b32 s12, 0
	s_mov_b64 s[10:11], 0
	v_mov_b32_e32 v201, 0
	s_mov_b32 s13, 0
.LBB127_389:                            ; =>This Inner Loop Header: Depth=1
	v_readfirstlane_b32 s14, v201
	s_add_i32 s14, s14, s12
	s_add_i32 s15, s14, 0x230
	v_mov_b32_e32 v28, s12
	ds_read_b128 v[202:205], v28 offset:1584
	ds_read_b128 v[206:209], v28 offset:1600
	;; [unrolled: 1-line block ×4, first 2 shown]
	scratch_load_dwordx4 v[218:221], off, s15
	s_add_i32 s15, s14, 0x240
	s_addk_i32 s12, 0x80
	s_waitcnt vmcnt(0) lgkmcnt(3)
	v_mul_f64 v[10:11], v[204:205], v[220:221]
	v_mul_f64 v[24:25], v[202:203], v[220:221]
	v_fma_f64 v[10:11], v[202:203], v[218:219], -v[10:11]
	v_fmac_f64_e32 v[24:25], v[204:205], v[218:219]
	v_add_f64 v[10:11], v[2:3], v[10:11]
	v_add_f64 v[24:25], v[4:5], v[24:25]
	scratch_load_dwordx4 v[2:5], off, s15
	s_add_i32 s15, s14, 0x250
	s_waitcnt vmcnt(0) lgkmcnt(2)
	v_mul_f64 v[26:27], v[208:209], v[4:5]
	v_mul_f64 v[4:5], v[206:207], v[4:5]
	v_fmac_f64_e32 v[4:5], v[208:209], v[2:3]
	v_fma_f64 v[26:27], v[206:207], v[2:3], -v[26:27]
	v_add_f64 v[24:25], v[24:25], v[4:5]
	scratch_load_dwordx4 v[2:5], off, s15
	v_add_f64 v[10:11], v[10:11], v[26:27]
	s_add_i32 s15, s14, 0x260
	s_waitcnt vmcnt(0) lgkmcnt(1)
	v_mul_f64 v[26:27], v[212:213], v[4:5]
	v_mul_f64 v[4:5], v[210:211], v[4:5]
	v_fmac_f64_e32 v[4:5], v[212:213], v[2:3]
	v_fma_f64 v[26:27], v[210:211], v[2:3], -v[26:27]
	v_add_f64 v[24:25], v[24:25], v[4:5]
	scratch_load_dwordx4 v[2:5], off, s15
	s_add_i32 s15, s14, 0x270
	scratch_load_dwordx4 v[202:205], off, s15
	v_add_f64 v[10:11], v[10:11], v[26:27]
	s_add_i32 s15, s14, 0x280
	s_waitcnt vmcnt(1) lgkmcnt(0)
	v_mul_f64 v[26:27], v[216:217], v[4:5]
	v_mul_f64 v[4:5], v[214:215], v[4:5]
	v_fmac_f64_e32 v[4:5], v[216:217], v[2:3]
	v_fma_f64 v[26:27], v[214:215], v[2:3], -v[26:27]
	v_add_f64 v[24:25], v[24:25], v[4:5]
	ds_read_b128 v[2:5], v28 offset:1648
	v_add_f64 v[10:11], v[10:11], v[26:27]
	s_waitcnt vmcnt(0) lgkmcnt(0)
	v_mul_f64 v[26:27], v[4:5], v[204:205]
	v_fma_f64 v[26:27], v[2:3], v[202:203], -v[26:27]
	v_mul_f64 v[2:3], v[2:3], v[204:205]
	v_fmac_f64_e32 v[2:3], v[4:5], v[202:203]
	scratch_load_dwordx4 v[202:205], off, s15
	v_add_f64 v[24:25], v[24:25], v[2:3]
	ds_read_b128 v[2:5], v28 offset:1664
	v_add_f64 v[10:11], v[10:11], v[26:27]
	s_add_i32 s15, s14, 0x290
	s_addk_i32 s14, 0x2a0
	s_waitcnt vmcnt(0) lgkmcnt(0)
	v_mul_f64 v[26:27], v[4:5], v[204:205]
	v_fma_f64 v[26:27], v[2:3], v[202:203], -v[26:27]
	v_mul_f64 v[2:3], v[2:3], v[204:205]
	v_fmac_f64_e32 v[2:3], v[4:5], v[202:203]
	scratch_load_dwordx4 v[202:205], off, s15
	v_add_f64 v[24:25], v[24:25], v[2:3]
	ds_read_b128 v[2:5], v28 offset:1680
	v_add_f64 v[10:11], v[10:11], v[26:27]
	s_waitcnt vmcnt(0) lgkmcnt(0)
	v_mul_f64 v[26:27], v[4:5], v[204:205]
	v_fma_f64 v[26:27], v[2:3], v[202:203], -v[26:27]
	v_mul_f64 v[2:3], v[2:3], v[204:205]
	v_fmac_f64_e32 v[2:3], v[4:5], v[202:203]
	scratch_load_dwordx4 v[202:205], off, s14
	v_add_f64 v[24:25], v[24:25], v[2:3]
	ds_read_b128 v[2:5], v28 offset:1696
	v_add_f64 v[10:11], v[10:11], v[26:27]
	s_add_i32 s14, s13, 8
	v_cmp_eq_u32_e32 vcc, s14, v7
	s_add_i32 s13, s13, 43
	s_or_b64 s[10:11], vcc, s[10:11]
	s_waitcnt vmcnt(0) lgkmcnt(0)
	v_mul_f64 v[26:27], v[4:5], v[204:205]
	v_mul_f64 v[28:29], v[2:3], v[204:205]
	v_fma_f64 v[26:27], v[2:3], v[202:203], -v[26:27]
	v_fmac_f64_e32 v[28:29], v[4:5], v[202:203]
	v_add_f64 v[2:3], v[10:11], v[26:27]
	v_add_f64 v[4:5], v[24:25], v[28:29]
	v_mov_b32_e32 v202, s13
	s_mov_b32 s13, s14
	s_andn2_b64 exec, exec, s[10:11]
	s_cbranch_execnz .LBB127_389
; %bb.390:
	s_or_b64 exec, exec, s[10:11]
.LBB127_391:
	s_or_b64 exec, exec, s[2:3]
	v_and_b32_e32 v6, 7, v6
	v_cmp_ne_u32_e32 vcc, 0, v6
	s_and_saveexec_b64 s[2:3], vcc
	s_cbranch_execz .LBB127_395
; %bb.392:
	v_lshlrev_b32_e32 v10, 4, v202
	v_add_u32_e32 v7, 0x400, v10
	v_add_u32_e32 v201, 0, v10
	s_mov_b64 s[10:11], 0
.LBB127_393:                            ; =>This Inner Loop Header: Depth=1
	scratch_load_dwordx4 v[202:205], v201, off
	ds_read_b128 v[206:209], v7
	v_add_u32_e32 v6, -1, v6
	v_cmp_eq_u32_e32 vcc, 0, v6
	v_add_u32_e32 v7, 16, v7
	v_add_u32_e32 v201, 16, v201
	s_or_b64 s[10:11], vcc, s[10:11]
	s_waitcnt vmcnt(0) lgkmcnt(0)
	v_mul_f64 v[10:11], v[208:209], v[204:205]
	v_mul_f64 v[24:25], v[206:207], v[204:205]
	v_fma_f64 v[10:11], v[206:207], v[202:203], -v[10:11]
	v_fmac_f64_e32 v[24:25], v[208:209], v[202:203]
	v_add_f64 v[2:3], v[2:3], v[10:11]
	v_add_f64 v[4:5], v[4:5], v[24:25]
	s_andn2_b64 exec, exec, s[10:11]
	s_cbranch_execnz .LBB127_393
; %bb.394:
	s_or_b64 exec, exec, s[10:11]
.LBB127_395:
	s_or_b64 exec, exec, s[2:3]
.LBB127_396:
	s_or_b64 exec, exec, s[8:9]
	v_mov_b32_e32 v6, 0
	ds_read_b128 v[202:205], v6 offset:544
	s_waitcnt lgkmcnt(0)
	v_mul_f64 v[6:7], v[4:5], v[204:205]
	v_mul_f64 v[206:207], v[2:3], v[204:205]
	v_fma_f64 v[204:205], v[2:3], v[202:203], -v[6:7]
	v_fmac_f64_e32 v[206:207], v[4:5], v[202:203]
	scratch_store_dwordx4 off, v[204:207], off offset:544
.LBB127_397:
	s_or_b64 exec, exec, s[4:5]
	scratch_load_dwordx4 v[2:5], v168, off
	v_cmp_lt_u32_e64 s[2:3], 33, v0
	s_waitcnt vmcnt(0)
	ds_write_b128 v9, v[2:5]
	s_waitcnt lgkmcnt(0)
	; wave barrier
	s_waitcnt lgkmcnt(0)
	s_and_saveexec_b64 s[4:5], s[2:3]
	s_cbranch_execz .LBB127_411
; %bb.398:
	ds_read_b128 v[2:5], v9
	s_andn2_b64 vcc, exec, s[6:7]
	s_cbranch_vccnz .LBB127_400
; %bb.399:
	scratch_load_dwordx4 v[202:205], v8, off
	s_waitcnt vmcnt(0) lgkmcnt(0)
	v_mul_f64 v[10:11], v[2:3], v[204:205]
	v_mul_f64 v[6:7], v[4:5], v[204:205]
	v_fmac_f64_e32 v[10:11], v[4:5], v[202:203]
	v_fma_f64 v[2:3], v[2:3], v[202:203], -v[6:7]
	v_mov_b64_e32 v[4:5], v[10:11]
.LBB127_400:
	s_and_saveexec_b64 s[8:9], s[0:1]
	s_cbranch_execz .LBB127_410
; %bb.401:
	v_subrev_u32_e32 v7, 35, v0
	v_subrev_u32_e32 v6, 34, v0
	v_cmp_lt_u32_e32 vcc, 6, v7
	v_mov_b32_e32 v202, 34
	s_and_saveexec_b64 s[0:1], vcc
	s_cbranch_execz .LBB127_405
; %bb.402:
	v_and_b32_e32 v7, -8, v6
	s_mov_b32 s12, 0
	s_mov_b64 s[10:11], 0
	v_mov_b32_e32 v201, 0
	s_mov_b32 s13, 0
.LBB127_403:                            ; =>This Inner Loop Header: Depth=1
	v_readfirstlane_b32 s14, v201
	s_add_i32 s14, s14, s12
	s_add_i32 s15, s14, 0x220
	v_mov_b32_e32 v28, s12
	ds_read_b128 v[202:205], v28 offset:1568
	ds_read_b128 v[206:209], v28 offset:1584
	;; [unrolled: 1-line block ×4, first 2 shown]
	scratch_load_dwordx4 v[218:221], off, s15
	s_add_i32 s15, s14, 0x230
	s_addk_i32 s12, 0x80
	s_waitcnt vmcnt(0) lgkmcnt(3)
	v_mul_f64 v[10:11], v[204:205], v[220:221]
	v_mul_f64 v[24:25], v[202:203], v[220:221]
	v_fma_f64 v[10:11], v[202:203], v[218:219], -v[10:11]
	v_fmac_f64_e32 v[24:25], v[204:205], v[218:219]
	v_add_f64 v[10:11], v[2:3], v[10:11]
	v_add_f64 v[24:25], v[4:5], v[24:25]
	scratch_load_dwordx4 v[2:5], off, s15
	s_add_i32 s15, s14, 0x240
	s_waitcnt vmcnt(0) lgkmcnt(2)
	v_mul_f64 v[26:27], v[208:209], v[4:5]
	v_mul_f64 v[4:5], v[206:207], v[4:5]
	v_fmac_f64_e32 v[4:5], v[208:209], v[2:3]
	v_fma_f64 v[26:27], v[206:207], v[2:3], -v[26:27]
	v_add_f64 v[24:25], v[24:25], v[4:5]
	scratch_load_dwordx4 v[2:5], off, s15
	v_add_f64 v[10:11], v[10:11], v[26:27]
	s_add_i32 s15, s14, 0x250
	s_waitcnt vmcnt(0) lgkmcnt(1)
	v_mul_f64 v[26:27], v[212:213], v[4:5]
	v_mul_f64 v[4:5], v[210:211], v[4:5]
	v_fmac_f64_e32 v[4:5], v[212:213], v[2:3]
	v_fma_f64 v[26:27], v[210:211], v[2:3], -v[26:27]
	v_add_f64 v[24:25], v[24:25], v[4:5]
	scratch_load_dwordx4 v[2:5], off, s15
	s_add_i32 s15, s14, 0x260
	scratch_load_dwordx4 v[202:205], off, s15
	v_add_f64 v[10:11], v[10:11], v[26:27]
	s_add_i32 s15, s14, 0x270
	s_waitcnt vmcnt(1) lgkmcnt(0)
	v_mul_f64 v[26:27], v[216:217], v[4:5]
	v_mul_f64 v[4:5], v[214:215], v[4:5]
	v_fmac_f64_e32 v[4:5], v[216:217], v[2:3]
	v_fma_f64 v[26:27], v[214:215], v[2:3], -v[26:27]
	v_add_f64 v[24:25], v[24:25], v[4:5]
	ds_read_b128 v[2:5], v28 offset:1632
	v_add_f64 v[10:11], v[10:11], v[26:27]
	s_waitcnt vmcnt(0) lgkmcnt(0)
	v_mul_f64 v[26:27], v[4:5], v[204:205]
	v_fma_f64 v[26:27], v[2:3], v[202:203], -v[26:27]
	v_mul_f64 v[2:3], v[2:3], v[204:205]
	v_fmac_f64_e32 v[2:3], v[4:5], v[202:203]
	scratch_load_dwordx4 v[202:205], off, s15
	v_add_f64 v[24:25], v[24:25], v[2:3]
	ds_read_b128 v[2:5], v28 offset:1648
	v_add_f64 v[10:11], v[10:11], v[26:27]
	s_add_i32 s15, s14, 0x280
	s_addk_i32 s14, 0x290
	s_waitcnt vmcnt(0) lgkmcnt(0)
	v_mul_f64 v[26:27], v[4:5], v[204:205]
	v_fma_f64 v[26:27], v[2:3], v[202:203], -v[26:27]
	v_mul_f64 v[2:3], v[2:3], v[204:205]
	v_fmac_f64_e32 v[2:3], v[4:5], v[202:203]
	scratch_load_dwordx4 v[202:205], off, s15
	v_add_f64 v[24:25], v[24:25], v[2:3]
	ds_read_b128 v[2:5], v28 offset:1664
	v_add_f64 v[10:11], v[10:11], v[26:27]
	s_waitcnt vmcnt(0) lgkmcnt(0)
	v_mul_f64 v[26:27], v[4:5], v[204:205]
	v_fma_f64 v[26:27], v[2:3], v[202:203], -v[26:27]
	v_mul_f64 v[2:3], v[2:3], v[204:205]
	v_fmac_f64_e32 v[2:3], v[4:5], v[202:203]
	scratch_load_dwordx4 v[202:205], off, s14
	v_add_f64 v[24:25], v[24:25], v[2:3]
	ds_read_b128 v[2:5], v28 offset:1680
	v_add_f64 v[10:11], v[10:11], v[26:27]
	s_add_i32 s14, s13, 8
	v_cmp_eq_u32_e32 vcc, s14, v7
	s_add_i32 s13, s13, 42
	s_or_b64 s[10:11], vcc, s[10:11]
	s_waitcnt vmcnt(0) lgkmcnt(0)
	v_mul_f64 v[26:27], v[4:5], v[204:205]
	v_mul_f64 v[28:29], v[2:3], v[204:205]
	v_fma_f64 v[26:27], v[2:3], v[202:203], -v[26:27]
	v_fmac_f64_e32 v[28:29], v[4:5], v[202:203]
	v_add_f64 v[2:3], v[10:11], v[26:27]
	v_add_f64 v[4:5], v[24:25], v[28:29]
	v_mov_b32_e32 v202, s13
	s_mov_b32 s13, s14
	s_andn2_b64 exec, exec, s[10:11]
	s_cbranch_execnz .LBB127_403
; %bb.404:
	s_or_b64 exec, exec, s[10:11]
.LBB127_405:
	s_or_b64 exec, exec, s[0:1]
	v_and_b32_e32 v6, 7, v6
	v_cmp_ne_u32_e32 vcc, 0, v6
	s_and_saveexec_b64 s[0:1], vcc
	s_cbranch_execz .LBB127_409
; %bb.406:
	v_lshlrev_b32_e32 v10, 4, v202
	v_add_u32_e32 v7, 0x400, v10
	v_add_u32_e32 v201, 0, v10
	s_mov_b64 s[10:11], 0
.LBB127_407:                            ; =>This Inner Loop Header: Depth=1
	scratch_load_dwordx4 v[202:205], v201, off
	ds_read_b128 v[206:209], v7
	v_add_u32_e32 v6, -1, v6
	v_cmp_eq_u32_e32 vcc, 0, v6
	v_add_u32_e32 v7, 16, v7
	v_add_u32_e32 v201, 16, v201
	s_or_b64 s[10:11], vcc, s[10:11]
	s_waitcnt vmcnt(0) lgkmcnt(0)
	v_mul_f64 v[10:11], v[208:209], v[204:205]
	v_mul_f64 v[24:25], v[206:207], v[204:205]
	v_fma_f64 v[10:11], v[206:207], v[202:203], -v[10:11]
	v_fmac_f64_e32 v[24:25], v[208:209], v[202:203]
	v_add_f64 v[2:3], v[2:3], v[10:11]
	v_add_f64 v[4:5], v[4:5], v[24:25]
	s_andn2_b64 exec, exec, s[10:11]
	s_cbranch_execnz .LBB127_407
; %bb.408:
	s_or_b64 exec, exec, s[10:11]
.LBB127_409:
	s_or_b64 exec, exec, s[0:1]
.LBB127_410:
	s_or_b64 exec, exec, s[8:9]
	v_mov_b32_e32 v6, 0
	ds_read_b128 v[202:205], v6 offset:528
	s_waitcnt lgkmcnt(0)
	v_mul_f64 v[6:7], v[4:5], v[204:205]
	v_mul_f64 v[206:207], v[2:3], v[204:205]
	v_fma_f64 v[204:205], v[2:3], v[202:203], -v[6:7]
	v_fmac_f64_e32 v[206:207], v[4:5], v[202:203]
	scratch_store_dwordx4 off, v[204:207], off offset:528
.LBB127_411:
	s_or_b64 exec, exec, s[4:5]
	scratch_load_dwordx4 v[2:5], v169, off
	v_cmp_lt_u32_e64 s[0:1], 32, v0
	s_waitcnt vmcnt(0)
	ds_write_b128 v9, v[2:5]
	s_waitcnt lgkmcnt(0)
	; wave barrier
	s_waitcnt lgkmcnt(0)
	s_and_saveexec_b64 s[4:5], s[0:1]
	s_cbranch_execz .LBB127_425
; %bb.412:
	ds_read_b128 v[2:5], v9
	s_andn2_b64 vcc, exec, s[6:7]
	s_cbranch_vccnz .LBB127_414
; %bb.413:
	scratch_load_dwordx4 v[202:205], v8, off
	s_waitcnt vmcnt(0) lgkmcnt(0)
	v_mul_f64 v[10:11], v[2:3], v[204:205]
	v_mul_f64 v[6:7], v[4:5], v[204:205]
	v_fmac_f64_e32 v[10:11], v[4:5], v[202:203]
	v_fma_f64 v[2:3], v[2:3], v[202:203], -v[6:7]
	v_mov_b64_e32 v[4:5], v[10:11]
.LBB127_414:
	s_and_saveexec_b64 s[8:9], s[2:3]
	s_cbranch_execz .LBB127_424
; %bb.415:
	v_subrev_u32_e32 v7, 34, v0
	v_subrev_u32_e32 v6, 33, v0
	v_cmp_lt_u32_e32 vcc, 6, v7
	v_mov_b32_e32 v202, 33
	s_and_saveexec_b64 s[2:3], vcc
	s_cbranch_execz .LBB127_419
; %bb.416:
	v_and_b32_e32 v7, -8, v6
	s_mov_b32 s12, 0
	s_mov_b64 s[10:11], 0
	v_mov_b32_e32 v201, 0
	s_mov_b32 s13, 0
.LBB127_417:                            ; =>This Inner Loop Header: Depth=1
	v_readfirstlane_b32 s14, v201
	s_add_i32 s14, s14, s12
	s_add_i32 s15, s14, 0x210
	v_mov_b32_e32 v28, s12
	ds_read_b128 v[202:205], v28 offset:1552
	ds_read_b128 v[206:209], v28 offset:1568
	;; [unrolled: 1-line block ×4, first 2 shown]
	scratch_load_dwordx4 v[218:221], off, s15
	s_add_i32 s15, s14, 0x220
	s_addk_i32 s12, 0x80
	s_waitcnt vmcnt(0) lgkmcnt(3)
	v_mul_f64 v[10:11], v[204:205], v[220:221]
	v_mul_f64 v[24:25], v[202:203], v[220:221]
	v_fma_f64 v[10:11], v[202:203], v[218:219], -v[10:11]
	v_fmac_f64_e32 v[24:25], v[204:205], v[218:219]
	v_add_f64 v[10:11], v[2:3], v[10:11]
	v_add_f64 v[24:25], v[4:5], v[24:25]
	scratch_load_dwordx4 v[2:5], off, s15
	s_add_i32 s15, s14, 0x230
	s_waitcnt vmcnt(0) lgkmcnt(2)
	v_mul_f64 v[26:27], v[208:209], v[4:5]
	v_mul_f64 v[4:5], v[206:207], v[4:5]
	v_fmac_f64_e32 v[4:5], v[208:209], v[2:3]
	v_fma_f64 v[26:27], v[206:207], v[2:3], -v[26:27]
	v_add_f64 v[24:25], v[24:25], v[4:5]
	scratch_load_dwordx4 v[2:5], off, s15
	v_add_f64 v[10:11], v[10:11], v[26:27]
	s_add_i32 s15, s14, 0x240
	s_waitcnt vmcnt(0) lgkmcnt(1)
	v_mul_f64 v[26:27], v[212:213], v[4:5]
	v_mul_f64 v[4:5], v[210:211], v[4:5]
	v_fmac_f64_e32 v[4:5], v[212:213], v[2:3]
	v_fma_f64 v[26:27], v[210:211], v[2:3], -v[26:27]
	v_add_f64 v[24:25], v[24:25], v[4:5]
	scratch_load_dwordx4 v[2:5], off, s15
	s_add_i32 s15, s14, 0x250
	scratch_load_dwordx4 v[202:205], off, s15
	v_add_f64 v[10:11], v[10:11], v[26:27]
	s_add_i32 s15, s14, 0x260
	s_waitcnt vmcnt(1) lgkmcnt(0)
	v_mul_f64 v[26:27], v[216:217], v[4:5]
	v_mul_f64 v[4:5], v[214:215], v[4:5]
	v_fmac_f64_e32 v[4:5], v[216:217], v[2:3]
	v_fma_f64 v[26:27], v[214:215], v[2:3], -v[26:27]
	v_add_f64 v[24:25], v[24:25], v[4:5]
	ds_read_b128 v[2:5], v28 offset:1616
	v_add_f64 v[10:11], v[10:11], v[26:27]
	s_waitcnt vmcnt(0) lgkmcnt(0)
	v_mul_f64 v[26:27], v[4:5], v[204:205]
	v_fma_f64 v[26:27], v[2:3], v[202:203], -v[26:27]
	v_mul_f64 v[2:3], v[2:3], v[204:205]
	v_fmac_f64_e32 v[2:3], v[4:5], v[202:203]
	scratch_load_dwordx4 v[202:205], off, s15
	v_add_f64 v[24:25], v[24:25], v[2:3]
	ds_read_b128 v[2:5], v28 offset:1632
	v_add_f64 v[10:11], v[10:11], v[26:27]
	s_add_i32 s15, s14, 0x270
	s_addk_i32 s14, 0x280
	s_waitcnt vmcnt(0) lgkmcnt(0)
	v_mul_f64 v[26:27], v[4:5], v[204:205]
	v_fma_f64 v[26:27], v[2:3], v[202:203], -v[26:27]
	v_mul_f64 v[2:3], v[2:3], v[204:205]
	v_fmac_f64_e32 v[2:3], v[4:5], v[202:203]
	scratch_load_dwordx4 v[202:205], off, s15
	v_add_f64 v[24:25], v[24:25], v[2:3]
	ds_read_b128 v[2:5], v28 offset:1648
	v_add_f64 v[10:11], v[10:11], v[26:27]
	s_waitcnt vmcnt(0) lgkmcnt(0)
	v_mul_f64 v[26:27], v[4:5], v[204:205]
	v_fma_f64 v[26:27], v[2:3], v[202:203], -v[26:27]
	v_mul_f64 v[2:3], v[2:3], v[204:205]
	v_fmac_f64_e32 v[2:3], v[4:5], v[202:203]
	scratch_load_dwordx4 v[202:205], off, s14
	v_add_f64 v[24:25], v[24:25], v[2:3]
	ds_read_b128 v[2:5], v28 offset:1664
	v_add_f64 v[10:11], v[10:11], v[26:27]
	s_add_i32 s14, s13, 8
	v_cmp_eq_u32_e32 vcc, s14, v7
	s_add_i32 s13, s13, 41
	s_or_b64 s[10:11], vcc, s[10:11]
	s_waitcnt vmcnt(0) lgkmcnt(0)
	v_mul_f64 v[26:27], v[4:5], v[204:205]
	v_mul_f64 v[28:29], v[2:3], v[204:205]
	v_fma_f64 v[26:27], v[2:3], v[202:203], -v[26:27]
	v_fmac_f64_e32 v[28:29], v[4:5], v[202:203]
	v_add_f64 v[2:3], v[10:11], v[26:27]
	v_add_f64 v[4:5], v[24:25], v[28:29]
	v_mov_b32_e32 v202, s13
	s_mov_b32 s13, s14
	s_andn2_b64 exec, exec, s[10:11]
	s_cbranch_execnz .LBB127_417
; %bb.418:
	s_or_b64 exec, exec, s[10:11]
.LBB127_419:
	s_or_b64 exec, exec, s[2:3]
	v_and_b32_e32 v6, 7, v6
	v_cmp_ne_u32_e32 vcc, 0, v6
	s_and_saveexec_b64 s[2:3], vcc
	s_cbranch_execz .LBB127_423
; %bb.420:
	v_lshlrev_b32_e32 v10, 4, v202
	v_add_u32_e32 v7, 0x400, v10
	v_add_u32_e32 v201, 0, v10
	s_mov_b64 s[10:11], 0
.LBB127_421:                            ; =>This Inner Loop Header: Depth=1
	scratch_load_dwordx4 v[202:205], v201, off
	ds_read_b128 v[206:209], v7
	v_add_u32_e32 v6, -1, v6
	v_cmp_eq_u32_e32 vcc, 0, v6
	v_add_u32_e32 v7, 16, v7
	v_add_u32_e32 v201, 16, v201
	s_or_b64 s[10:11], vcc, s[10:11]
	s_waitcnt vmcnt(0) lgkmcnt(0)
	v_mul_f64 v[10:11], v[208:209], v[204:205]
	v_mul_f64 v[24:25], v[206:207], v[204:205]
	v_fma_f64 v[10:11], v[206:207], v[202:203], -v[10:11]
	v_fmac_f64_e32 v[24:25], v[208:209], v[202:203]
	v_add_f64 v[2:3], v[2:3], v[10:11]
	v_add_f64 v[4:5], v[4:5], v[24:25]
	s_andn2_b64 exec, exec, s[10:11]
	s_cbranch_execnz .LBB127_421
; %bb.422:
	s_or_b64 exec, exec, s[10:11]
.LBB127_423:
	s_or_b64 exec, exec, s[2:3]
.LBB127_424:
	s_or_b64 exec, exec, s[8:9]
	v_mov_b32_e32 v6, 0
	ds_read_b128 v[202:205], v6 offset:512
	s_waitcnt lgkmcnt(0)
	v_mul_f64 v[6:7], v[4:5], v[204:205]
	v_mul_f64 v[206:207], v[2:3], v[204:205]
	v_fma_f64 v[204:205], v[2:3], v[202:203], -v[6:7]
	v_fmac_f64_e32 v[206:207], v[4:5], v[202:203]
	scratch_store_dwordx4 off, v[204:207], off offset:512
.LBB127_425:
	s_or_b64 exec, exec, s[4:5]
	scratch_load_dwordx4 v[2:5], v170, off
	v_cmp_lt_u32_e64 s[2:3], 31, v0
	s_waitcnt vmcnt(0)
	ds_write_b128 v9, v[2:5]
	s_waitcnt lgkmcnt(0)
	; wave barrier
	s_waitcnt lgkmcnt(0)
	s_and_saveexec_b64 s[4:5], s[2:3]
	s_cbranch_execz .LBB127_439
; %bb.426:
	ds_read_b128 v[2:5], v9
	s_andn2_b64 vcc, exec, s[6:7]
	s_cbranch_vccnz .LBB127_428
; %bb.427:
	scratch_load_dwordx4 v[202:205], v8, off
	s_waitcnt vmcnt(0) lgkmcnt(0)
	v_mul_f64 v[10:11], v[2:3], v[204:205]
	v_mul_f64 v[6:7], v[4:5], v[204:205]
	v_fmac_f64_e32 v[10:11], v[4:5], v[202:203]
	v_fma_f64 v[2:3], v[2:3], v[202:203], -v[6:7]
	v_mov_b64_e32 v[4:5], v[10:11]
.LBB127_428:
	s_and_saveexec_b64 s[8:9], s[0:1]
	s_cbranch_execz .LBB127_438
; %bb.429:
	v_subrev_u32_e32 v6, 33, v0
	v_cmp_lt_u32_e32 vcc, 6, v6
	v_mov_b32_e32 v6, 32
	s_and_saveexec_b64 s[0:1], vcc
	s_cbranch_execz .LBB127_433
; %bb.430:
	v_and_b32_e32 v6, 56, v0
	s_mov_b32 s12, 32
	s_mov_b32 s13, 0
	s_mov_b64 s[10:11], 0
	v_mov_b32_e32 v7, 0
.LBB127_431:                            ; =>This Inner Loop Header: Depth=1
	s_nop 0
	v_readfirstlane_b32 s14, v7
	s_add_i32 s14, s14, s13
	s_add_i32 s15, s14, 0x200
	v_mov_b32_e32 v28, s13
	ds_read_b128 v[202:205], v28 offset:1536
	ds_read_b128 v[206:209], v28 offset:1552
	;; [unrolled: 1-line block ×4, first 2 shown]
	scratch_load_dwordx4 v[218:221], off, s15
	s_add_i32 s15, s14, 0x210
	s_add_i32 s12, s12, 8
	s_addk_i32 s13, 0x80
	v_cmp_eq_u32_e32 vcc, s12, v6
	s_waitcnt vmcnt(0) lgkmcnt(3)
	v_mul_f64 v[10:11], v[204:205], v[220:221]
	v_mul_f64 v[24:25], v[202:203], v[220:221]
	v_fma_f64 v[10:11], v[202:203], v[218:219], -v[10:11]
	v_fmac_f64_e32 v[24:25], v[204:205], v[218:219]
	v_add_f64 v[10:11], v[2:3], v[10:11]
	v_add_f64 v[24:25], v[4:5], v[24:25]
	scratch_load_dwordx4 v[2:5], off, s15
	s_add_i32 s15, s14, 0x220
	s_waitcnt vmcnt(0) lgkmcnt(2)
	v_mul_f64 v[26:27], v[208:209], v[4:5]
	v_mul_f64 v[4:5], v[206:207], v[4:5]
	v_fmac_f64_e32 v[4:5], v[208:209], v[2:3]
	v_fma_f64 v[26:27], v[206:207], v[2:3], -v[26:27]
	v_add_f64 v[24:25], v[24:25], v[4:5]
	scratch_load_dwordx4 v[2:5], off, s15
	v_add_f64 v[10:11], v[10:11], v[26:27]
	s_add_i32 s15, s14, 0x230
	s_waitcnt vmcnt(0) lgkmcnt(1)
	v_mul_f64 v[26:27], v[212:213], v[4:5]
	v_mul_f64 v[4:5], v[210:211], v[4:5]
	v_fmac_f64_e32 v[4:5], v[212:213], v[2:3]
	v_fma_f64 v[26:27], v[210:211], v[2:3], -v[26:27]
	v_add_f64 v[24:25], v[24:25], v[4:5]
	scratch_load_dwordx4 v[2:5], off, s15
	s_add_i32 s15, s14, 0x240
	scratch_load_dwordx4 v[202:205], off, s15
	v_add_f64 v[10:11], v[10:11], v[26:27]
	s_add_i32 s15, s14, 0x250
	s_waitcnt vmcnt(1) lgkmcnt(0)
	v_mul_f64 v[26:27], v[216:217], v[4:5]
	v_mul_f64 v[4:5], v[214:215], v[4:5]
	v_fmac_f64_e32 v[4:5], v[216:217], v[2:3]
	v_fma_f64 v[26:27], v[214:215], v[2:3], -v[26:27]
	v_add_f64 v[24:25], v[24:25], v[4:5]
	ds_read_b128 v[2:5], v28 offset:1600
	v_add_f64 v[10:11], v[10:11], v[26:27]
	s_waitcnt vmcnt(0) lgkmcnt(0)
	v_mul_f64 v[26:27], v[4:5], v[204:205]
	v_fma_f64 v[26:27], v[2:3], v[202:203], -v[26:27]
	v_mul_f64 v[2:3], v[2:3], v[204:205]
	v_fmac_f64_e32 v[2:3], v[4:5], v[202:203]
	scratch_load_dwordx4 v[202:205], off, s15
	v_add_f64 v[24:25], v[24:25], v[2:3]
	ds_read_b128 v[2:5], v28 offset:1616
	v_add_f64 v[10:11], v[10:11], v[26:27]
	s_add_i32 s15, s14, 0x260
	s_addk_i32 s14, 0x270
	s_or_b64 s[10:11], vcc, s[10:11]
	s_waitcnt vmcnt(0) lgkmcnt(0)
	v_mul_f64 v[26:27], v[4:5], v[204:205]
	v_fma_f64 v[26:27], v[2:3], v[202:203], -v[26:27]
	v_mul_f64 v[2:3], v[2:3], v[204:205]
	v_fmac_f64_e32 v[2:3], v[4:5], v[202:203]
	scratch_load_dwordx4 v[202:205], off, s15
	v_add_f64 v[24:25], v[24:25], v[2:3]
	ds_read_b128 v[2:5], v28 offset:1632
	v_add_f64 v[10:11], v[10:11], v[26:27]
	s_waitcnt vmcnt(0) lgkmcnt(0)
	v_mul_f64 v[26:27], v[4:5], v[204:205]
	v_fma_f64 v[26:27], v[2:3], v[202:203], -v[26:27]
	v_mul_f64 v[2:3], v[2:3], v[204:205]
	v_fmac_f64_e32 v[2:3], v[4:5], v[202:203]
	scratch_load_dwordx4 v[202:205], off, s14
	v_add_f64 v[24:25], v[24:25], v[2:3]
	ds_read_b128 v[2:5], v28 offset:1648
	v_add_f64 v[10:11], v[10:11], v[26:27]
	s_waitcnt vmcnt(0) lgkmcnt(0)
	v_mul_f64 v[26:27], v[4:5], v[204:205]
	v_mul_f64 v[28:29], v[2:3], v[204:205]
	v_fma_f64 v[26:27], v[2:3], v[202:203], -v[26:27]
	v_fmac_f64_e32 v[28:29], v[4:5], v[202:203]
	v_add_f64 v[2:3], v[10:11], v[26:27]
	v_add_f64 v[4:5], v[24:25], v[28:29]
	s_andn2_b64 exec, exec, s[10:11]
	s_cbranch_execnz .LBB127_431
; %bb.432:
	s_or_b64 exec, exec, s[10:11]
.LBB127_433:
	s_or_b64 exec, exec, s[0:1]
	v_and_b32_e32 v7, 7, v0
	v_cmp_ne_u32_e32 vcc, 0, v7
	s_and_saveexec_b64 s[0:1], vcc
	s_cbranch_execz .LBB127_437
; %bb.434:
	v_lshlrev_b32_e32 v10, 4, v6
	v_or_b32_e32 v6, 0x400, v10
	v_add_u32_e32 v201, 0, v10
	s_mov_b64 s[10:11], 0
.LBB127_435:                            ; =>This Inner Loop Header: Depth=1
	scratch_load_dwordx4 v[202:205], v201, off
	ds_read_b128 v[206:209], v6
	v_add_u32_e32 v7, -1, v7
	v_cmp_eq_u32_e32 vcc, 0, v7
	v_add_u32_e32 v6, 16, v6
	v_add_u32_e32 v201, 16, v201
	s_or_b64 s[10:11], vcc, s[10:11]
	s_waitcnt vmcnt(0) lgkmcnt(0)
	v_mul_f64 v[10:11], v[208:209], v[204:205]
	v_mul_f64 v[24:25], v[206:207], v[204:205]
	v_fma_f64 v[10:11], v[206:207], v[202:203], -v[10:11]
	v_fmac_f64_e32 v[24:25], v[208:209], v[202:203]
	v_add_f64 v[2:3], v[2:3], v[10:11]
	v_add_f64 v[4:5], v[4:5], v[24:25]
	s_andn2_b64 exec, exec, s[10:11]
	s_cbranch_execnz .LBB127_435
; %bb.436:
	s_or_b64 exec, exec, s[10:11]
.LBB127_437:
	s_or_b64 exec, exec, s[0:1]
.LBB127_438:
	s_or_b64 exec, exec, s[8:9]
	v_mov_b32_e32 v6, 0
	ds_read_b128 v[202:205], v6 offset:496
	s_waitcnt lgkmcnt(0)
	v_mul_f64 v[6:7], v[4:5], v[204:205]
	v_mul_f64 v[206:207], v[2:3], v[204:205]
	v_fma_f64 v[204:205], v[2:3], v[202:203], -v[6:7]
	v_fmac_f64_e32 v[206:207], v[4:5], v[202:203]
	scratch_store_dwordx4 off, v[204:207], off offset:496
.LBB127_439:
	s_or_b64 exec, exec, s[4:5]
	scratch_load_dwordx4 v[2:5], v171, off
	v_cmp_lt_u32_e64 s[0:1], 30, v0
	s_waitcnt vmcnt(0)
	ds_write_b128 v9, v[2:5]
	s_waitcnt lgkmcnt(0)
	; wave barrier
	s_waitcnt lgkmcnt(0)
	s_and_saveexec_b64 s[4:5], s[0:1]
	s_cbranch_execz .LBB127_453
; %bb.440:
	ds_read_b128 v[2:5], v9
	s_andn2_b64 vcc, exec, s[6:7]
	s_cbranch_vccnz .LBB127_442
; %bb.441:
	scratch_load_dwordx4 v[202:205], v8, off
	s_waitcnt vmcnt(0) lgkmcnt(0)
	v_mul_f64 v[10:11], v[2:3], v[204:205]
	v_mul_f64 v[6:7], v[4:5], v[204:205]
	v_fmac_f64_e32 v[10:11], v[4:5], v[202:203]
	v_fma_f64 v[2:3], v[2:3], v[202:203], -v[6:7]
	v_mov_b64_e32 v[4:5], v[10:11]
.LBB127_442:
	s_and_saveexec_b64 s[8:9], s[2:3]
	s_cbranch_execz .LBB127_452
; %bb.443:
	v_subrev_u32_e32 v7, 32, v0
	v_subrev_u32_e32 v6, 31, v0
	v_cmp_lt_u32_e32 vcc, 6, v7
	v_mov_b32_e32 v202, 31
	s_and_saveexec_b64 s[2:3], vcc
	s_cbranch_execz .LBB127_447
; %bb.444:
	v_and_b32_e32 v7, -8, v6
	s_mov_b32 s12, 0
	s_mov_b64 s[10:11], 0
	v_mov_b32_e32 v201, 0
	s_mov_b32 s13, 0
.LBB127_445:                            ; =>This Inner Loop Header: Depth=1
	v_readfirstlane_b32 s14, v201
	s_add_i32 s14, s14, s12
	s_add_i32 s15, s14, 0x1f0
	v_mov_b32_e32 v28, s12
	ds_read_b128 v[202:205], v28 offset:1520
	ds_read_b128 v[206:209], v28 offset:1536
	;; [unrolled: 1-line block ×4, first 2 shown]
	scratch_load_dwordx4 v[218:221], off, s15
	s_add_i32 s15, s14, 0x200
	s_addk_i32 s12, 0x80
	s_waitcnt vmcnt(0) lgkmcnt(3)
	v_mul_f64 v[10:11], v[204:205], v[220:221]
	v_mul_f64 v[24:25], v[202:203], v[220:221]
	v_fma_f64 v[10:11], v[202:203], v[218:219], -v[10:11]
	v_fmac_f64_e32 v[24:25], v[204:205], v[218:219]
	v_add_f64 v[10:11], v[2:3], v[10:11]
	v_add_f64 v[24:25], v[4:5], v[24:25]
	scratch_load_dwordx4 v[2:5], off, s15
	s_add_i32 s15, s14, 0x210
	s_waitcnt vmcnt(0) lgkmcnt(2)
	v_mul_f64 v[26:27], v[208:209], v[4:5]
	v_mul_f64 v[4:5], v[206:207], v[4:5]
	v_fmac_f64_e32 v[4:5], v[208:209], v[2:3]
	v_fma_f64 v[26:27], v[206:207], v[2:3], -v[26:27]
	v_add_f64 v[24:25], v[24:25], v[4:5]
	scratch_load_dwordx4 v[2:5], off, s15
	v_add_f64 v[10:11], v[10:11], v[26:27]
	s_add_i32 s15, s14, 0x220
	s_waitcnt vmcnt(0) lgkmcnt(1)
	v_mul_f64 v[26:27], v[212:213], v[4:5]
	v_mul_f64 v[4:5], v[210:211], v[4:5]
	v_fmac_f64_e32 v[4:5], v[212:213], v[2:3]
	v_fma_f64 v[26:27], v[210:211], v[2:3], -v[26:27]
	v_add_f64 v[24:25], v[24:25], v[4:5]
	scratch_load_dwordx4 v[2:5], off, s15
	s_add_i32 s15, s14, 0x230
	scratch_load_dwordx4 v[202:205], off, s15
	v_add_f64 v[10:11], v[10:11], v[26:27]
	s_add_i32 s15, s14, 0x240
	s_waitcnt vmcnt(1) lgkmcnt(0)
	v_mul_f64 v[26:27], v[216:217], v[4:5]
	v_mul_f64 v[4:5], v[214:215], v[4:5]
	v_fmac_f64_e32 v[4:5], v[216:217], v[2:3]
	v_fma_f64 v[26:27], v[214:215], v[2:3], -v[26:27]
	v_add_f64 v[24:25], v[24:25], v[4:5]
	ds_read_b128 v[2:5], v28 offset:1584
	v_add_f64 v[10:11], v[10:11], v[26:27]
	s_waitcnt vmcnt(0) lgkmcnt(0)
	v_mul_f64 v[26:27], v[4:5], v[204:205]
	v_fma_f64 v[26:27], v[2:3], v[202:203], -v[26:27]
	v_mul_f64 v[2:3], v[2:3], v[204:205]
	v_fmac_f64_e32 v[2:3], v[4:5], v[202:203]
	scratch_load_dwordx4 v[202:205], off, s15
	v_add_f64 v[24:25], v[24:25], v[2:3]
	ds_read_b128 v[2:5], v28 offset:1600
	v_add_f64 v[10:11], v[10:11], v[26:27]
	s_add_i32 s15, s14, 0x250
	s_addk_i32 s14, 0x260
	s_waitcnt vmcnt(0) lgkmcnt(0)
	v_mul_f64 v[26:27], v[4:5], v[204:205]
	v_fma_f64 v[26:27], v[2:3], v[202:203], -v[26:27]
	v_mul_f64 v[2:3], v[2:3], v[204:205]
	v_fmac_f64_e32 v[2:3], v[4:5], v[202:203]
	scratch_load_dwordx4 v[202:205], off, s15
	v_add_f64 v[24:25], v[24:25], v[2:3]
	ds_read_b128 v[2:5], v28 offset:1616
	v_add_f64 v[10:11], v[10:11], v[26:27]
	s_waitcnt vmcnt(0) lgkmcnt(0)
	v_mul_f64 v[26:27], v[4:5], v[204:205]
	v_fma_f64 v[26:27], v[2:3], v[202:203], -v[26:27]
	v_mul_f64 v[2:3], v[2:3], v[204:205]
	v_fmac_f64_e32 v[2:3], v[4:5], v[202:203]
	scratch_load_dwordx4 v[202:205], off, s14
	v_add_f64 v[24:25], v[24:25], v[2:3]
	ds_read_b128 v[2:5], v28 offset:1632
	v_add_f64 v[10:11], v[10:11], v[26:27]
	s_add_i32 s14, s13, 8
	v_cmp_eq_u32_e32 vcc, s14, v7
	s_add_i32 s13, s13, 39
	s_or_b64 s[10:11], vcc, s[10:11]
	s_waitcnt vmcnt(0) lgkmcnt(0)
	v_mul_f64 v[26:27], v[4:5], v[204:205]
	v_mul_f64 v[28:29], v[2:3], v[204:205]
	v_fma_f64 v[26:27], v[2:3], v[202:203], -v[26:27]
	v_fmac_f64_e32 v[28:29], v[4:5], v[202:203]
	v_add_f64 v[2:3], v[10:11], v[26:27]
	v_add_f64 v[4:5], v[24:25], v[28:29]
	v_mov_b32_e32 v202, s13
	s_mov_b32 s13, s14
	s_andn2_b64 exec, exec, s[10:11]
	s_cbranch_execnz .LBB127_445
; %bb.446:
	s_or_b64 exec, exec, s[10:11]
.LBB127_447:
	s_or_b64 exec, exec, s[2:3]
	v_and_b32_e32 v6, 7, v6
	v_cmp_ne_u32_e32 vcc, 0, v6
	s_and_saveexec_b64 s[2:3], vcc
	s_cbranch_execz .LBB127_451
; %bb.448:
	v_lshlrev_b32_e32 v10, 4, v202
	v_add_u32_e32 v7, 0x400, v10
	v_add_u32_e32 v201, 0, v10
	s_mov_b64 s[10:11], 0
.LBB127_449:                            ; =>This Inner Loop Header: Depth=1
	scratch_load_dwordx4 v[202:205], v201, off
	ds_read_b128 v[206:209], v7
	v_add_u32_e32 v6, -1, v6
	v_cmp_eq_u32_e32 vcc, 0, v6
	v_add_u32_e32 v7, 16, v7
	v_add_u32_e32 v201, 16, v201
	s_or_b64 s[10:11], vcc, s[10:11]
	s_waitcnt vmcnt(0) lgkmcnt(0)
	v_mul_f64 v[10:11], v[208:209], v[204:205]
	v_mul_f64 v[24:25], v[206:207], v[204:205]
	v_fma_f64 v[10:11], v[206:207], v[202:203], -v[10:11]
	v_fmac_f64_e32 v[24:25], v[208:209], v[202:203]
	v_add_f64 v[2:3], v[2:3], v[10:11]
	v_add_f64 v[4:5], v[4:5], v[24:25]
	s_andn2_b64 exec, exec, s[10:11]
	s_cbranch_execnz .LBB127_449
; %bb.450:
	s_or_b64 exec, exec, s[10:11]
.LBB127_451:
	s_or_b64 exec, exec, s[2:3]
.LBB127_452:
	s_or_b64 exec, exec, s[8:9]
	v_mov_b32_e32 v6, 0
	ds_read_b128 v[202:205], v6 offset:480
	s_waitcnt lgkmcnt(0)
	v_mul_f64 v[6:7], v[4:5], v[204:205]
	v_mul_f64 v[206:207], v[2:3], v[204:205]
	v_fma_f64 v[204:205], v[2:3], v[202:203], -v[6:7]
	v_fmac_f64_e32 v[206:207], v[4:5], v[202:203]
	scratch_store_dwordx4 off, v[204:207], off offset:480
.LBB127_453:
	s_or_b64 exec, exec, s[4:5]
	scratch_load_dwordx4 v[2:5], v172, off
	v_cmp_lt_u32_e64 s[2:3], 29, v0
	s_waitcnt vmcnt(0)
	ds_write_b128 v9, v[2:5]
	s_waitcnt lgkmcnt(0)
	; wave barrier
	s_waitcnt lgkmcnt(0)
	s_and_saveexec_b64 s[4:5], s[2:3]
	s_cbranch_execz .LBB127_467
; %bb.454:
	ds_read_b128 v[2:5], v9
	s_andn2_b64 vcc, exec, s[6:7]
	s_cbranch_vccnz .LBB127_456
; %bb.455:
	scratch_load_dwordx4 v[202:205], v8, off
	s_waitcnt vmcnt(0) lgkmcnt(0)
	v_mul_f64 v[10:11], v[2:3], v[204:205]
	v_mul_f64 v[6:7], v[4:5], v[204:205]
	v_fmac_f64_e32 v[10:11], v[4:5], v[202:203]
	v_fma_f64 v[2:3], v[2:3], v[202:203], -v[6:7]
	v_mov_b64_e32 v[4:5], v[10:11]
.LBB127_456:
	s_and_saveexec_b64 s[8:9], s[0:1]
	s_cbranch_execz .LBB127_466
; %bb.457:
	v_subrev_u32_e32 v7, 31, v0
	v_subrev_u32_e32 v6, 30, v0
	v_cmp_lt_u32_e32 vcc, 6, v7
	v_mov_b32_e32 v202, 30
	s_and_saveexec_b64 s[0:1], vcc
	s_cbranch_execz .LBB127_461
; %bb.458:
	v_and_b32_e32 v7, -8, v6
	s_mov_b32 s12, 0
	s_mov_b64 s[10:11], 0
	v_mov_b32_e32 v201, 0
	s_mov_b32 s13, 0
.LBB127_459:                            ; =>This Inner Loop Header: Depth=1
	v_readfirstlane_b32 s14, v201
	s_add_i32 s14, s14, s12
	s_add_i32 s15, s14, 0x1e0
	v_mov_b32_e32 v28, s12
	ds_read_b128 v[202:205], v28 offset:1504
	ds_read_b128 v[206:209], v28 offset:1520
	;; [unrolled: 1-line block ×4, first 2 shown]
	scratch_load_dwordx4 v[218:221], off, s15
	s_add_i32 s15, s14, 0x1f0
	s_addk_i32 s12, 0x80
	s_waitcnt vmcnt(0) lgkmcnt(3)
	v_mul_f64 v[10:11], v[204:205], v[220:221]
	v_mul_f64 v[24:25], v[202:203], v[220:221]
	v_fma_f64 v[10:11], v[202:203], v[218:219], -v[10:11]
	v_fmac_f64_e32 v[24:25], v[204:205], v[218:219]
	v_add_f64 v[10:11], v[2:3], v[10:11]
	v_add_f64 v[24:25], v[4:5], v[24:25]
	scratch_load_dwordx4 v[2:5], off, s15
	s_add_i32 s15, s14, 0x200
	s_waitcnt vmcnt(0) lgkmcnt(2)
	v_mul_f64 v[26:27], v[208:209], v[4:5]
	v_mul_f64 v[4:5], v[206:207], v[4:5]
	v_fmac_f64_e32 v[4:5], v[208:209], v[2:3]
	v_fma_f64 v[26:27], v[206:207], v[2:3], -v[26:27]
	v_add_f64 v[24:25], v[24:25], v[4:5]
	scratch_load_dwordx4 v[2:5], off, s15
	v_add_f64 v[10:11], v[10:11], v[26:27]
	s_add_i32 s15, s14, 0x210
	s_waitcnt vmcnt(0) lgkmcnt(1)
	v_mul_f64 v[26:27], v[212:213], v[4:5]
	v_mul_f64 v[4:5], v[210:211], v[4:5]
	v_fmac_f64_e32 v[4:5], v[212:213], v[2:3]
	v_fma_f64 v[26:27], v[210:211], v[2:3], -v[26:27]
	v_add_f64 v[24:25], v[24:25], v[4:5]
	scratch_load_dwordx4 v[2:5], off, s15
	s_add_i32 s15, s14, 0x220
	scratch_load_dwordx4 v[202:205], off, s15
	v_add_f64 v[10:11], v[10:11], v[26:27]
	s_add_i32 s15, s14, 0x230
	s_waitcnt vmcnt(1) lgkmcnt(0)
	v_mul_f64 v[26:27], v[216:217], v[4:5]
	v_mul_f64 v[4:5], v[214:215], v[4:5]
	v_fmac_f64_e32 v[4:5], v[216:217], v[2:3]
	v_fma_f64 v[26:27], v[214:215], v[2:3], -v[26:27]
	v_add_f64 v[24:25], v[24:25], v[4:5]
	ds_read_b128 v[2:5], v28 offset:1568
	v_add_f64 v[10:11], v[10:11], v[26:27]
	s_waitcnt vmcnt(0) lgkmcnt(0)
	v_mul_f64 v[26:27], v[4:5], v[204:205]
	v_fma_f64 v[26:27], v[2:3], v[202:203], -v[26:27]
	v_mul_f64 v[2:3], v[2:3], v[204:205]
	v_fmac_f64_e32 v[2:3], v[4:5], v[202:203]
	scratch_load_dwordx4 v[202:205], off, s15
	v_add_f64 v[24:25], v[24:25], v[2:3]
	ds_read_b128 v[2:5], v28 offset:1584
	v_add_f64 v[10:11], v[10:11], v[26:27]
	s_add_i32 s15, s14, 0x240
	s_addk_i32 s14, 0x250
	s_waitcnt vmcnt(0) lgkmcnt(0)
	v_mul_f64 v[26:27], v[4:5], v[204:205]
	v_fma_f64 v[26:27], v[2:3], v[202:203], -v[26:27]
	v_mul_f64 v[2:3], v[2:3], v[204:205]
	v_fmac_f64_e32 v[2:3], v[4:5], v[202:203]
	scratch_load_dwordx4 v[202:205], off, s15
	v_add_f64 v[24:25], v[24:25], v[2:3]
	ds_read_b128 v[2:5], v28 offset:1600
	v_add_f64 v[10:11], v[10:11], v[26:27]
	s_waitcnt vmcnt(0) lgkmcnt(0)
	v_mul_f64 v[26:27], v[4:5], v[204:205]
	v_fma_f64 v[26:27], v[2:3], v[202:203], -v[26:27]
	v_mul_f64 v[2:3], v[2:3], v[204:205]
	v_fmac_f64_e32 v[2:3], v[4:5], v[202:203]
	scratch_load_dwordx4 v[202:205], off, s14
	v_add_f64 v[24:25], v[24:25], v[2:3]
	ds_read_b128 v[2:5], v28 offset:1616
	v_add_f64 v[10:11], v[10:11], v[26:27]
	s_add_i32 s14, s13, 8
	v_cmp_eq_u32_e32 vcc, s14, v7
	s_add_i32 s13, s13, 38
	s_or_b64 s[10:11], vcc, s[10:11]
	s_waitcnt vmcnt(0) lgkmcnt(0)
	v_mul_f64 v[26:27], v[4:5], v[204:205]
	v_mul_f64 v[28:29], v[2:3], v[204:205]
	v_fma_f64 v[26:27], v[2:3], v[202:203], -v[26:27]
	v_fmac_f64_e32 v[28:29], v[4:5], v[202:203]
	v_add_f64 v[2:3], v[10:11], v[26:27]
	v_add_f64 v[4:5], v[24:25], v[28:29]
	v_mov_b32_e32 v202, s13
	s_mov_b32 s13, s14
	s_andn2_b64 exec, exec, s[10:11]
	s_cbranch_execnz .LBB127_459
; %bb.460:
	s_or_b64 exec, exec, s[10:11]
.LBB127_461:
	s_or_b64 exec, exec, s[0:1]
	v_and_b32_e32 v6, 7, v6
	v_cmp_ne_u32_e32 vcc, 0, v6
	s_and_saveexec_b64 s[0:1], vcc
	s_cbranch_execz .LBB127_465
; %bb.462:
	v_lshlrev_b32_e32 v10, 4, v202
	v_add_u32_e32 v7, 0x400, v10
	v_add_u32_e32 v201, 0, v10
	s_mov_b64 s[10:11], 0
.LBB127_463:                            ; =>This Inner Loop Header: Depth=1
	scratch_load_dwordx4 v[202:205], v201, off
	ds_read_b128 v[206:209], v7
	v_add_u32_e32 v6, -1, v6
	v_cmp_eq_u32_e32 vcc, 0, v6
	v_add_u32_e32 v7, 16, v7
	v_add_u32_e32 v201, 16, v201
	s_or_b64 s[10:11], vcc, s[10:11]
	s_waitcnt vmcnt(0) lgkmcnt(0)
	v_mul_f64 v[10:11], v[208:209], v[204:205]
	v_mul_f64 v[24:25], v[206:207], v[204:205]
	v_fma_f64 v[10:11], v[206:207], v[202:203], -v[10:11]
	v_fmac_f64_e32 v[24:25], v[208:209], v[202:203]
	v_add_f64 v[2:3], v[2:3], v[10:11]
	v_add_f64 v[4:5], v[4:5], v[24:25]
	s_andn2_b64 exec, exec, s[10:11]
	s_cbranch_execnz .LBB127_463
; %bb.464:
	s_or_b64 exec, exec, s[10:11]
.LBB127_465:
	s_or_b64 exec, exec, s[0:1]
.LBB127_466:
	s_or_b64 exec, exec, s[8:9]
	v_mov_b32_e32 v6, 0
	ds_read_b128 v[202:205], v6 offset:464
	s_waitcnt lgkmcnt(0)
	v_mul_f64 v[6:7], v[4:5], v[204:205]
	v_mul_f64 v[206:207], v[2:3], v[204:205]
	v_fma_f64 v[204:205], v[2:3], v[202:203], -v[6:7]
	v_fmac_f64_e32 v[206:207], v[4:5], v[202:203]
	scratch_store_dwordx4 off, v[204:207], off offset:464
.LBB127_467:
	s_or_b64 exec, exec, s[4:5]
	scratch_load_dwordx4 v[2:5], v173, off
	v_cmp_lt_u32_e64 s[0:1], 28, v0
	s_waitcnt vmcnt(0)
	ds_write_b128 v9, v[2:5]
	s_waitcnt lgkmcnt(0)
	; wave barrier
	s_waitcnt lgkmcnt(0)
	s_and_saveexec_b64 s[4:5], s[0:1]
	s_cbranch_execz .LBB127_481
; %bb.468:
	ds_read_b128 v[2:5], v9
	s_andn2_b64 vcc, exec, s[6:7]
	s_cbranch_vccnz .LBB127_470
; %bb.469:
	scratch_load_dwordx4 v[202:205], v8, off
	s_waitcnt vmcnt(0) lgkmcnt(0)
	v_mul_f64 v[10:11], v[2:3], v[204:205]
	v_mul_f64 v[6:7], v[4:5], v[204:205]
	v_fmac_f64_e32 v[10:11], v[4:5], v[202:203]
	v_fma_f64 v[2:3], v[2:3], v[202:203], -v[6:7]
	v_mov_b64_e32 v[4:5], v[10:11]
.LBB127_470:
	s_and_saveexec_b64 s[8:9], s[2:3]
	s_cbranch_execz .LBB127_480
; %bb.471:
	v_subrev_u32_e32 v7, 30, v0
	v_subrev_u32_e32 v6, 29, v0
	v_cmp_lt_u32_e32 vcc, 6, v7
	v_mov_b32_e32 v202, 29
	s_and_saveexec_b64 s[2:3], vcc
	s_cbranch_execz .LBB127_475
; %bb.472:
	v_and_b32_e32 v7, -8, v6
	s_mov_b32 s12, 0
	s_mov_b64 s[10:11], 0
	v_mov_b32_e32 v201, 0
	s_mov_b32 s13, 0
.LBB127_473:                            ; =>This Inner Loop Header: Depth=1
	v_readfirstlane_b32 s14, v201
	s_add_i32 s14, s14, s12
	s_add_i32 s15, s14, 0x1d0
	v_mov_b32_e32 v28, s12
	ds_read_b128 v[202:205], v28 offset:1488
	ds_read_b128 v[206:209], v28 offset:1504
	;; [unrolled: 1-line block ×4, first 2 shown]
	scratch_load_dwordx4 v[218:221], off, s15
	s_add_i32 s15, s14, 0x1e0
	s_addk_i32 s12, 0x80
	s_waitcnt vmcnt(0) lgkmcnt(3)
	v_mul_f64 v[10:11], v[204:205], v[220:221]
	v_mul_f64 v[24:25], v[202:203], v[220:221]
	v_fma_f64 v[10:11], v[202:203], v[218:219], -v[10:11]
	v_fmac_f64_e32 v[24:25], v[204:205], v[218:219]
	v_add_f64 v[10:11], v[2:3], v[10:11]
	v_add_f64 v[24:25], v[4:5], v[24:25]
	scratch_load_dwordx4 v[2:5], off, s15
	s_add_i32 s15, s14, 0x1f0
	s_waitcnt vmcnt(0) lgkmcnt(2)
	v_mul_f64 v[26:27], v[208:209], v[4:5]
	v_mul_f64 v[4:5], v[206:207], v[4:5]
	v_fmac_f64_e32 v[4:5], v[208:209], v[2:3]
	v_fma_f64 v[26:27], v[206:207], v[2:3], -v[26:27]
	v_add_f64 v[24:25], v[24:25], v[4:5]
	scratch_load_dwordx4 v[2:5], off, s15
	v_add_f64 v[10:11], v[10:11], v[26:27]
	s_add_i32 s15, s14, 0x200
	s_waitcnt vmcnt(0) lgkmcnt(1)
	v_mul_f64 v[26:27], v[212:213], v[4:5]
	v_mul_f64 v[4:5], v[210:211], v[4:5]
	v_fmac_f64_e32 v[4:5], v[212:213], v[2:3]
	v_fma_f64 v[26:27], v[210:211], v[2:3], -v[26:27]
	v_add_f64 v[24:25], v[24:25], v[4:5]
	scratch_load_dwordx4 v[2:5], off, s15
	s_add_i32 s15, s14, 0x210
	scratch_load_dwordx4 v[202:205], off, s15
	v_add_f64 v[10:11], v[10:11], v[26:27]
	s_add_i32 s15, s14, 0x220
	s_waitcnt vmcnt(1) lgkmcnt(0)
	v_mul_f64 v[26:27], v[216:217], v[4:5]
	v_mul_f64 v[4:5], v[214:215], v[4:5]
	v_fmac_f64_e32 v[4:5], v[216:217], v[2:3]
	v_fma_f64 v[26:27], v[214:215], v[2:3], -v[26:27]
	v_add_f64 v[24:25], v[24:25], v[4:5]
	ds_read_b128 v[2:5], v28 offset:1552
	v_add_f64 v[10:11], v[10:11], v[26:27]
	s_waitcnt vmcnt(0) lgkmcnt(0)
	v_mul_f64 v[26:27], v[4:5], v[204:205]
	v_fma_f64 v[26:27], v[2:3], v[202:203], -v[26:27]
	v_mul_f64 v[2:3], v[2:3], v[204:205]
	v_fmac_f64_e32 v[2:3], v[4:5], v[202:203]
	scratch_load_dwordx4 v[202:205], off, s15
	v_add_f64 v[24:25], v[24:25], v[2:3]
	ds_read_b128 v[2:5], v28 offset:1568
	v_add_f64 v[10:11], v[10:11], v[26:27]
	s_add_i32 s15, s14, 0x230
	s_addk_i32 s14, 0x240
	s_waitcnt vmcnt(0) lgkmcnt(0)
	v_mul_f64 v[26:27], v[4:5], v[204:205]
	v_fma_f64 v[26:27], v[2:3], v[202:203], -v[26:27]
	v_mul_f64 v[2:3], v[2:3], v[204:205]
	v_fmac_f64_e32 v[2:3], v[4:5], v[202:203]
	scratch_load_dwordx4 v[202:205], off, s15
	v_add_f64 v[24:25], v[24:25], v[2:3]
	ds_read_b128 v[2:5], v28 offset:1584
	v_add_f64 v[10:11], v[10:11], v[26:27]
	s_waitcnt vmcnt(0) lgkmcnt(0)
	v_mul_f64 v[26:27], v[4:5], v[204:205]
	v_fma_f64 v[26:27], v[2:3], v[202:203], -v[26:27]
	v_mul_f64 v[2:3], v[2:3], v[204:205]
	v_fmac_f64_e32 v[2:3], v[4:5], v[202:203]
	scratch_load_dwordx4 v[202:205], off, s14
	v_add_f64 v[24:25], v[24:25], v[2:3]
	ds_read_b128 v[2:5], v28 offset:1600
	v_add_f64 v[10:11], v[10:11], v[26:27]
	s_add_i32 s14, s13, 8
	v_cmp_eq_u32_e32 vcc, s14, v7
	s_add_i32 s13, s13, 37
	s_or_b64 s[10:11], vcc, s[10:11]
	s_waitcnt vmcnt(0) lgkmcnt(0)
	v_mul_f64 v[26:27], v[4:5], v[204:205]
	v_mul_f64 v[28:29], v[2:3], v[204:205]
	v_fma_f64 v[26:27], v[2:3], v[202:203], -v[26:27]
	v_fmac_f64_e32 v[28:29], v[4:5], v[202:203]
	v_add_f64 v[2:3], v[10:11], v[26:27]
	v_add_f64 v[4:5], v[24:25], v[28:29]
	v_mov_b32_e32 v202, s13
	s_mov_b32 s13, s14
	s_andn2_b64 exec, exec, s[10:11]
	s_cbranch_execnz .LBB127_473
; %bb.474:
	s_or_b64 exec, exec, s[10:11]
.LBB127_475:
	s_or_b64 exec, exec, s[2:3]
	v_and_b32_e32 v6, 7, v6
	v_cmp_ne_u32_e32 vcc, 0, v6
	s_and_saveexec_b64 s[2:3], vcc
	s_cbranch_execz .LBB127_479
; %bb.476:
	v_lshlrev_b32_e32 v10, 4, v202
	v_add_u32_e32 v7, 0x400, v10
	v_add_u32_e32 v201, 0, v10
	s_mov_b64 s[10:11], 0
.LBB127_477:                            ; =>This Inner Loop Header: Depth=1
	scratch_load_dwordx4 v[202:205], v201, off
	ds_read_b128 v[206:209], v7
	v_add_u32_e32 v6, -1, v6
	v_cmp_eq_u32_e32 vcc, 0, v6
	v_add_u32_e32 v7, 16, v7
	v_add_u32_e32 v201, 16, v201
	s_or_b64 s[10:11], vcc, s[10:11]
	s_waitcnt vmcnt(0) lgkmcnt(0)
	v_mul_f64 v[10:11], v[208:209], v[204:205]
	v_mul_f64 v[24:25], v[206:207], v[204:205]
	v_fma_f64 v[10:11], v[206:207], v[202:203], -v[10:11]
	v_fmac_f64_e32 v[24:25], v[208:209], v[202:203]
	v_add_f64 v[2:3], v[2:3], v[10:11]
	v_add_f64 v[4:5], v[4:5], v[24:25]
	s_andn2_b64 exec, exec, s[10:11]
	s_cbranch_execnz .LBB127_477
; %bb.478:
	s_or_b64 exec, exec, s[10:11]
.LBB127_479:
	s_or_b64 exec, exec, s[2:3]
.LBB127_480:
	s_or_b64 exec, exec, s[8:9]
	v_mov_b32_e32 v6, 0
	ds_read_b128 v[202:205], v6 offset:448
	s_waitcnt lgkmcnt(0)
	v_mul_f64 v[6:7], v[4:5], v[204:205]
	v_mul_f64 v[206:207], v[2:3], v[204:205]
	v_fma_f64 v[204:205], v[2:3], v[202:203], -v[6:7]
	v_fmac_f64_e32 v[206:207], v[4:5], v[202:203]
	scratch_store_dwordx4 off, v[204:207], off offset:448
.LBB127_481:
	s_or_b64 exec, exec, s[4:5]
	scratch_load_dwordx4 v[2:5], v174, off
	v_cmp_lt_u32_e64 s[2:3], 27, v0
	s_waitcnt vmcnt(0)
	ds_write_b128 v9, v[2:5]
	s_waitcnt lgkmcnt(0)
	; wave barrier
	s_waitcnt lgkmcnt(0)
	s_and_saveexec_b64 s[4:5], s[2:3]
	s_cbranch_execz .LBB127_495
; %bb.482:
	ds_read_b128 v[2:5], v9
	s_andn2_b64 vcc, exec, s[6:7]
	s_cbranch_vccnz .LBB127_484
; %bb.483:
	scratch_load_dwordx4 v[202:205], v8, off
	s_waitcnt vmcnt(0) lgkmcnt(0)
	v_mul_f64 v[10:11], v[2:3], v[204:205]
	v_mul_f64 v[6:7], v[4:5], v[204:205]
	v_fmac_f64_e32 v[10:11], v[4:5], v[202:203]
	v_fma_f64 v[2:3], v[2:3], v[202:203], -v[6:7]
	v_mov_b64_e32 v[4:5], v[10:11]
.LBB127_484:
	s_and_saveexec_b64 s[8:9], s[0:1]
	s_cbranch_execz .LBB127_494
; %bb.485:
	v_subrev_u32_e32 v7, 29, v0
	v_subrev_u32_e32 v6, 28, v0
	v_cmp_lt_u32_e32 vcc, 6, v7
	v_mov_b32_e32 v202, 28
	s_and_saveexec_b64 s[0:1], vcc
	s_cbranch_execz .LBB127_489
; %bb.486:
	v_and_b32_e32 v7, -8, v6
	s_mov_b32 s12, 0
	s_mov_b64 s[10:11], 0
	v_mov_b32_e32 v201, 0
	s_mov_b32 s13, 0
.LBB127_487:                            ; =>This Inner Loop Header: Depth=1
	v_readfirstlane_b32 s14, v201
	s_add_i32 s14, s14, s12
	s_add_i32 s15, s14, 0x1c0
	v_mov_b32_e32 v28, s12
	ds_read_b128 v[202:205], v28 offset:1472
	ds_read_b128 v[206:209], v28 offset:1488
	;; [unrolled: 1-line block ×4, first 2 shown]
	scratch_load_dwordx4 v[218:221], off, s15
	s_add_i32 s15, s14, 0x1d0
	s_addk_i32 s12, 0x80
	s_waitcnt vmcnt(0) lgkmcnt(3)
	v_mul_f64 v[10:11], v[204:205], v[220:221]
	v_mul_f64 v[24:25], v[202:203], v[220:221]
	v_fma_f64 v[10:11], v[202:203], v[218:219], -v[10:11]
	v_fmac_f64_e32 v[24:25], v[204:205], v[218:219]
	v_add_f64 v[10:11], v[2:3], v[10:11]
	v_add_f64 v[24:25], v[4:5], v[24:25]
	scratch_load_dwordx4 v[2:5], off, s15
	s_add_i32 s15, s14, 0x1e0
	s_waitcnt vmcnt(0) lgkmcnt(2)
	v_mul_f64 v[26:27], v[208:209], v[4:5]
	v_mul_f64 v[4:5], v[206:207], v[4:5]
	v_fmac_f64_e32 v[4:5], v[208:209], v[2:3]
	v_fma_f64 v[26:27], v[206:207], v[2:3], -v[26:27]
	v_add_f64 v[24:25], v[24:25], v[4:5]
	scratch_load_dwordx4 v[2:5], off, s15
	v_add_f64 v[10:11], v[10:11], v[26:27]
	s_add_i32 s15, s14, 0x1f0
	s_waitcnt vmcnt(0) lgkmcnt(1)
	v_mul_f64 v[26:27], v[212:213], v[4:5]
	v_mul_f64 v[4:5], v[210:211], v[4:5]
	v_fmac_f64_e32 v[4:5], v[212:213], v[2:3]
	v_fma_f64 v[26:27], v[210:211], v[2:3], -v[26:27]
	v_add_f64 v[24:25], v[24:25], v[4:5]
	scratch_load_dwordx4 v[2:5], off, s15
	s_add_i32 s15, s14, 0x200
	scratch_load_dwordx4 v[202:205], off, s15
	v_add_f64 v[10:11], v[10:11], v[26:27]
	s_add_i32 s15, s14, 0x210
	s_waitcnt vmcnt(1) lgkmcnt(0)
	v_mul_f64 v[26:27], v[216:217], v[4:5]
	v_mul_f64 v[4:5], v[214:215], v[4:5]
	v_fmac_f64_e32 v[4:5], v[216:217], v[2:3]
	v_fma_f64 v[26:27], v[214:215], v[2:3], -v[26:27]
	v_add_f64 v[24:25], v[24:25], v[4:5]
	ds_read_b128 v[2:5], v28 offset:1536
	v_add_f64 v[10:11], v[10:11], v[26:27]
	s_waitcnt vmcnt(0) lgkmcnt(0)
	v_mul_f64 v[26:27], v[4:5], v[204:205]
	v_fma_f64 v[26:27], v[2:3], v[202:203], -v[26:27]
	v_mul_f64 v[2:3], v[2:3], v[204:205]
	v_fmac_f64_e32 v[2:3], v[4:5], v[202:203]
	scratch_load_dwordx4 v[202:205], off, s15
	v_add_f64 v[24:25], v[24:25], v[2:3]
	ds_read_b128 v[2:5], v28 offset:1552
	v_add_f64 v[10:11], v[10:11], v[26:27]
	s_add_i32 s15, s14, 0x220
	s_addk_i32 s14, 0x230
	s_waitcnt vmcnt(0) lgkmcnt(0)
	v_mul_f64 v[26:27], v[4:5], v[204:205]
	v_fma_f64 v[26:27], v[2:3], v[202:203], -v[26:27]
	v_mul_f64 v[2:3], v[2:3], v[204:205]
	v_fmac_f64_e32 v[2:3], v[4:5], v[202:203]
	scratch_load_dwordx4 v[202:205], off, s15
	v_add_f64 v[24:25], v[24:25], v[2:3]
	ds_read_b128 v[2:5], v28 offset:1568
	v_add_f64 v[10:11], v[10:11], v[26:27]
	s_waitcnt vmcnt(0) lgkmcnt(0)
	v_mul_f64 v[26:27], v[4:5], v[204:205]
	v_fma_f64 v[26:27], v[2:3], v[202:203], -v[26:27]
	v_mul_f64 v[2:3], v[2:3], v[204:205]
	v_fmac_f64_e32 v[2:3], v[4:5], v[202:203]
	scratch_load_dwordx4 v[202:205], off, s14
	v_add_f64 v[24:25], v[24:25], v[2:3]
	ds_read_b128 v[2:5], v28 offset:1584
	v_add_f64 v[10:11], v[10:11], v[26:27]
	s_add_i32 s14, s13, 8
	v_cmp_eq_u32_e32 vcc, s14, v7
	s_add_i32 s13, s13, 36
	s_or_b64 s[10:11], vcc, s[10:11]
	s_waitcnt vmcnt(0) lgkmcnt(0)
	v_mul_f64 v[26:27], v[4:5], v[204:205]
	v_mul_f64 v[28:29], v[2:3], v[204:205]
	v_fma_f64 v[26:27], v[2:3], v[202:203], -v[26:27]
	v_fmac_f64_e32 v[28:29], v[4:5], v[202:203]
	v_add_f64 v[2:3], v[10:11], v[26:27]
	v_add_f64 v[4:5], v[24:25], v[28:29]
	v_mov_b32_e32 v202, s13
	s_mov_b32 s13, s14
	s_andn2_b64 exec, exec, s[10:11]
	s_cbranch_execnz .LBB127_487
; %bb.488:
	s_or_b64 exec, exec, s[10:11]
.LBB127_489:
	s_or_b64 exec, exec, s[0:1]
	v_and_b32_e32 v6, 7, v6
	v_cmp_ne_u32_e32 vcc, 0, v6
	s_and_saveexec_b64 s[0:1], vcc
	s_cbranch_execz .LBB127_493
; %bb.490:
	v_lshlrev_b32_e32 v10, 4, v202
	v_add_u32_e32 v7, 0x400, v10
	v_add_u32_e32 v201, 0, v10
	s_mov_b64 s[10:11], 0
.LBB127_491:                            ; =>This Inner Loop Header: Depth=1
	scratch_load_dwordx4 v[202:205], v201, off
	ds_read_b128 v[206:209], v7
	v_add_u32_e32 v6, -1, v6
	v_cmp_eq_u32_e32 vcc, 0, v6
	v_add_u32_e32 v7, 16, v7
	v_add_u32_e32 v201, 16, v201
	s_or_b64 s[10:11], vcc, s[10:11]
	s_waitcnt vmcnt(0) lgkmcnt(0)
	v_mul_f64 v[10:11], v[208:209], v[204:205]
	v_mul_f64 v[24:25], v[206:207], v[204:205]
	v_fma_f64 v[10:11], v[206:207], v[202:203], -v[10:11]
	v_fmac_f64_e32 v[24:25], v[208:209], v[202:203]
	v_add_f64 v[2:3], v[2:3], v[10:11]
	v_add_f64 v[4:5], v[4:5], v[24:25]
	s_andn2_b64 exec, exec, s[10:11]
	s_cbranch_execnz .LBB127_491
; %bb.492:
	s_or_b64 exec, exec, s[10:11]
.LBB127_493:
	s_or_b64 exec, exec, s[0:1]
.LBB127_494:
	s_or_b64 exec, exec, s[8:9]
	v_mov_b32_e32 v6, 0
	ds_read_b128 v[202:205], v6 offset:432
	s_waitcnt lgkmcnt(0)
	v_mul_f64 v[6:7], v[4:5], v[204:205]
	v_mul_f64 v[206:207], v[2:3], v[204:205]
	v_fma_f64 v[204:205], v[2:3], v[202:203], -v[6:7]
	v_fmac_f64_e32 v[206:207], v[4:5], v[202:203]
	scratch_store_dwordx4 off, v[204:207], off offset:432
.LBB127_495:
	s_or_b64 exec, exec, s[4:5]
	scratch_load_dwordx4 v[2:5], v175, off
	v_cmp_lt_u32_e64 s[0:1], 26, v0
	s_waitcnt vmcnt(0)
	ds_write_b128 v9, v[2:5]
	s_waitcnt lgkmcnt(0)
	; wave barrier
	s_waitcnt lgkmcnt(0)
	s_and_saveexec_b64 s[4:5], s[0:1]
	s_cbranch_execz .LBB127_509
; %bb.496:
	ds_read_b128 v[2:5], v9
	s_andn2_b64 vcc, exec, s[6:7]
	s_cbranch_vccnz .LBB127_498
; %bb.497:
	scratch_load_dwordx4 v[202:205], v8, off
	s_waitcnt vmcnt(0) lgkmcnt(0)
	v_mul_f64 v[10:11], v[2:3], v[204:205]
	v_mul_f64 v[6:7], v[4:5], v[204:205]
	v_fmac_f64_e32 v[10:11], v[4:5], v[202:203]
	v_fma_f64 v[2:3], v[2:3], v[202:203], -v[6:7]
	v_mov_b64_e32 v[4:5], v[10:11]
.LBB127_498:
	s_and_saveexec_b64 s[8:9], s[2:3]
	s_cbranch_execz .LBB127_508
; %bb.499:
	v_subrev_u32_e32 v7, 28, v0
	v_subrev_u32_e32 v6, 27, v0
	v_cmp_lt_u32_e32 vcc, 6, v7
	v_mov_b32_e32 v202, 27
	s_and_saveexec_b64 s[2:3], vcc
	s_cbranch_execz .LBB127_503
; %bb.500:
	v_and_b32_e32 v7, -8, v6
	s_mov_b32 s12, 0
	s_mov_b64 s[10:11], 0
	v_mov_b32_e32 v201, 0
	s_mov_b32 s13, 0
.LBB127_501:                            ; =>This Inner Loop Header: Depth=1
	v_readfirstlane_b32 s14, v201
	s_add_i32 s14, s14, s12
	s_add_i32 s15, s14, 0x1b0
	v_mov_b32_e32 v28, s12
	ds_read_b128 v[202:205], v28 offset:1456
	ds_read_b128 v[206:209], v28 offset:1472
	;; [unrolled: 1-line block ×4, first 2 shown]
	scratch_load_dwordx4 v[218:221], off, s15
	s_add_i32 s15, s14, 0x1c0
	s_addk_i32 s12, 0x80
	s_waitcnt vmcnt(0) lgkmcnt(3)
	v_mul_f64 v[10:11], v[204:205], v[220:221]
	v_mul_f64 v[24:25], v[202:203], v[220:221]
	v_fma_f64 v[10:11], v[202:203], v[218:219], -v[10:11]
	v_fmac_f64_e32 v[24:25], v[204:205], v[218:219]
	v_add_f64 v[10:11], v[2:3], v[10:11]
	v_add_f64 v[24:25], v[4:5], v[24:25]
	scratch_load_dwordx4 v[2:5], off, s15
	s_add_i32 s15, s14, 0x1d0
	s_waitcnt vmcnt(0) lgkmcnt(2)
	v_mul_f64 v[26:27], v[208:209], v[4:5]
	v_mul_f64 v[4:5], v[206:207], v[4:5]
	v_fmac_f64_e32 v[4:5], v[208:209], v[2:3]
	v_fma_f64 v[26:27], v[206:207], v[2:3], -v[26:27]
	v_add_f64 v[24:25], v[24:25], v[4:5]
	scratch_load_dwordx4 v[2:5], off, s15
	v_add_f64 v[10:11], v[10:11], v[26:27]
	s_add_i32 s15, s14, 0x1e0
	s_waitcnt vmcnt(0) lgkmcnt(1)
	v_mul_f64 v[26:27], v[212:213], v[4:5]
	v_mul_f64 v[4:5], v[210:211], v[4:5]
	v_fmac_f64_e32 v[4:5], v[212:213], v[2:3]
	v_fma_f64 v[26:27], v[210:211], v[2:3], -v[26:27]
	v_add_f64 v[24:25], v[24:25], v[4:5]
	scratch_load_dwordx4 v[2:5], off, s15
	s_add_i32 s15, s14, 0x1f0
	scratch_load_dwordx4 v[202:205], off, s15
	v_add_f64 v[10:11], v[10:11], v[26:27]
	s_add_i32 s15, s14, 0x200
	s_waitcnt vmcnt(1) lgkmcnt(0)
	v_mul_f64 v[26:27], v[216:217], v[4:5]
	v_mul_f64 v[4:5], v[214:215], v[4:5]
	v_fmac_f64_e32 v[4:5], v[216:217], v[2:3]
	v_fma_f64 v[26:27], v[214:215], v[2:3], -v[26:27]
	v_add_f64 v[24:25], v[24:25], v[4:5]
	ds_read_b128 v[2:5], v28 offset:1520
	v_add_f64 v[10:11], v[10:11], v[26:27]
	s_waitcnt vmcnt(0) lgkmcnt(0)
	v_mul_f64 v[26:27], v[4:5], v[204:205]
	v_fma_f64 v[26:27], v[2:3], v[202:203], -v[26:27]
	v_mul_f64 v[2:3], v[2:3], v[204:205]
	v_fmac_f64_e32 v[2:3], v[4:5], v[202:203]
	scratch_load_dwordx4 v[202:205], off, s15
	v_add_f64 v[24:25], v[24:25], v[2:3]
	ds_read_b128 v[2:5], v28 offset:1536
	v_add_f64 v[10:11], v[10:11], v[26:27]
	s_add_i32 s15, s14, 0x210
	s_addk_i32 s14, 0x220
	s_waitcnt vmcnt(0) lgkmcnt(0)
	v_mul_f64 v[26:27], v[4:5], v[204:205]
	v_fma_f64 v[26:27], v[2:3], v[202:203], -v[26:27]
	v_mul_f64 v[2:3], v[2:3], v[204:205]
	v_fmac_f64_e32 v[2:3], v[4:5], v[202:203]
	scratch_load_dwordx4 v[202:205], off, s15
	v_add_f64 v[24:25], v[24:25], v[2:3]
	ds_read_b128 v[2:5], v28 offset:1552
	v_add_f64 v[10:11], v[10:11], v[26:27]
	s_waitcnt vmcnt(0) lgkmcnt(0)
	v_mul_f64 v[26:27], v[4:5], v[204:205]
	v_fma_f64 v[26:27], v[2:3], v[202:203], -v[26:27]
	v_mul_f64 v[2:3], v[2:3], v[204:205]
	v_fmac_f64_e32 v[2:3], v[4:5], v[202:203]
	scratch_load_dwordx4 v[202:205], off, s14
	v_add_f64 v[24:25], v[24:25], v[2:3]
	ds_read_b128 v[2:5], v28 offset:1568
	v_add_f64 v[10:11], v[10:11], v[26:27]
	s_add_i32 s14, s13, 8
	v_cmp_eq_u32_e32 vcc, s14, v7
	s_add_i32 s13, s13, 35
	s_or_b64 s[10:11], vcc, s[10:11]
	s_waitcnt vmcnt(0) lgkmcnt(0)
	v_mul_f64 v[26:27], v[4:5], v[204:205]
	v_mul_f64 v[28:29], v[2:3], v[204:205]
	v_fma_f64 v[26:27], v[2:3], v[202:203], -v[26:27]
	v_fmac_f64_e32 v[28:29], v[4:5], v[202:203]
	v_add_f64 v[2:3], v[10:11], v[26:27]
	v_add_f64 v[4:5], v[24:25], v[28:29]
	v_mov_b32_e32 v202, s13
	s_mov_b32 s13, s14
	s_andn2_b64 exec, exec, s[10:11]
	s_cbranch_execnz .LBB127_501
; %bb.502:
	s_or_b64 exec, exec, s[10:11]
.LBB127_503:
	s_or_b64 exec, exec, s[2:3]
	v_and_b32_e32 v6, 7, v6
	v_cmp_ne_u32_e32 vcc, 0, v6
	s_and_saveexec_b64 s[2:3], vcc
	s_cbranch_execz .LBB127_507
; %bb.504:
	v_lshlrev_b32_e32 v10, 4, v202
	v_add_u32_e32 v7, 0x400, v10
	v_add_u32_e32 v201, 0, v10
	s_mov_b64 s[10:11], 0
.LBB127_505:                            ; =>This Inner Loop Header: Depth=1
	scratch_load_dwordx4 v[202:205], v201, off
	ds_read_b128 v[206:209], v7
	v_add_u32_e32 v6, -1, v6
	v_cmp_eq_u32_e32 vcc, 0, v6
	v_add_u32_e32 v7, 16, v7
	v_add_u32_e32 v201, 16, v201
	s_or_b64 s[10:11], vcc, s[10:11]
	s_waitcnt vmcnt(0) lgkmcnt(0)
	v_mul_f64 v[10:11], v[208:209], v[204:205]
	v_mul_f64 v[24:25], v[206:207], v[204:205]
	v_fma_f64 v[10:11], v[206:207], v[202:203], -v[10:11]
	v_fmac_f64_e32 v[24:25], v[208:209], v[202:203]
	v_add_f64 v[2:3], v[2:3], v[10:11]
	v_add_f64 v[4:5], v[4:5], v[24:25]
	s_andn2_b64 exec, exec, s[10:11]
	s_cbranch_execnz .LBB127_505
; %bb.506:
	s_or_b64 exec, exec, s[10:11]
.LBB127_507:
	s_or_b64 exec, exec, s[2:3]
.LBB127_508:
	s_or_b64 exec, exec, s[8:9]
	v_mov_b32_e32 v6, 0
	ds_read_b128 v[202:205], v6 offset:416
	s_waitcnt lgkmcnt(0)
	v_mul_f64 v[6:7], v[4:5], v[204:205]
	v_mul_f64 v[206:207], v[2:3], v[204:205]
	v_fma_f64 v[204:205], v[2:3], v[202:203], -v[6:7]
	v_fmac_f64_e32 v[206:207], v[4:5], v[202:203]
	scratch_store_dwordx4 off, v[204:207], off offset:416
.LBB127_509:
	s_or_b64 exec, exec, s[4:5]
	scratch_load_dwordx4 v[2:5], v176, off
	v_cmp_lt_u32_e64 s[2:3], 25, v0
	s_waitcnt vmcnt(0)
	ds_write_b128 v9, v[2:5]
	s_waitcnt lgkmcnt(0)
	; wave barrier
	s_waitcnt lgkmcnt(0)
	s_and_saveexec_b64 s[4:5], s[2:3]
	s_cbranch_execz .LBB127_523
; %bb.510:
	ds_read_b128 v[2:5], v9
	s_andn2_b64 vcc, exec, s[6:7]
	s_cbranch_vccnz .LBB127_512
; %bb.511:
	scratch_load_dwordx4 v[202:205], v8, off
	s_waitcnt vmcnt(0) lgkmcnt(0)
	v_mul_f64 v[10:11], v[2:3], v[204:205]
	v_mul_f64 v[6:7], v[4:5], v[204:205]
	v_fmac_f64_e32 v[10:11], v[4:5], v[202:203]
	v_fma_f64 v[2:3], v[2:3], v[202:203], -v[6:7]
	v_mov_b64_e32 v[4:5], v[10:11]
.LBB127_512:
	s_and_saveexec_b64 s[8:9], s[0:1]
	s_cbranch_execz .LBB127_522
; %bb.513:
	v_subrev_u32_e32 v7, 27, v0
	v_subrev_u32_e32 v6, 26, v0
	v_cmp_lt_u32_e32 vcc, 6, v7
	v_mov_b32_e32 v202, 26
	s_and_saveexec_b64 s[0:1], vcc
	s_cbranch_execz .LBB127_517
; %bb.514:
	v_and_b32_e32 v7, -8, v6
	s_mov_b32 s12, 0
	s_mov_b64 s[10:11], 0
	v_mov_b32_e32 v201, 0
	s_mov_b32 s13, 0
.LBB127_515:                            ; =>This Inner Loop Header: Depth=1
	v_readfirstlane_b32 s14, v201
	s_add_i32 s14, s14, s12
	s_add_i32 s15, s14, 0x1a0
	v_mov_b32_e32 v28, s12
	ds_read_b128 v[202:205], v28 offset:1440
	ds_read_b128 v[206:209], v28 offset:1456
	;; [unrolled: 1-line block ×4, first 2 shown]
	scratch_load_dwordx4 v[218:221], off, s15
	s_add_i32 s15, s14, 0x1b0
	s_addk_i32 s12, 0x80
	s_waitcnt vmcnt(0) lgkmcnt(3)
	v_mul_f64 v[10:11], v[204:205], v[220:221]
	v_mul_f64 v[24:25], v[202:203], v[220:221]
	v_fma_f64 v[10:11], v[202:203], v[218:219], -v[10:11]
	v_fmac_f64_e32 v[24:25], v[204:205], v[218:219]
	v_add_f64 v[10:11], v[2:3], v[10:11]
	v_add_f64 v[24:25], v[4:5], v[24:25]
	scratch_load_dwordx4 v[2:5], off, s15
	s_add_i32 s15, s14, 0x1c0
	s_waitcnt vmcnt(0) lgkmcnt(2)
	v_mul_f64 v[26:27], v[208:209], v[4:5]
	v_mul_f64 v[4:5], v[206:207], v[4:5]
	v_fmac_f64_e32 v[4:5], v[208:209], v[2:3]
	v_fma_f64 v[26:27], v[206:207], v[2:3], -v[26:27]
	v_add_f64 v[24:25], v[24:25], v[4:5]
	scratch_load_dwordx4 v[2:5], off, s15
	v_add_f64 v[10:11], v[10:11], v[26:27]
	s_add_i32 s15, s14, 0x1d0
	s_waitcnt vmcnt(0) lgkmcnt(1)
	v_mul_f64 v[26:27], v[212:213], v[4:5]
	v_mul_f64 v[4:5], v[210:211], v[4:5]
	v_fmac_f64_e32 v[4:5], v[212:213], v[2:3]
	v_fma_f64 v[26:27], v[210:211], v[2:3], -v[26:27]
	v_add_f64 v[24:25], v[24:25], v[4:5]
	scratch_load_dwordx4 v[2:5], off, s15
	s_add_i32 s15, s14, 0x1e0
	scratch_load_dwordx4 v[202:205], off, s15
	v_add_f64 v[10:11], v[10:11], v[26:27]
	s_add_i32 s15, s14, 0x1f0
	s_waitcnt vmcnt(1) lgkmcnt(0)
	v_mul_f64 v[26:27], v[216:217], v[4:5]
	v_mul_f64 v[4:5], v[214:215], v[4:5]
	v_fmac_f64_e32 v[4:5], v[216:217], v[2:3]
	v_fma_f64 v[26:27], v[214:215], v[2:3], -v[26:27]
	v_add_f64 v[24:25], v[24:25], v[4:5]
	ds_read_b128 v[2:5], v28 offset:1504
	v_add_f64 v[10:11], v[10:11], v[26:27]
	s_waitcnt vmcnt(0) lgkmcnt(0)
	v_mul_f64 v[26:27], v[4:5], v[204:205]
	v_fma_f64 v[26:27], v[2:3], v[202:203], -v[26:27]
	v_mul_f64 v[2:3], v[2:3], v[204:205]
	v_fmac_f64_e32 v[2:3], v[4:5], v[202:203]
	scratch_load_dwordx4 v[202:205], off, s15
	v_add_f64 v[24:25], v[24:25], v[2:3]
	ds_read_b128 v[2:5], v28 offset:1520
	v_add_f64 v[10:11], v[10:11], v[26:27]
	s_add_i32 s15, s14, 0x200
	s_addk_i32 s14, 0x210
	s_waitcnt vmcnt(0) lgkmcnt(0)
	v_mul_f64 v[26:27], v[4:5], v[204:205]
	v_fma_f64 v[26:27], v[2:3], v[202:203], -v[26:27]
	v_mul_f64 v[2:3], v[2:3], v[204:205]
	v_fmac_f64_e32 v[2:3], v[4:5], v[202:203]
	scratch_load_dwordx4 v[202:205], off, s15
	v_add_f64 v[24:25], v[24:25], v[2:3]
	ds_read_b128 v[2:5], v28 offset:1536
	v_add_f64 v[10:11], v[10:11], v[26:27]
	s_waitcnt vmcnt(0) lgkmcnt(0)
	v_mul_f64 v[26:27], v[4:5], v[204:205]
	v_fma_f64 v[26:27], v[2:3], v[202:203], -v[26:27]
	v_mul_f64 v[2:3], v[2:3], v[204:205]
	v_fmac_f64_e32 v[2:3], v[4:5], v[202:203]
	scratch_load_dwordx4 v[202:205], off, s14
	v_add_f64 v[24:25], v[24:25], v[2:3]
	ds_read_b128 v[2:5], v28 offset:1552
	v_add_f64 v[10:11], v[10:11], v[26:27]
	s_add_i32 s14, s13, 8
	v_cmp_eq_u32_e32 vcc, s14, v7
	s_add_i32 s13, s13, 34
	s_or_b64 s[10:11], vcc, s[10:11]
	s_waitcnt vmcnt(0) lgkmcnt(0)
	v_mul_f64 v[26:27], v[4:5], v[204:205]
	v_mul_f64 v[28:29], v[2:3], v[204:205]
	v_fma_f64 v[26:27], v[2:3], v[202:203], -v[26:27]
	v_fmac_f64_e32 v[28:29], v[4:5], v[202:203]
	v_add_f64 v[2:3], v[10:11], v[26:27]
	v_add_f64 v[4:5], v[24:25], v[28:29]
	v_mov_b32_e32 v202, s13
	s_mov_b32 s13, s14
	s_andn2_b64 exec, exec, s[10:11]
	s_cbranch_execnz .LBB127_515
; %bb.516:
	s_or_b64 exec, exec, s[10:11]
.LBB127_517:
	s_or_b64 exec, exec, s[0:1]
	v_and_b32_e32 v6, 7, v6
	v_cmp_ne_u32_e32 vcc, 0, v6
	s_and_saveexec_b64 s[0:1], vcc
	s_cbranch_execz .LBB127_521
; %bb.518:
	v_lshlrev_b32_e32 v10, 4, v202
	v_add_u32_e32 v7, 0x400, v10
	v_add_u32_e32 v201, 0, v10
	s_mov_b64 s[10:11], 0
.LBB127_519:                            ; =>This Inner Loop Header: Depth=1
	scratch_load_dwordx4 v[202:205], v201, off
	ds_read_b128 v[206:209], v7
	v_add_u32_e32 v6, -1, v6
	v_cmp_eq_u32_e32 vcc, 0, v6
	v_add_u32_e32 v7, 16, v7
	v_add_u32_e32 v201, 16, v201
	s_or_b64 s[10:11], vcc, s[10:11]
	s_waitcnt vmcnt(0) lgkmcnt(0)
	v_mul_f64 v[10:11], v[208:209], v[204:205]
	v_mul_f64 v[24:25], v[206:207], v[204:205]
	v_fma_f64 v[10:11], v[206:207], v[202:203], -v[10:11]
	v_fmac_f64_e32 v[24:25], v[208:209], v[202:203]
	v_add_f64 v[2:3], v[2:3], v[10:11]
	v_add_f64 v[4:5], v[4:5], v[24:25]
	s_andn2_b64 exec, exec, s[10:11]
	s_cbranch_execnz .LBB127_519
; %bb.520:
	s_or_b64 exec, exec, s[10:11]
.LBB127_521:
	s_or_b64 exec, exec, s[0:1]
.LBB127_522:
	s_or_b64 exec, exec, s[8:9]
	v_mov_b32_e32 v6, 0
	ds_read_b128 v[202:205], v6 offset:400
	s_waitcnt lgkmcnt(0)
	v_mul_f64 v[6:7], v[4:5], v[204:205]
	v_mul_f64 v[206:207], v[2:3], v[204:205]
	v_fma_f64 v[204:205], v[2:3], v[202:203], -v[6:7]
	v_fmac_f64_e32 v[206:207], v[4:5], v[202:203]
	scratch_store_dwordx4 off, v[204:207], off offset:400
.LBB127_523:
	s_or_b64 exec, exec, s[4:5]
	scratch_load_dwordx4 v[2:5], v177, off
	v_cmp_lt_u32_e64 s[0:1], 24, v0
	s_waitcnt vmcnt(0)
	ds_write_b128 v9, v[2:5]
	s_waitcnt lgkmcnt(0)
	; wave barrier
	s_waitcnt lgkmcnt(0)
	s_and_saveexec_b64 s[4:5], s[0:1]
	s_cbranch_execz .LBB127_537
; %bb.524:
	ds_read_b128 v[2:5], v9
	s_andn2_b64 vcc, exec, s[6:7]
	s_cbranch_vccnz .LBB127_526
; %bb.525:
	scratch_load_dwordx4 v[202:205], v8, off
	s_waitcnt vmcnt(0) lgkmcnt(0)
	v_mul_f64 v[10:11], v[2:3], v[204:205]
	v_mul_f64 v[6:7], v[4:5], v[204:205]
	v_fmac_f64_e32 v[10:11], v[4:5], v[202:203]
	v_fma_f64 v[2:3], v[2:3], v[202:203], -v[6:7]
	v_mov_b64_e32 v[4:5], v[10:11]
.LBB127_526:
	s_and_saveexec_b64 s[8:9], s[2:3]
	s_cbranch_execz .LBB127_536
; %bb.527:
	v_subrev_u32_e32 v7, 26, v0
	v_subrev_u32_e32 v6, 25, v0
	v_cmp_lt_u32_e32 vcc, 6, v7
	v_mov_b32_e32 v202, 25
	s_and_saveexec_b64 s[2:3], vcc
	s_cbranch_execz .LBB127_531
; %bb.528:
	v_and_b32_e32 v7, -8, v6
	s_mov_b32 s12, 0
	s_mov_b64 s[10:11], 0
	v_mov_b32_e32 v201, 0
	s_mov_b32 s13, 0
.LBB127_529:                            ; =>This Inner Loop Header: Depth=1
	v_readfirstlane_b32 s14, v201
	s_add_i32 s14, s14, s12
	s_add_i32 s15, s14, 0x190
	v_mov_b32_e32 v28, s12
	ds_read_b128 v[202:205], v28 offset:1424
	ds_read_b128 v[206:209], v28 offset:1440
	;; [unrolled: 1-line block ×4, first 2 shown]
	scratch_load_dwordx4 v[218:221], off, s15
	s_add_i32 s15, s14, 0x1a0
	s_addk_i32 s12, 0x80
	s_waitcnt vmcnt(0) lgkmcnt(3)
	v_mul_f64 v[10:11], v[204:205], v[220:221]
	v_mul_f64 v[24:25], v[202:203], v[220:221]
	v_fma_f64 v[10:11], v[202:203], v[218:219], -v[10:11]
	v_fmac_f64_e32 v[24:25], v[204:205], v[218:219]
	v_add_f64 v[10:11], v[2:3], v[10:11]
	v_add_f64 v[24:25], v[4:5], v[24:25]
	scratch_load_dwordx4 v[2:5], off, s15
	s_add_i32 s15, s14, 0x1b0
	s_waitcnt vmcnt(0) lgkmcnt(2)
	v_mul_f64 v[26:27], v[208:209], v[4:5]
	v_mul_f64 v[4:5], v[206:207], v[4:5]
	v_fmac_f64_e32 v[4:5], v[208:209], v[2:3]
	v_fma_f64 v[26:27], v[206:207], v[2:3], -v[26:27]
	v_add_f64 v[24:25], v[24:25], v[4:5]
	scratch_load_dwordx4 v[2:5], off, s15
	v_add_f64 v[10:11], v[10:11], v[26:27]
	s_add_i32 s15, s14, 0x1c0
	s_waitcnt vmcnt(0) lgkmcnt(1)
	v_mul_f64 v[26:27], v[212:213], v[4:5]
	v_mul_f64 v[4:5], v[210:211], v[4:5]
	v_fmac_f64_e32 v[4:5], v[212:213], v[2:3]
	v_fma_f64 v[26:27], v[210:211], v[2:3], -v[26:27]
	v_add_f64 v[24:25], v[24:25], v[4:5]
	scratch_load_dwordx4 v[2:5], off, s15
	s_add_i32 s15, s14, 0x1d0
	scratch_load_dwordx4 v[202:205], off, s15
	v_add_f64 v[10:11], v[10:11], v[26:27]
	s_add_i32 s15, s14, 0x1e0
	s_waitcnt vmcnt(1) lgkmcnt(0)
	v_mul_f64 v[26:27], v[216:217], v[4:5]
	v_mul_f64 v[4:5], v[214:215], v[4:5]
	v_fmac_f64_e32 v[4:5], v[216:217], v[2:3]
	v_fma_f64 v[26:27], v[214:215], v[2:3], -v[26:27]
	v_add_f64 v[24:25], v[24:25], v[4:5]
	ds_read_b128 v[2:5], v28 offset:1488
	v_add_f64 v[10:11], v[10:11], v[26:27]
	s_waitcnt vmcnt(0) lgkmcnt(0)
	v_mul_f64 v[26:27], v[4:5], v[204:205]
	v_fma_f64 v[26:27], v[2:3], v[202:203], -v[26:27]
	v_mul_f64 v[2:3], v[2:3], v[204:205]
	v_fmac_f64_e32 v[2:3], v[4:5], v[202:203]
	scratch_load_dwordx4 v[202:205], off, s15
	v_add_f64 v[24:25], v[24:25], v[2:3]
	ds_read_b128 v[2:5], v28 offset:1504
	v_add_f64 v[10:11], v[10:11], v[26:27]
	s_add_i32 s15, s14, 0x1f0
	s_addk_i32 s14, 0x200
	s_waitcnt vmcnt(0) lgkmcnt(0)
	v_mul_f64 v[26:27], v[4:5], v[204:205]
	v_fma_f64 v[26:27], v[2:3], v[202:203], -v[26:27]
	v_mul_f64 v[2:3], v[2:3], v[204:205]
	v_fmac_f64_e32 v[2:3], v[4:5], v[202:203]
	scratch_load_dwordx4 v[202:205], off, s15
	v_add_f64 v[24:25], v[24:25], v[2:3]
	ds_read_b128 v[2:5], v28 offset:1520
	v_add_f64 v[10:11], v[10:11], v[26:27]
	s_waitcnt vmcnt(0) lgkmcnt(0)
	v_mul_f64 v[26:27], v[4:5], v[204:205]
	v_fma_f64 v[26:27], v[2:3], v[202:203], -v[26:27]
	v_mul_f64 v[2:3], v[2:3], v[204:205]
	v_fmac_f64_e32 v[2:3], v[4:5], v[202:203]
	scratch_load_dwordx4 v[202:205], off, s14
	v_add_f64 v[24:25], v[24:25], v[2:3]
	ds_read_b128 v[2:5], v28 offset:1536
	v_add_f64 v[10:11], v[10:11], v[26:27]
	s_add_i32 s14, s13, 8
	v_cmp_eq_u32_e32 vcc, s14, v7
	s_add_i32 s13, s13, 33
	s_or_b64 s[10:11], vcc, s[10:11]
	s_waitcnt vmcnt(0) lgkmcnt(0)
	v_mul_f64 v[26:27], v[4:5], v[204:205]
	v_mul_f64 v[28:29], v[2:3], v[204:205]
	v_fma_f64 v[26:27], v[2:3], v[202:203], -v[26:27]
	v_fmac_f64_e32 v[28:29], v[4:5], v[202:203]
	v_add_f64 v[2:3], v[10:11], v[26:27]
	v_add_f64 v[4:5], v[24:25], v[28:29]
	v_mov_b32_e32 v202, s13
	s_mov_b32 s13, s14
	s_andn2_b64 exec, exec, s[10:11]
	s_cbranch_execnz .LBB127_529
; %bb.530:
	s_or_b64 exec, exec, s[10:11]
.LBB127_531:
	s_or_b64 exec, exec, s[2:3]
	v_and_b32_e32 v6, 7, v6
	v_cmp_ne_u32_e32 vcc, 0, v6
	s_and_saveexec_b64 s[2:3], vcc
	s_cbranch_execz .LBB127_535
; %bb.532:
	v_lshlrev_b32_e32 v10, 4, v202
	v_add_u32_e32 v7, 0x400, v10
	v_add_u32_e32 v201, 0, v10
	s_mov_b64 s[10:11], 0
.LBB127_533:                            ; =>This Inner Loop Header: Depth=1
	scratch_load_dwordx4 v[202:205], v201, off
	ds_read_b128 v[206:209], v7
	v_add_u32_e32 v6, -1, v6
	v_cmp_eq_u32_e32 vcc, 0, v6
	v_add_u32_e32 v7, 16, v7
	v_add_u32_e32 v201, 16, v201
	s_or_b64 s[10:11], vcc, s[10:11]
	s_waitcnt vmcnt(0) lgkmcnt(0)
	v_mul_f64 v[10:11], v[208:209], v[204:205]
	v_mul_f64 v[24:25], v[206:207], v[204:205]
	v_fma_f64 v[10:11], v[206:207], v[202:203], -v[10:11]
	v_fmac_f64_e32 v[24:25], v[208:209], v[202:203]
	v_add_f64 v[2:3], v[2:3], v[10:11]
	v_add_f64 v[4:5], v[4:5], v[24:25]
	s_andn2_b64 exec, exec, s[10:11]
	s_cbranch_execnz .LBB127_533
; %bb.534:
	s_or_b64 exec, exec, s[10:11]
.LBB127_535:
	s_or_b64 exec, exec, s[2:3]
.LBB127_536:
	s_or_b64 exec, exec, s[8:9]
	v_mov_b32_e32 v6, 0
	ds_read_b128 v[202:205], v6 offset:384
	s_waitcnt lgkmcnt(0)
	v_mul_f64 v[6:7], v[4:5], v[204:205]
	v_mul_f64 v[206:207], v[2:3], v[204:205]
	v_fma_f64 v[204:205], v[2:3], v[202:203], -v[6:7]
	v_fmac_f64_e32 v[206:207], v[4:5], v[202:203]
	scratch_store_dwordx4 off, v[204:207], off offset:384
.LBB127_537:
	s_or_b64 exec, exec, s[4:5]
	scratch_load_dwordx4 v[2:5], v178, off
	v_cmp_lt_u32_e64 s[2:3], 23, v0
	s_waitcnt vmcnt(0)
	ds_write_b128 v9, v[2:5]
	s_waitcnt lgkmcnt(0)
	; wave barrier
	s_waitcnt lgkmcnt(0)
	s_and_saveexec_b64 s[4:5], s[2:3]
	s_cbranch_execz .LBB127_551
; %bb.538:
	ds_read_b128 v[2:5], v9
	s_andn2_b64 vcc, exec, s[6:7]
	s_cbranch_vccnz .LBB127_540
; %bb.539:
	scratch_load_dwordx4 v[202:205], v8, off
	s_waitcnt vmcnt(0) lgkmcnt(0)
	v_mul_f64 v[10:11], v[2:3], v[204:205]
	v_mul_f64 v[6:7], v[4:5], v[204:205]
	v_fmac_f64_e32 v[10:11], v[4:5], v[202:203]
	v_fma_f64 v[2:3], v[2:3], v[202:203], -v[6:7]
	v_mov_b64_e32 v[4:5], v[10:11]
.LBB127_540:
	s_and_saveexec_b64 s[8:9], s[0:1]
	s_cbranch_execz .LBB127_550
; %bb.541:
	v_subrev_u32_e32 v6, 25, v0
	v_cmp_lt_u32_e32 vcc, 6, v6
	v_mov_b32_e32 v6, 24
	s_and_saveexec_b64 s[0:1], vcc
	s_cbranch_execz .LBB127_545
; %bb.542:
	v_and_b32_e32 v6, 56, v0
	s_mov_b32 s12, 24
	s_mov_b32 s13, 0
	s_mov_b64 s[10:11], 0
	v_mov_b32_e32 v7, 0
.LBB127_543:                            ; =>This Inner Loop Header: Depth=1
	s_nop 0
	v_readfirstlane_b32 s14, v7
	s_add_i32 s14, s14, s13
	s_add_i32 s15, s14, 0x180
	v_mov_b32_e32 v28, s13
	ds_read_b128 v[202:205], v28 offset:1408
	ds_read_b128 v[206:209], v28 offset:1424
	;; [unrolled: 1-line block ×4, first 2 shown]
	scratch_load_dwordx4 v[218:221], off, s15
	s_add_i32 s15, s14, 0x190
	s_add_i32 s12, s12, 8
	s_addk_i32 s13, 0x80
	v_cmp_eq_u32_e32 vcc, s12, v6
	s_waitcnt vmcnt(0) lgkmcnt(3)
	v_mul_f64 v[10:11], v[204:205], v[220:221]
	v_mul_f64 v[24:25], v[202:203], v[220:221]
	v_fma_f64 v[10:11], v[202:203], v[218:219], -v[10:11]
	v_fmac_f64_e32 v[24:25], v[204:205], v[218:219]
	v_add_f64 v[10:11], v[2:3], v[10:11]
	v_add_f64 v[24:25], v[4:5], v[24:25]
	scratch_load_dwordx4 v[2:5], off, s15
	s_add_i32 s15, s14, 0x1a0
	s_waitcnt vmcnt(0) lgkmcnt(2)
	v_mul_f64 v[26:27], v[208:209], v[4:5]
	v_mul_f64 v[4:5], v[206:207], v[4:5]
	v_fmac_f64_e32 v[4:5], v[208:209], v[2:3]
	v_fma_f64 v[26:27], v[206:207], v[2:3], -v[26:27]
	v_add_f64 v[24:25], v[24:25], v[4:5]
	scratch_load_dwordx4 v[2:5], off, s15
	v_add_f64 v[10:11], v[10:11], v[26:27]
	s_add_i32 s15, s14, 0x1b0
	s_waitcnt vmcnt(0) lgkmcnt(1)
	v_mul_f64 v[26:27], v[212:213], v[4:5]
	v_mul_f64 v[4:5], v[210:211], v[4:5]
	v_fmac_f64_e32 v[4:5], v[212:213], v[2:3]
	v_fma_f64 v[26:27], v[210:211], v[2:3], -v[26:27]
	v_add_f64 v[24:25], v[24:25], v[4:5]
	scratch_load_dwordx4 v[2:5], off, s15
	s_add_i32 s15, s14, 0x1c0
	scratch_load_dwordx4 v[202:205], off, s15
	v_add_f64 v[10:11], v[10:11], v[26:27]
	s_add_i32 s15, s14, 0x1d0
	s_waitcnt vmcnt(1) lgkmcnt(0)
	v_mul_f64 v[26:27], v[216:217], v[4:5]
	v_mul_f64 v[4:5], v[214:215], v[4:5]
	v_fmac_f64_e32 v[4:5], v[216:217], v[2:3]
	v_fma_f64 v[26:27], v[214:215], v[2:3], -v[26:27]
	v_add_f64 v[24:25], v[24:25], v[4:5]
	ds_read_b128 v[2:5], v28 offset:1472
	v_add_f64 v[10:11], v[10:11], v[26:27]
	s_waitcnt vmcnt(0) lgkmcnt(0)
	v_mul_f64 v[26:27], v[4:5], v[204:205]
	v_fma_f64 v[26:27], v[2:3], v[202:203], -v[26:27]
	v_mul_f64 v[2:3], v[2:3], v[204:205]
	v_fmac_f64_e32 v[2:3], v[4:5], v[202:203]
	scratch_load_dwordx4 v[202:205], off, s15
	v_add_f64 v[24:25], v[24:25], v[2:3]
	ds_read_b128 v[2:5], v28 offset:1488
	v_add_f64 v[10:11], v[10:11], v[26:27]
	s_add_i32 s15, s14, 0x1e0
	s_addk_i32 s14, 0x1f0
	s_or_b64 s[10:11], vcc, s[10:11]
	s_waitcnt vmcnt(0) lgkmcnt(0)
	v_mul_f64 v[26:27], v[4:5], v[204:205]
	v_fma_f64 v[26:27], v[2:3], v[202:203], -v[26:27]
	v_mul_f64 v[2:3], v[2:3], v[204:205]
	v_fmac_f64_e32 v[2:3], v[4:5], v[202:203]
	scratch_load_dwordx4 v[202:205], off, s15
	v_add_f64 v[24:25], v[24:25], v[2:3]
	ds_read_b128 v[2:5], v28 offset:1504
	v_add_f64 v[10:11], v[10:11], v[26:27]
	s_waitcnt vmcnt(0) lgkmcnt(0)
	v_mul_f64 v[26:27], v[4:5], v[204:205]
	v_fma_f64 v[26:27], v[2:3], v[202:203], -v[26:27]
	v_mul_f64 v[2:3], v[2:3], v[204:205]
	v_fmac_f64_e32 v[2:3], v[4:5], v[202:203]
	scratch_load_dwordx4 v[202:205], off, s14
	v_add_f64 v[24:25], v[24:25], v[2:3]
	ds_read_b128 v[2:5], v28 offset:1520
	v_add_f64 v[10:11], v[10:11], v[26:27]
	s_waitcnt vmcnt(0) lgkmcnt(0)
	v_mul_f64 v[26:27], v[4:5], v[204:205]
	v_mul_f64 v[28:29], v[2:3], v[204:205]
	v_fma_f64 v[26:27], v[2:3], v[202:203], -v[26:27]
	v_fmac_f64_e32 v[28:29], v[4:5], v[202:203]
	v_add_f64 v[2:3], v[10:11], v[26:27]
	v_add_f64 v[4:5], v[24:25], v[28:29]
	s_andn2_b64 exec, exec, s[10:11]
	s_cbranch_execnz .LBB127_543
; %bb.544:
	s_or_b64 exec, exec, s[10:11]
.LBB127_545:
	s_or_b64 exec, exec, s[0:1]
	v_and_b32_e32 v7, 7, v0
	v_cmp_ne_u32_e32 vcc, 0, v7
	s_and_saveexec_b64 s[0:1], vcc
	s_cbranch_execz .LBB127_549
; %bb.546:
	v_lshlrev_b32_e32 v10, 4, v6
	v_or_b32_e32 v6, 0x400, v10
	v_add_u32_e32 v201, 0, v10
	s_mov_b64 s[10:11], 0
.LBB127_547:                            ; =>This Inner Loop Header: Depth=1
	scratch_load_dwordx4 v[202:205], v201, off
	ds_read_b128 v[206:209], v6
	v_add_u32_e32 v7, -1, v7
	v_cmp_eq_u32_e32 vcc, 0, v7
	v_add_u32_e32 v6, 16, v6
	v_add_u32_e32 v201, 16, v201
	s_or_b64 s[10:11], vcc, s[10:11]
	s_waitcnt vmcnt(0) lgkmcnt(0)
	v_mul_f64 v[10:11], v[208:209], v[204:205]
	v_mul_f64 v[24:25], v[206:207], v[204:205]
	v_fma_f64 v[10:11], v[206:207], v[202:203], -v[10:11]
	v_fmac_f64_e32 v[24:25], v[208:209], v[202:203]
	v_add_f64 v[2:3], v[2:3], v[10:11]
	v_add_f64 v[4:5], v[4:5], v[24:25]
	s_andn2_b64 exec, exec, s[10:11]
	s_cbranch_execnz .LBB127_547
; %bb.548:
	s_or_b64 exec, exec, s[10:11]
.LBB127_549:
	s_or_b64 exec, exec, s[0:1]
.LBB127_550:
	s_or_b64 exec, exec, s[8:9]
	v_mov_b32_e32 v6, 0
	ds_read_b128 v[202:205], v6 offset:368
	s_waitcnt lgkmcnt(0)
	v_mul_f64 v[6:7], v[4:5], v[204:205]
	v_mul_f64 v[206:207], v[2:3], v[204:205]
	v_fma_f64 v[204:205], v[2:3], v[202:203], -v[6:7]
	v_fmac_f64_e32 v[206:207], v[4:5], v[202:203]
	scratch_store_dwordx4 off, v[204:207], off offset:368
.LBB127_551:
	s_or_b64 exec, exec, s[4:5]
	scratch_load_dwordx4 v[2:5], v179, off
	v_cmp_lt_u32_e64 s[0:1], 22, v0
	s_waitcnt vmcnt(0)
	ds_write_b128 v9, v[2:5]
	s_waitcnt lgkmcnt(0)
	; wave barrier
	s_waitcnt lgkmcnt(0)
	s_and_saveexec_b64 s[4:5], s[0:1]
	s_cbranch_execz .LBB127_565
; %bb.552:
	ds_read_b128 v[2:5], v9
	s_andn2_b64 vcc, exec, s[6:7]
	s_cbranch_vccnz .LBB127_554
; %bb.553:
	scratch_load_dwordx4 v[202:205], v8, off
	s_waitcnt vmcnt(0) lgkmcnt(0)
	v_mul_f64 v[10:11], v[2:3], v[204:205]
	v_mul_f64 v[6:7], v[4:5], v[204:205]
	v_fmac_f64_e32 v[10:11], v[4:5], v[202:203]
	v_fma_f64 v[2:3], v[2:3], v[202:203], -v[6:7]
	v_mov_b64_e32 v[4:5], v[10:11]
.LBB127_554:
	s_and_saveexec_b64 s[8:9], s[2:3]
	s_cbranch_execz .LBB127_564
; %bb.555:
	v_subrev_u32_e32 v7, 24, v0
	v_subrev_u32_e32 v6, 23, v0
	v_cmp_lt_u32_e32 vcc, 6, v7
	v_mov_b32_e32 v202, 23
	s_and_saveexec_b64 s[2:3], vcc
	s_cbranch_execz .LBB127_559
; %bb.556:
	v_and_b32_e32 v7, -8, v6
	s_mov_b32 s12, 0
	s_mov_b64 s[10:11], 0
	v_mov_b32_e32 v201, 0
	s_mov_b32 s13, 0
.LBB127_557:                            ; =>This Inner Loop Header: Depth=1
	v_readfirstlane_b32 s14, v201
	s_add_i32 s14, s14, s12
	s_add_i32 s15, s14, 0x170
	v_mov_b32_e32 v28, s12
	ds_read_b128 v[202:205], v28 offset:1392
	ds_read_b128 v[206:209], v28 offset:1408
	;; [unrolled: 1-line block ×4, first 2 shown]
	scratch_load_dwordx4 v[218:221], off, s15
	s_add_i32 s15, s14, 0x180
	s_addk_i32 s12, 0x80
	s_waitcnt vmcnt(0) lgkmcnt(3)
	v_mul_f64 v[10:11], v[204:205], v[220:221]
	v_mul_f64 v[24:25], v[202:203], v[220:221]
	v_fma_f64 v[10:11], v[202:203], v[218:219], -v[10:11]
	v_fmac_f64_e32 v[24:25], v[204:205], v[218:219]
	v_add_f64 v[10:11], v[2:3], v[10:11]
	v_add_f64 v[24:25], v[4:5], v[24:25]
	scratch_load_dwordx4 v[2:5], off, s15
	s_add_i32 s15, s14, 0x190
	s_waitcnt vmcnt(0) lgkmcnt(2)
	v_mul_f64 v[26:27], v[208:209], v[4:5]
	v_mul_f64 v[4:5], v[206:207], v[4:5]
	v_fmac_f64_e32 v[4:5], v[208:209], v[2:3]
	v_fma_f64 v[26:27], v[206:207], v[2:3], -v[26:27]
	v_add_f64 v[24:25], v[24:25], v[4:5]
	scratch_load_dwordx4 v[2:5], off, s15
	v_add_f64 v[10:11], v[10:11], v[26:27]
	s_add_i32 s15, s14, 0x1a0
	s_waitcnt vmcnt(0) lgkmcnt(1)
	v_mul_f64 v[26:27], v[212:213], v[4:5]
	v_mul_f64 v[4:5], v[210:211], v[4:5]
	v_fmac_f64_e32 v[4:5], v[212:213], v[2:3]
	v_fma_f64 v[26:27], v[210:211], v[2:3], -v[26:27]
	v_add_f64 v[24:25], v[24:25], v[4:5]
	scratch_load_dwordx4 v[2:5], off, s15
	s_add_i32 s15, s14, 0x1b0
	scratch_load_dwordx4 v[202:205], off, s15
	v_add_f64 v[10:11], v[10:11], v[26:27]
	s_add_i32 s15, s14, 0x1c0
	s_waitcnt vmcnt(1) lgkmcnt(0)
	v_mul_f64 v[26:27], v[216:217], v[4:5]
	v_mul_f64 v[4:5], v[214:215], v[4:5]
	v_fmac_f64_e32 v[4:5], v[216:217], v[2:3]
	v_fma_f64 v[26:27], v[214:215], v[2:3], -v[26:27]
	v_add_f64 v[24:25], v[24:25], v[4:5]
	ds_read_b128 v[2:5], v28 offset:1456
	v_add_f64 v[10:11], v[10:11], v[26:27]
	s_waitcnt vmcnt(0) lgkmcnt(0)
	v_mul_f64 v[26:27], v[4:5], v[204:205]
	v_fma_f64 v[26:27], v[2:3], v[202:203], -v[26:27]
	v_mul_f64 v[2:3], v[2:3], v[204:205]
	v_fmac_f64_e32 v[2:3], v[4:5], v[202:203]
	scratch_load_dwordx4 v[202:205], off, s15
	v_add_f64 v[24:25], v[24:25], v[2:3]
	ds_read_b128 v[2:5], v28 offset:1472
	v_add_f64 v[10:11], v[10:11], v[26:27]
	s_add_i32 s15, s14, 0x1d0
	s_addk_i32 s14, 0x1e0
	s_waitcnt vmcnt(0) lgkmcnt(0)
	v_mul_f64 v[26:27], v[4:5], v[204:205]
	v_fma_f64 v[26:27], v[2:3], v[202:203], -v[26:27]
	v_mul_f64 v[2:3], v[2:3], v[204:205]
	v_fmac_f64_e32 v[2:3], v[4:5], v[202:203]
	scratch_load_dwordx4 v[202:205], off, s15
	v_add_f64 v[24:25], v[24:25], v[2:3]
	ds_read_b128 v[2:5], v28 offset:1488
	v_add_f64 v[10:11], v[10:11], v[26:27]
	s_waitcnt vmcnt(0) lgkmcnt(0)
	v_mul_f64 v[26:27], v[4:5], v[204:205]
	v_fma_f64 v[26:27], v[2:3], v[202:203], -v[26:27]
	v_mul_f64 v[2:3], v[2:3], v[204:205]
	v_fmac_f64_e32 v[2:3], v[4:5], v[202:203]
	scratch_load_dwordx4 v[202:205], off, s14
	v_add_f64 v[24:25], v[24:25], v[2:3]
	ds_read_b128 v[2:5], v28 offset:1504
	v_add_f64 v[10:11], v[10:11], v[26:27]
	s_add_i32 s14, s13, 8
	v_cmp_eq_u32_e32 vcc, s14, v7
	s_add_i32 s13, s13, 31
	s_or_b64 s[10:11], vcc, s[10:11]
	s_waitcnt vmcnt(0) lgkmcnt(0)
	v_mul_f64 v[26:27], v[4:5], v[204:205]
	v_mul_f64 v[28:29], v[2:3], v[204:205]
	v_fma_f64 v[26:27], v[2:3], v[202:203], -v[26:27]
	v_fmac_f64_e32 v[28:29], v[4:5], v[202:203]
	v_add_f64 v[2:3], v[10:11], v[26:27]
	v_add_f64 v[4:5], v[24:25], v[28:29]
	v_mov_b32_e32 v202, s13
	s_mov_b32 s13, s14
	s_andn2_b64 exec, exec, s[10:11]
	s_cbranch_execnz .LBB127_557
; %bb.558:
	s_or_b64 exec, exec, s[10:11]
.LBB127_559:
	s_or_b64 exec, exec, s[2:3]
	v_and_b32_e32 v6, 7, v6
	v_cmp_ne_u32_e32 vcc, 0, v6
	s_and_saveexec_b64 s[2:3], vcc
	s_cbranch_execz .LBB127_563
; %bb.560:
	v_lshlrev_b32_e32 v10, 4, v202
	v_add_u32_e32 v7, 0x400, v10
	v_add_u32_e32 v201, 0, v10
	s_mov_b64 s[10:11], 0
.LBB127_561:                            ; =>This Inner Loop Header: Depth=1
	scratch_load_dwordx4 v[202:205], v201, off
	ds_read_b128 v[206:209], v7
	v_add_u32_e32 v6, -1, v6
	v_cmp_eq_u32_e32 vcc, 0, v6
	v_add_u32_e32 v7, 16, v7
	v_add_u32_e32 v201, 16, v201
	s_or_b64 s[10:11], vcc, s[10:11]
	s_waitcnt vmcnt(0) lgkmcnt(0)
	v_mul_f64 v[10:11], v[208:209], v[204:205]
	v_mul_f64 v[24:25], v[206:207], v[204:205]
	v_fma_f64 v[10:11], v[206:207], v[202:203], -v[10:11]
	v_fmac_f64_e32 v[24:25], v[208:209], v[202:203]
	v_add_f64 v[2:3], v[2:3], v[10:11]
	v_add_f64 v[4:5], v[4:5], v[24:25]
	s_andn2_b64 exec, exec, s[10:11]
	s_cbranch_execnz .LBB127_561
; %bb.562:
	s_or_b64 exec, exec, s[10:11]
.LBB127_563:
	s_or_b64 exec, exec, s[2:3]
.LBB127_564:
	s_or_b64 exec, exec, s[8:9]
	v_mov_b32_e32 v6, 0
	ds_read_b128 v[202:205], v6 offset:352
	s_waitcnt lgkmcnt(0)
	v_mul_f64 v[6:7], v[4:5], v[204:205]
	v_mul_f64 v[206:207], v[2:3], v[204:205]
	v_fma_f64 v[204:205], v[2:3], v[202:203], -v[6:7]
	v_fmac_f64_e32 v[206:207], v[4:5], v[202:203]
	scratch_store_dwordx4 off, v[204:207], off offset:352
.LBB127_565:
	s_or_b64 exec, exec, s[4:5]
	scratch_load_dwordx4 v[2:5], v180, off
	v_cmp_lt_u32_e64 s[2:3], 21, v0
	s_waitcnt vmcnt(0)
	ds_write_b128 v9, v[2:5]
	s_waitcnt lgkmcnt(0)
	; wave barrier
	s_waitcnt lgkmcnt(0)
	s_and_saveexec_b64 s[4:5], s[2:3]
	s_cbranch_execz .LBB127_579
; %bb.566:
	ds_read_b128 v[2:5], v9
	s_andn2_b64 vcc, exec, s[6:7]
	s_cbranch_vccnz .LBB127_568
; %bb.567:
	scratch_load_dwordx4 v[202:205], v8, off
	s_waitcnt vmcnt(0) lgkmcnt(0)
	v_mul_f64 v[10:11], v[2:3], v[204:205]
	v_mul_f64 v[6:7], v[4:5], v[204:205]
	v_fmac_f64_e32 v[10:11], v[4:5], v[202:203]
	v_fma_f64 v[2:3], v[2:3], v[202:203], -v[6:7]
	v_mov_b64_e32 v[4:5], v[10:11]
.LBB127_568:
	s_and_saveexec_b64 s[8:9], s[0:1]
	s_cbranch_execz .LBB127_578
; %bb.569:
	v_subrev_u32_e32 v7, 23, v0
	v_subrev_u32_e32 v6, 22, v0
	v_cmp_lt_u32_e32 vcc, 6, v7
	v_mov_b32_e32 v202, 22
	s_and_saveexec_b64 s[0:1], vcc
	s_cbranch_execz .LBB127_573
; %bb.570:
	v_and_b32_e32 v7, -8, v6
	s_mov_b32 s12, 0
	s_mov_b64 s[10:11], 0
	v_mov_b32_e32 v201, 0
	s_mov_b32 s13, 0
.LBB127_571:                            ; =>This Inner Loop Header: Depth=1
	v_readfirstlane_b32 s14, v201
	s_add_i32 s14, s14, s12
	s_add_i32 s15, s14, 0x160
	v_mov_b32_e32 v28, s12
	ds_read_b128 v[202:205], v28 offset:1376
	ds_read_b128 v[206:209], v28 offset:1392
	;; [unrolled: 1-line block ×4, first 2 shown]
	scratch_load_dwordx4 v[218:221], off, s15
	s_add_i32 s15, s14, 0x170
	s_addk_i32 s12, 0x80
	s_waitcnt vmcnt(0) lgkmcnt(3)
	v_mul_f64 v[10:11], v[204:205], v[220:221]
	v_mul_f64 v[24:25], v[202:203], v[220:221]
	v_fma_f64 v[10:11], v[202:203], v[218:219], -v[10:11]
	v_fmac_f64_e32 v[24:25], v[204:205], v[218:219]
	v_add_f64 v[10:11], v[2:3], v[10:11]
	v_add_f64 v[24:25], v[4:5], v[24:25]
	scratch_load_dwordx4 v[2:5], off, s15
	s_add_i32 s15, s14, 0x180
	s_waitcnt vmcnt(0) lgkmcnt(2)
	v_mul_f64 v[26:27], v[208:209], v[4:5]
	v_mul_f64 v[4:5], v[206:207], v[4:5]
	v_fmac_f64_e32 v[4:5], v[208:209], v[2:3]
	v_fma_f64 v[26:27], v[206:207], v[2:3], -v[26:27]
	v_add_f64 v[24:25], v[24:25], v[4:5]
	scratch_load_dwordx4 v[2:5], off, s15
	v_add_f64 v[10:11], v[10:11], v[26:27]
	s_add_i32 s15, s14, 0x190
	s_waitcnt vmcnt(0) lgkmcnt(1)
	v_mul_f64 v[26:27], v[212:213], v[4:5]
	v_mul_f64 v[4:5], v[210:211], v[4:5]
	v_fmac_f64_e32 v[4:5], v[212:213], v[2:3]
	v_fma_f64 v[26:27], v[210:211], v[2:3], -v[26:27]
	v_add_f64 v[24:25], v[24:25], v[4:5]
	scratch_load_dwordx4 v[2:5], off, s15
	s_add_i32 s15, s14, 0x1a0
	scratch_load_dwordx4 v[202:205], off, s15
	v_add_f64 v[10:11], v[10:11], v[26:27]
	s_add_i32 s15, s14, 0x1b0
	s_waitcnt vmcnt(1) lgkmcnt(0)
	v_mul_f64 v[26:27], v[216:217], v[4:5]
	v_mul_f64 v[4:5], v[214:215], v[4:5]
	v_fmac_f64_e32 v[4:5], v[216:217], v[2:3]
	v_fma_f64 v[26:27], v[214:215], v[2:3], -v[26:27]
	v_add_f64 v[24:25], v[24:25], v[4:5]
	ds_read_b128 v[2:5], v28 offset:1440
	v_add_f64 v[10:11], v[10:11], v[26:27]
	s_waitcnt vmcnt(0) lgkmcnt(0)
	v_mul_f64 v[26:27], v[4:5], v[204:205]
	v_fma_f64 v[26:27], v[2:3], v[202:203], -v[26:27]
	v_mul_f64 v[2:3], v[2:3], v[204:205]
	v_fmac_f64_e32 v[2:3], v[4:5], v[202:203]
	scratch_load_dwordx4 v[202:205], off, s15
	v_add_f64 v[24:25], v[24:25], v[2:3]
	ds_read_b128 v[2:5], v28 offset:1456
	v_add_f64 v[10:11], v[10:11], v[26:27]
	s_add_i32 s15, s14, 0x1c0
	s_addk_i32 s14, 0x1d0
	s_waitcnt vmcnt(0) lgkmcnt(0)
	v_mul_f64 v[26:27], v[4:5], v[204:205]
	v_fma_f64 v[26:27], v[2:3], v[202:203], -v[26:27]
	v_mul_f64 v[2:3], v[2:3], v[204:205]
	v_fmac_f64_e32 v[2:3], v[4:5], v[202:203]
	scratch_load_dwordx4 v[202:205], off, s15
	v_add_f64 v[24:25], v[24:25], v[2:3]
	ds_read_b128 v[2:5], v28 offset:1472
	v_add_f64 v[10:11], v[10:11], v[26:27]
	s_waitcnt vmcnt(0) lgkmcnt(0)
	v_mul_f64 v[26:27], v[4:5], v[204:205]
	v_fma_f64 v[26:27], v[2:3], v[202:203], -v[26:27]
	v_mul_f64 v[2:3], v[2:3], v[204:205]
	v_fmac_f64_e32 v[2:3], v[4:5], v[202:203]
	scratch_load_dwordx4 v[202:205], off, s14
	v_add_f64 v[24:25], v[24:25], v[2:3]
	ds_read_b128 v[2:5], v28 offset:1488
	v_add_f64 v[10:11], v[10:11], v[26:27]
	s_add_i32 s14, s13, 8
	v_cmp_eq_u32_e32 vcc, s14, v7
	s_add_i32 s13, s13, 30
	s_or_b64 s[10:11], vcc, s[10:11]
	s_waitcnt vmcnt(0) lgkmcnt(0)
	v_mul_f64 v[26:27], v[4:5], v[204:205]
	v_mul_f64 v[28:29], v[2:3], v[204:205]
	v_fma_f64 v[26:27], v[2:3], v[202:203], -v[26:27]
	v_fmac_f64_e32 v[28:29], v[4:5], v[202:203]
	v_add_f64 v[2:3], v[10:11], v[26:27]
	v_add_f64 v[4:5], v[24:25], v[28:29]
	v_mov_b32_e32 v202, s13
	s_mov_b32 s13, s14
	s_andn2_b64 exec, exec, s[10:11]
	s_cbranch_execnz .LBB127_571
; %bb.572:
	s_or_b64 exec, exec, s[10:11]
.LBB127_573:
	s_or_b64 exec, exec, s[0:1]
	v_and_b32_e32 v6, 7, v6
	v_cmp_ne_u32_e32 vcc, 0, v6
	s_and_saveexec_b64 s[0:1], vcc
	s_cbranch_execz .LBB127_577
; %bb.574:
	v_lshlrev_b32_e32 v10, 4, v202
	v_add_u32_e32 v7, 0x400, v10
	v_add_u32_e32 v201, 0, v10
	s_mov_b64 s[10:11], 0
.LBB127_575:                            ; =>This Inner Loop Header: Depth=1
	scratch_load_dwordx4 v[202:205], v201, off
	ds_read_b128 v[206:209], v7
	v_add_u32_e32 v6, -1, v6
	v_cmp_eq_u32_e32 vcc, 0, v6
	v_add_u32_e32 v7, 16, v7
	v_add_u32_e32 v201, 16, v201
	s_or_b64 s[10:11], vcc, s[10:11]
	s_waitcnt vmcnt(0) lgkmcnt(0)
	v_mul_f64 v[10:11], v[208:209], v[204:205]
	v_mul_f64 v[24:25], v[206:207], v[204:205]
	v_fma_f64 v[10:11], v[206:207], v[202:203], -v[10:11]
	v_fmac_f64_e32 v[24:25], v[208:209], v[202:203]
	v_add_f64 v[2:3], v[2:3], v[10:11]
	v_add_f64 v[4:5], v[4:5], v[24:25]
	s_andn2_b64 exec, exec, s[10:11]
	s_cbranch_execnz .LBB127_575
; %bb.576:
	s_or_b64 exec, exec, s[10:11]
.LBB127_577:
	s_or_b64 exec, exec, s[0:1]
.LBB127_578:
	s_or_b64 exec, exec, s[8:9]
	v_mov_b32_e32 v6, 0
	ds_read_b128 v[202:205], v6 offset:336
	s_waitcnt lgkmcnt(0)
	v_mul_f64 v[6:7], v[4:5], v[204:205]
	v_mul_f64 v[206:207], v[2:3], v[204:205]
	v_fma_f64 v[204:205], v[2:3], v[202:203], -v[6:7]
	v_fmac_f64_e32 v[206:207], v[4:5], v[202:203]
	scratch_store_dwordx4 off, v[204:207], off offset:336
.LBB127_579:
	s_or_b64 exec, exec, s[4:5]
	scratch_load_dwordx4 v[2:5], v181, off
	v_cmp_lt_u32_e64 s[0:1], 20, v0
	s_waitcnt vmcnt(0)
	ds_write_b128 v9, v[2:5]
	s_waitcnt lgkmcnt(0)
	; wave barrier
	s_waitcnt lgkmcnt(0)
	s_and_saveexec_b64 s[4:5], s[0:1]
	s_cbranch_execz .LBB127_593
; %bb.580:
	ds_read_b128 v[2:5], v9
	s_andn2_b64 vcc, exec, s[6:7]
	s_cbranch_vccnz .LBB127_582
; %bb.581:
	scratch_load_dwordx4 v[202:205], v8, off
	s_waitcnt vmcnt(0) lgkmcnt(0)
	v_mul_f64 v[10:11], v[2:3], v[204:205]
	v_mul_f64 v[6:7], v[4:5], v[204:205]
	v_fmac_f64_e32 v[10:11], v[4:5], v[202:203]
	v_fma_f64 v[2:3], v[2:3], v[202:203], -v[6:7]
	v_mov_b64_e32 v[4:5], v[10:11]
.LBB127_582:
	s_and_saveexec_b64 s[8:9], s[2:3]
	s_cbranch_execz .LBB127_592
; %bb.583:
	v_subrev_u32_e32 v7, 22, v0
	v_subrev_u32_e32 v6, 21, v0
	v_cmp_lt_u32_e32 vcc, 6, v7
	v_mov_b32_e32 v202, 21
	s_and_saveexec_b64 s[2:3], vcc
	s_cbranch_execz .LBB127_587
; %bb.584:
	v_and_b32_e32 v7, -8, v6
	s_mov_b32 s12, 0
	s_mov_b64 s[10:11], 0
	v_mov_b32_e32 v201, 0
	s_mov_b32 s13, 0
.LBB127_585:                            ; =>This Inner Loop Header: Depth=1
	v_readfirstlane_b32 s14, v201
	s_add_i32 s14, s14, s12
	s_add_i32 s15, s14, 0x150
	v_mov_b32_e32 v28, s12
	ds_read_b128 v[202:205], v28 offset:1360
	ds_read_b128 v[206:209], v28 offset:1376
	;; [unrolled: 1-line block ×4, first 2 shown]
	scratch_load_dwordx4 v[218:221], off, s15
	s_add_i32 s15, s14, 0x160
	s_addk_i32 s12, 0x80
	s_waitcnt vmcnt(0) lgkmcnt(3)
	v_mul_f64 v[10:11], v[204:205], v[220:221]
	v_mul_f64 v[24:25], v[202:203], v[220:221]
	v_fma_f64 v[10:11], v[202:203], v[218:219], -v[10:11]
	v_fmac_f64_e32 v[24:25], v[204:205], v[218:219]
	v_add_f64 v[10:11], v[2:3], v[10:11]
	v_add_f64 v[24:25], v[4:5], v[24:25]
	scratch_load_dwordx4 v[2:5], off, s15
	s_add_i32 s15, s14, 0x170
	s_waitcnt vmcnt(0) lgkmcnt(2)
	v_mul_f64 v[26:27], v[208:209], v[4:5]
	v_mul_f64 v[4:5], v[206:207], v[4:5]
	v_fmac_f64_e32 v[4:5], v[208:209], v[2:3]
	v_fma_f64 v[26:27], v[206:207], v[2:3], -v[26:27]
	v_add_f64 v[24:25], v[24:25], v[4:5]
	scratch_load_dwordx4 v[2:5], off, s15
	v_add_f64 v[10:11], v[10:11], v[26:27]
	s_add_i32 s15, s14, 0x180
	s_waitcnt vmcnt(0) lgkmcnt(1)
	v_mul_f64 v[26:27], v[212:213], v[4:5]
	v_mul_f64 v[4:5], v[210:211], v[4:5]
	v_fmac_f64_e32 v[4:5], v[212:213], v[2:3]
	v_fma_f64 v[26:27], v[210:211], v[2:3], -v[26:27]
	v_add_f64 v[24:25], v[24:25], v[4:5]
	scratch_load_dwordx4 v[2:5], off, s15
	s_add_i32 s15, s14, 0x190
	scratch_load_dwordx4 v[202:205], off, s15
	v_add_f64 v[10:11], v[10:11], v[26:27]
	s_add_i32 s15, s14, 0x1a0
	s_waitcnt vmcnt(1) lgkmcnt(0)
	v_mul_f64 v[26:27], v[216:217], v[4:5]
	v_mul_f64 v[4:5], v[214:215], v[4:5]
	v_fmac_f64_e32 v[4:5], v[216:217], v[2:3]
	v_fma_f64 v[26:27], v[214:215], v[2:3], -v[26:27]
	v_add_f64 v[24:25], v[24:25], v[4:5]
	ds_read_b128 v[2:5], v28 offset:1424
	v_add_f64 v[10:11], v[10:11], v[26:27]
	s_waitcnt vmcnt(0) lgkmcnt(0)
	v_mul_f64 v[26:27], v[4:5], v[204:205]
	v_fma_f64 v[26:27], v[2:3], v[202:203], -v[26:27]
	v_mul_f64 v[2:3], v[2:3], v[204:205]
	v_fmac_f64_e32 v[2:3], v[4:5], v[202:203]
	scratch_load_dwordx4 v[202:205], off, s15
	v_add_f64 v[24:25], v[24:25], v[2:3]
	ds_read_b128 v[2:5], v28 offset:1440
	v_add_f64 v[10:11], v[10:11], v[26:27]
	s_add_i32 s15, s14, 0x1b0
	s_addk_i32 s14, 0x1c0
	s_waitcnt vmcnt(0) lgkmcnt(0)
	v_mul_f64 v[26:27], v[4:5], v[204:205]
	v_fma_f64 v[26:27], v[2:3], v[202:203], -v[26:27]
	v_mul_f64 v[2:3], v[2:3], v[204:205]
	v_fmac_f64_e32 v[2:3], v[4:5], v[202:203]
	scratch_load_dwordx4 v[202:205], off, s15
	v_add_f64 v[24:25], v[24:25], v[2:3]
	ds_read_b128 v[2:5], v28 offset:1456
	v_add_f64 v[10:11], v[10:11], v[26:27]
	s_waitcnt vmcnt(0) lgkmcnt(0)
	v_mul_f64 v[26:27], v[4:5], v[204:205]
	v_fma_f64 v[26:27], v[2:3], v[202:203], -v[26:27]
	v_mul_f64 v[2:3], v[2:3], v[204:205]
	v_fmac_f64_e32 v[2:3], v[4:5], v[202:203]
	scratch_load_dwordx4 v[202:205], off, s14
	v_add_f64 v[24:25], v[24:25], v[2:3]
	ds_read_b128 v[2:5], v28 offset:1472
	v_add_f64 v[10:11], v[10:11], v[26:27]
	s_add_i32 s14, s13, 8
	v_cmp_eq_u32_e32 vcc, s14, v7
	s_add_i32 s13, s13, 29
	s_or_b64 s[10:11], vcc, s[10:11]
	s_waitcnt vmcnt(0) lgkmcnt(0)
	v_mul_f64 v[26:27], v[4:5], v[204:205]
	v_mul_f64 v[28:29], v[2:3], v[204:205]
	v_fma_f64 v[26:27], v[2:3], v[202:203], -v[26:27]
	v_fmac_f64_e32 v[28:29], v[4:5], v[202:203]
	v_add_f64 v[2:3], v[10:11], v[26:27]
	v_add_f64 v[4:5], v[24:25], v[28:29]
	v_mov_b32_e32 v202, s13
	s_mov_b32 s13, s14
	s_andn2_b64 exec, exec, s[10:11]
	s_cbranch_execnz .LBB127_585
; %bb.586:
	s_or_b64 exec, exec, s[10:11]
.LBB127_587:
	s_or_b64 exec, exec, s[2:3]
	v_and_b32_e32 v6, 7, v6
	v_cmp_ne_u32_e32 vcc, 0, v6
	s_and_saveexec_b64 s[2:3], vcc
	s_cbranch_execz .LBB127_591
; %bb.588:
	v_lshlrev_b32_e32 v10, 4, v202
	v_add_u32_e32 v7, 0x400, v10
	v_add_u32_e32 v201, 0, v10
	s_mov_b64 s[10:11], 0
.LBB127_589:                            ; =>This Inner Loop Header: Depth=1
	scratch_load_dwordx4 v[202:205], v201, off
	ds_read_b128 v[206:209], v7
	v_add_u32_e32 v6, -1, v6
	v_cmp_eq_u32_e32 vcc, 0, v6
	v_add_u32_e32 v7, 16, v7
	v_add_u32_e32 v201, 16, v201
	s_or_b64 s[10:11], vcc, s[10:11]
	s_waitcnt vmcnt(0) lgkmcnt(0)
	v_mul_f64 v[10:11], v[208:209], v[204:205]
	v_mul_f64 v[24:25], v[206:207], v[204:205]
	v_fma_f64 v[10:11], v[206:207], v[202:203], -v[10:11]
	v_fmac_f64_e32 v[24:25], v[208:209], v[202:203]
	v_add_f64 v[2:3], v[2:3], v[10:11]
	v_add_f64 v[4:5], v[4:5], v[24:25]
	s_andn2_b64 exec, exec, s[10:11]
	s_cbranch_execnz .LBB127_589
; %bb.590:
	s_or_b64 exec, exec, s[10:11]
.LBB127_591:
	s_or_b64 exec, exec, s[2:3]
.LBB127_592:
	s_or_b64 exec, exec, s[8:9]
	v_mov_b32_e32 v6, 0
	ds_read_b128 v[202:205], v6 offset:320
	s_waitcnt lgkmcnt(0)
	v_mul_f64 v[6:7], v[4:5], v[204:205]
	v_mul_f64 v[206:207], v[2:3], v[204:205]
	v_fma_f64 v[204:205], v[2:3], v[202:203], -v[6:7]
	v_fmac_f64_e32 v[206:207], v[4:5], v[202:203]
	scratch_store_dwordx4 off, v[204:207], off offset:320
.LBB127_593:
	s_or_b64 exec, exec, s[4:5]
	scratch_load_dwordx4 v[2:5], v182, off
	v_cmp_lt_u32_e64 s[2:3], 19, v0
	s_waitcnt vmcnt(0)
	ds_write_b128 v9, v[2:5]
	s_waitcnt lgkmcnt(0)
	; wave barrier
	s_waitcnt lgkmcnt(0)
	s_and_saveexec_b64 s[4:5], s[2:3]
	s_cbranch_execz .LBB127_607
; %bb.594:
	ds_read_b128 v[2:5], v9
	s_andn2_b64 vcc, exec, s[6:7]
	s_cbranch_vccnz .LBB127_596
; %bb.595:
	scratch_load_dwordx4 v[202:205], v8, off
	s_waitcnt vmcnt(0) lgkmcnt(0)
	v_mul_f64 v[10:11], v[2:3], v[204:205]
	v_mul_f64 v[6:7], v[4:5], v[204:205]
	v_fmac_f64_e32 v[10:11], v[4:5], v[202:203]
	v_fma_f64 v[2:3], v[2:3], v[202:203], -v[6:7]
	v_mov_b64_e32 v[4:5], v[10:11]
.LBB127_596:
	s_and_saveexec_b64 s[8:9], s[0:1]
	s_cbranch_execz .LBB127_606
; %bb.597:
	v_subrev_u32_e32 v7, 21, v0
	v_subrev_u32_e32 v6, 20, v0
	v_cmp_lt_u32_e32 vcc, 6, v7
	v_mov_b32_e32 v202, 20
	s_and_saveexec_b64 s[0:1], vcc
	s_cbranch_execz .LBB127_601
; %bb.598:
	v_and_b32_e32 v7, -8, v6
	s_mov_b32 s12, 0
	s_mov_b64 s[10:11], 0
	v_mov_b32_e32 v201, 0
	s_mov_b32 s13, 0
.LBB127_599:                            ; =>This Inner Loop Header: Depth=1
	v_readfirstlane_b32 s14, v201
	s_add_i32 s14, s14, s12
	s_add_i32 s15, s14, 0x140
	v_mov_b32_e32 v28, s12
	ds_read_b128 v[202:205], v28 offset:1344
	ds_read_b128 v[206:209], v28 offset:1360
	;; [unrolled: 1-line block ×4, first 2 shown]
	scratch_load_dwordx4 v[218:221], off, s15
	s_add_i32 s15, s14, 0x150
	s_addk_i32 s12, 0x80
	s_waitcnt vmcnt(0) lgkmcnt(3)
	v_mul_f64 v[10:11], v[204:205], v[220:221]
	v_mul_f64 v[24:25], v[202:203], v[220:221]
	v_fma_f64 v[10:11], v[202:203], v[218:219], -v[10:11]
	v_fmac_f64_e32 v[24:25], v[204:205], v[218:219]
	v_add_f64 v[10:11], v[2:3], v[10:11]
	v_add_f64 v[24:25], v[4:5], v[24:25]
	scratch_load_dwordx4 v[2:5], off, s15
	s_add_i32 s15, s14, 0x160
	s_waitcnt vmcnt(0) lgkmcnt(2)
	v_mul_f64 v[26:27], v[208:209], v[4:5]
	v_mul_f64 v[4:5], v[206:207], v[4:5]
	v_fmac_f64_e32 v[4:5], v[208:209], v[2:3]
	v_fma_f64 v[26:27], v[206:207], v[2:3], -v[26:27]
	v_add_f64 v[24:25], v[24:25], v[4:5]
	scratch_load_dwordx4 v[2:5], off, s15
	v_add_f64 v[10:11], v[10:11], v[26:27]
	s_add_i32 s15, s14, 0x170
	s_waitcnt vmcnt(0) lgkmcnt(1)
	v_mul_f64 v[26:27], v[212:213], v[4:5]
	v_mul_f64 v[4:5], v[210:211], v[4:5]
	v_fmac_f64_e32 v[4:5], v[212:213], v[2:3]
	v_fma_f64 v[26:27], v[210:211], v[2:3], -v[26:27]
	v_add_f64 v[24:25], v[24:25], v[4:5]
	scratch_load_dwordx4 v[2:5], off, s15
	s_add_i32 s15, s14, 0x180
	scratch_load_dwordx4 v[202:205], off, s15
	v_add_f64 v[10:11], v[10:11], v[26:27]
	s_add_i32 s15, s14, 0x190
	s_waitcnt vmcnt(1) lgkmcnt(0)
	v_mul_f64 v[26:27], v[216:217], v[4:5]
	v_mul_f64 v[4:5], v[214:215], v[4:5]
	v_fmac_f64_e32 v[4:5], v[216:217], v[2:3]
	v_fma_f64 v[26:27], v[214:215], v[2:3], -v[26:27]
	v_add_f64 v[24:25], v[24:25], v[4:5]
	ds_read_b128 v[2:5], v28 offset:1408
	v_add_f64 v[10:11], v[10:11], v[26:27]
	s_waitcnt vmcnt(0) lgkmcnt(0)
	v_mul_f64 v[26:27], v[4:5], v[204:205]
	v_fma_f64 v[26:27], v[2:3], v[202:203], -v[26:27]
	v_mul_f64 v[2:3], v[2:3], v[204:205]
	v_fmac_f64_e32 v[2:3], v[4:5], v[202:203]
	scratch_load_dwordx4 v[202:205], off, s15
	v_add_f64 v[24:25], v[24:25], v[2:3]
	ds_read_b128 v[2:5], v28 offset:1424
	v_add_f64 v[10:11], v[10:11], v[26:27]
	s_add_i32 s15, s14, 0x1a0
	s_addk_i32 s14, 0x1b0
	s_waitcnt vmcnt(0) lgkmcnt(0)
	v_mul_f64 v[26:27], v[4:5], v[204:205]
	v_fma_f64 v[26:27], v[2:3], v[202:203], -v[26:27]
	v_mul_f64 v[2:3], v[2:3], v[204:205]
	v_fmac_f64_e32 v[2:3], v[4:5], v[202:203]
	scratch_load_dwordx4 v[202:205], off, s15
	v_add_f64 v[24:25], v[24:25], v[2:3]
	ds_read_b128 v[2:5], v28 offset:1440
	v_add_f64 v[10:11], v[10:11], v[26:27]
	s_waitcnt vmcnt(0) lgkmcnt(0)
	v_mul_f64 v[26:27], v[4:5], v[204:205]
	v_fma_f64 v[26:27], v[2:3], v[202:203], -v[26:27]
	v_mul_f64 v[2:3], v[2:3], v[204:205]
	v_fmac_f64_e32 v[2:3], v[4:5], v[202:203]
	scratch_load_dwordx4 v[202:205], off, s14
	v_add_f64 v[24:25], v[24:25], v[2:3]
	ds_read_b128 v[2:5], v28 offset:1456
	v_add_f64 v[10:11], v[10:11], v[26:27]
	s_add_i32 s14, s13, 8
	v_cmp_eq_u32_e32 vcc, s14, v7
	s_add_i32 s13, s13, 28
	s_or_b64 s[10:11], vcc, s[10:11]
	s_waitcnt vmcnt(0) lgkmcnt(0)
	v_mul_f64 v[26:27], v[4:5], v[204:205]
	v_mul_f64 v[28:29], v[2:3], v[204:205]
	v_fma_f64 v[26:27], v[2:3], v[202:203], -v[26:27]
	v_fmac_f64_e32 v[28:29], v[4:5], v[202:203]
	v_add_f64 v[2:3], v[10:11], v[26:27]
	v_add_f64 v[4:5], v[24:25], v[28:29]
	v_mov_b32_e32 v202, s13
	s_mov_b32 s13, s14
	s_andn2_b64 exec, exec, s[10:11]
	s_cbranch_execnz .LBB127_599
; %bb.600:
	s_or_b64 exec, exec, s[10:11]
.LBB127_601:
	s_or_b64 exec, exec, s[0:1]
	v_and_b32_e32 v6, 7, v6
	v_cmp_ne_u32_e32 vcc, 0, v6
	s_and_saveexec_b64 s[0:1], vcc
	s_cbranch_execz .LBB127_605
; %bb.602:
	v_lshlrev_b32_e32 v10, 4, v202
	v_add_u32_e32 v7, 0x400, v10
	v_add_u32_e32 v201, 0, v10
	s_mov_b64 s[10:11], 0
.LBB127_603:                            ; =>This Inner Loop Header: Depth=1
	scratch_load_dwordx4 v[202:205], v201, off
	ds_read_b128 v[206:209], v7
	v_add_u32_e32 v6, -1, v6
	v_cmp_eq_u32_e32 vcc, 0, v6
	v_add_u32_e32 v7, 16, v7
	v_add_u32_e32 v201, 16, v201
	s_or_b64 s[10:11], vcc, s[10:11]
	s_waitcnt vmcnt(0) lgkmcnt(0)
	v_mul_f64 v[10:11], v[208:209], v[204:205]
	v_mul_f64 v[24:25], v[206:207], v[204:205]
	v_fma_f64 v[10:11], v[206:207], v[202:203], -v[10:11]
	v_fmac_f64_e32 v[24:25], v[208:209], v[202:203]
	v_add_f64 v[2:3], v[2:3], v[10:11]
	v_add_f64 v[4:5], v[4:5], v[24:25]
	s_andn2_b64 exec, exec, s[10:11]
	s_cbranch_execnz .LBB127_603
; %bb.604:
	s_or_b64 exec, exec, s[10:11]
.LBB127_605:
	s_or_b64 exec, exec, s[0:1]
.LBB127_606:
	s_or_b64 exec, exec, s[8:9]
	v_mov_b32_e32 v6, 0
	ds_read_b128 v[202:205], v6 offset:304
	s_waitcnt lgkmcnt(0)
	v_mul_f64 v[6:7], v[4:5], v[204:205]
	v_mul_f64 v[206:207], v[2:3], v[204:205]
	v_fma_f64 v[204:205], v[2:3], v[202:203], -v[6:7]
	v_fmac_f64_e32 v[206:207], v[4:5], v[202:203]
	scratch_store_dwordx4 off, v[204:207], off offset:304
.LBB127_607:
	s_or_b64 exec, exec, s[4:5]
	scratch_load_dwordx4 v[2:5], v183, off
	v_cmp_lt_u32_e64 s[0:1], 18, v0
	s_waitcnt vmcnt(0)
	ds_write_b128 v9, v[2:5]
	s_waitcnt lgkmcnt(0)
	; wave barrier
	s_waitcnt lgkmcnt(0)
	s_and_saveexec_b64 s[4:5], s[0:1]
	s_cbranch_execz .LBB127_621
; %bb.608:
	ds_read_b128 v[2:5], v9
	s_andn2_b64 vcc, exec, s[6:7]
	s_cbranch_vccnz .LBB127_610
; %bb.609:
	scratch_load_dwordx4 v[202:205], v8, off
	s_waitcnt vmcnt(0) lgkmcnt(0)
	v_mul_f64 v[10:11], v[2:3], v[204:205]
	v_mul_f64 v[6:7], v[4:5], v[204:205]
	v_fmac_f64_e32 v[10:11], v[4:5], v[202:203]
	v_fma_f64 v[2:3], v[2:3], v[202:203], -v[6:7]
	v_mov_b64_e32 v[4:5], v[10:11]
.LBB127_610:
	s_and_saveexec_b64 s[8:9], s[2:3]
	s_cbranch_execz .LBB127_620
; %bb.611:
	v_subrev_u32_e32 v7, 20, v0
	v_subrev_u32_e32 v6, 19, v0
	v_cmp_lt_u32_e32 vcc, 6, v7
	v_mov_b32_e32 v202, 19
	s_and_saveexec_b64 s[2:3], vcc
	s_cbranch_execz .LBB127_615
; %bb.612:
	v_and_b32_e32 v7, -8, v6
	s_mov_b32 s12, 0
	s_mov_b64 s[10:11], 0
	v_mov_b32_e32 v201, 0
	s_mov_b32 s13, 0
.LBB127_613:                            ; =>This Inner Loop Header: Depth=1
	v_readfirstlane_b32 s14, v201
	s_add_i32 s14, s14, s12
	s_add_i32 s15, s14, 0x130
	v_mov_b32_e32 v28, s12
	ds_read_b128 v[202:205], v28 offset:1328
	ds_read_b128 v[206:209], v28 offset:1344
	;; [unrolled: 1-line block ×4, first 2 shown]
	scratch_load_dwordx4 v[218:221], off, s15
	s_add_i32 s15, s14, 0x140
	s_addk_i32 s12, 0x80
	s_waitcnt vmcnt(0) lgkmcnt(3)
	v_mul_f64 v[10:11], v[204:205], v[220:221]
	v_mul_f64 v[24:25], v[202:203], v[220:221]
	v_fma_f64 v[10:11], v[202:203], v[218:219], -v[10:11]
	v_fmac_f64_e32 v[24:25], v[204:205], v[218:219]
	v_add_f64 v[10:11], v[2:3], v[10:11]
	v_add_f64 v[24:25], v[4:5], v[24:25]
	scratch_load_dwordx4 v[2:5], off, s15
	s_add_i32 s15, s14, 0x150
	s_waitcnt vmcnt(0) lgkmcnt(2)
	v_mul_f64 v[26:27], v[208:209], v[4:5]
	v_mul_f64 v[4:5], v[206:207], v[4:5]
	v_fmac_f64_e32 v[4:5], v[208:209], v[2:3]
	v_fma_f64 v[26:27], v[206:207], v[2:3], -v[26:27]
	v_add_f64 v[24:25], v[24:25], v[4:5]
	scratch_load_dwordx4 v[2:5], off, s15
	v_add_f64 v[10:11], v[10:11], v[26:27]
	s_add_i32 s15, s14, 0x160
	s_waitcnt vmcnt(0) lgkmcnt(1)
	v_mul_f64 v[26:27], v[212:213], v[4:5]
	v_mul_f64 v[4:5], v[210:211], v[4:5]
	v_fmac_f64_e32 v[4:5], v[212:213], v[2:3]
	v_fma_f64 v[26:27], v[210:211], v[2:3], -v[26:27]
	v_add_f64 v[24:25], v[24:25], v[4:5]
	scratch_load_dwordx4 v[2:5], off, s15
	s_add_i32 s15, s14, 0x170
	scratch_load_dwordx4 v[202:205], off, s15
	v_add_f64 v[10:11], v[10:11], v[26:27]
	s_add_i32 s15, s14, 0x180
	s_waitcnt vmcnt(1) lgkmcnt(0)
	v_mul_f64 v[26:27], v[216:217], v[4:5]
	v_mul_f64 v[4:5], v[214:215], v[4:5]
	v_fmac_f64_e32 v[4:5], v[216:217], v[2:3]
	v_fma_f64 v[26:27], v[214:215], v[2:3], -v[26:27]
	v_add_f64 v[24:25], v[24:25], v[4:5]
	ds_read_b128 v[2:5], v28 offset:1392
	v_add_f64 v[10:11], v[10:11], v[26:27]
	s_waitcnt vmcnt(0) lgkmcnt(0)
	v_mul_f64 v[26:27], v[4:5], v[204:205]
	v_fma_f64 v[26:27], v[2:3], v[202:203], -v[26:27]
	v_mul_f64 v[2:3], v[2:3], v[204:205]
	v_fmac_f64_e32 v[2:3], v[4:5], v[202:203]
	scratch_load_dwordx4 v[202:205], off, s15
	v_add_f64 v[24:25], v[24:25], v[2:3]
	ds_read_b128 v[2:5], v28 offset:1408
	v_add_f64 v[10:11], v[10:11], v[26:27]
	s_add_i32 s15, s14, 0x190
	s_addk_i32 s14, 0x1a0
	s_waitcnt vmcnt(0) lgkmcnt(0)
	v_mul_f64 v[26:27], v[4:5], v[204:205]
	v_fma_f64 v[26:27], v[2:3], v[202:203], -v[26:27]
	v_mul_f64 v[2:3], v[2:3], v[204:205]
	v_fmac_f64_e32 v[2:3], v[4:5], v[202:203]
	scratch_load_dwordx4 v[202:205], off, s15
	v_add_f64 v[24:25], v[24:25], v[2:3]
	ds_read_b128 v[2:5], v28 offset:1424
	v_add_f64 v[10:11], v[10:11], v[26:27]
	s_waitcnt vmcnt(0) lgkmcnt(0)
	v_mul_f64 v[26:27], v[4:5], v[204:205]
	v_fma_f64 v[26:27], v[2:3], v[202:203], -v[26:27]
	v_mul_f64 v[2:3], v[2:3], v[204:205]
	v_fmac_f64_e32 v[2:3], v[4:5], v[202:203]
	scratch_load_dwordx4 v[202:205], off, s14
	v_add_f64 v[24:25], v[24:25], v[2:3]
	ds_read_b128 v[2:5], v28 offset:1440
	v_add_f64 v[10:11], v[10:11], v[26:27]
	s_add_i32 s14, s13, 8
	v_cmp_eq_u32_e32 vcc, s14, v7
	s_add_i32 s13, s13, 27
	s_or_b64 s[10:11], vcc, s[10:11]
	s_waitcnt vmcnt(0) lgkmcnt(0)
	v_mul_f64 v[26:27], v[4:5], v[204:205]
	v_mul_f64 v[28:29], v[2:3], v[204:205]
	v_fma_f64 v[26:27], v[2:3], v[202:203], -v[26:27]
	v_fmac_f64_e32 v[28:29], v[4:5], v[202:203]
	v_add_f64 v[2:3], v[10:11], v[26:27]
	v_add_f64 v[4:5], v[24:25], v[28:29]
	v_mov_b32_e32 v202, s13
	s_mov_b32 s13, s14
	s_andn2_b64 exec, exec, s[10:11]
	s_cbranch_execnz .LBB127_613
; %bb.614:
	s_or_b64 exec, exec, s[10:11]
.LBB127_615:
	s_or_b64 exec, exec, s[2:3]
	v_and_b32_e32 v6, 7, v6
	v_cmp_ne_u32_e32 vcc, 0, v6
	s_and_saveexec_b64 s[2:3], vcc
	s_cbranch_execz .LBB127_619
; %bb.616:
	v_lshlrev_b32_e32 v10, 4, v202
	v_add_u32_e32 v7, 0x400, v10
	v_add_u32_e32 v201, 0, v10
	s_mov_b64 s[10:11], 0
.LBB127_617:                            ; =>This Inner Loop Header: Depth=1
	scratch_load_dwordx4 v[202:205], v201, off
	ds_read_b128 v[206:209], v7
	v_add_u32_e32 v6, -1, v6
	v_cmp_eq_u32_e32 vcc, 0, v6
	v_add_u32_e32 v7, 16, v7
	v_add_u32_e32 v201, 16, v201
	s_or_b64 s[10:11], vcc, s[10:11]
	s_waitcnt vmcnt(0) lgkmcnt(0)
	v_mul_f64 v[10:11], v[208:209], v[204:205]
	v_mul_f64 v[24:25], v[206:207], v[204:205]
	v_fma_f64 v[10:11], v[206:207], v[202:203], -v[10:11]
	v_fmac_f64_e32 v[24:25], v[208:209], v[202:203]
	v_add_f64 v[2:3], v[2:3], v[10:11]
	v_add_f64 v[4:5], v[4:5], v[24:25]
	s_andn2_b64 exec, exec, s[10:11]
	s_cbranch_execnz .LBB127_617
; %bb.618:
	s_or_b64 exec, exec, s[10:11]
.LBB127_619:
	s_or_b64 exec, exec, s[2:3]
.LBB127_620:
	s_or_b64 exec, exec, s[8:9]
	v_mov_b32_e32 v6, 0
	ds_read_b128 v[202:205], v6 offset:288
	s_waitcnt lgkmcnt(0)
	v_mul_f64 v[6:7], v[4:5], v[204:205]
	v_mul_f64 v[206:207], v[2:3], v[204:205]
	v_fma_f64 v[204:205], v[2:3], v[202:203], -v[6:7]
	v_fmac_f64_e32 v[206:207], v[4:5], v[202:203]
	scratch_store_dwordx4 off, v[204:207], off offset:288
.LBB127_621:
	s_or_b64 exec, exec, s[4:5]
	scratch_load_dwordx4 v[2:5], v184, off
	v_cmp_lt_u32_e64 s[2:3], 17, v0
	s_waitcnt vmcnt(0)
	ds_write_b128 v9, v[2:5]
	s_waitcnt lgkmcnt(0)
	; wave barrier
	s_waitcnt lgkmcnt(0)
	s_and_saveexec_b64 s[4:5], s[2:3]
	s_cbranch_execz .LBB127_635
; %bb.622:
	ds_read_b128 v[2:5], v9
	s_andn2_b64 vcc, exec, s[6:7]
	s_cbranch_vccnz .LBB127_624
; %bb.623:
	scratch_load_dwordx4 v[202:205], v8, off
	s_waitcnt vmcnt(0) lgkmcnt(0)
	v_mul_f64 v[10:11], v[2:3], v[204:205]
	v_mul_f64 v[6:7], v[4:5], v[204:205]
	v_fmac_f64_e32 v[10:11], v[4:5], v[202:203]
	v_fma_f64 v[2:3], v[2:3], v[202:203], -v[6:7]
	v_mov_b64_e32 v[4:5], v[10:11]
.LBB127_624:
	s_and_saveexec_b64 s[8:9], s[0:1]
	s_cbranch_execz .LBB127_634
; %bb.625:
	v_subrev_u32_e32 v7, 19, v0
	v_subrev_u32_e32 v6, 18, v0
	v_cmp_lt_u32_e32 vcc, 6, v7
	v_mov_b32_e32 v202, 18
	s_and_saveexec_b64 s[0:1], vcc
	s_cbranch_execz .LBB127_629
; %bb.626:
	v_and_b32_e32 v7, -8, v6
	s_mov_b32 s12, 0
	s_mov_b64 s[10:11], 0
	v_mov_b32_e32 v201, 0
	s_mov_b32 s13, 0
.LBB127_627:                            ; =>This Inner Loop Header: Depth=1
	v_readfirstlane_b32 s14, v201
	s_add_i32 s14, s14, s12
	s_add_i32 s15, s14, 0x120
	v_mov_b32_e32 v28, s12
	ds_read_b128 v[202:205], v28 offset:1312
	ds_read_b128 v[206:209], v28 offset:1328
	;; [unrolled: 1-line block ×4, first 2 shown]
	scratch_load_dwordx4 v[218:221], off, s15
	s_add_i32 s15, s14, 0x130
	s_addk_i32 s12, 0x80
	s_waitcnt vmcnt(0) lgkmcnt(3)
	v_mul_f64 v[10:11], v[204:205], v[220:221]
	v_mul_f64 v[24:25], v[202:203], v[220:221]
	v_fma_f64 v[10:11], v[202:203], v[218:219], -v[10:11]
	v_fmac_f64_e32 v[24:25], v[204:205], v[218:219]
	v_add_f64 v[10:11], v[2:3], v[10:11]
	v_add_f64 v[24:25], v[4:5], v[24:25]
	scratch_load_dwordx4 v[2:5], off, s15
	s_add_i32 s15, s14, 0x140
	s_waitcnt vmcnt(0) lgkmcnt(2)
	v_mul_f64 v[26:27], v[208:209], v[4:5]
	v_mul_f64 v[4:5], v[206:207], v[4:5]
	v_fmac_f64_e32 v[4:5], v[208:209], v[2:3]
	v_fma_f64 v[26:27], v[206:207], v[2:3], -v[26:27]
	v_add_f64 v[24:25], v[24:25], v[4:5]
	scratch_load_dwordx4 v[2:5], off, s15
	v_add_f64 v[10:11], v[10:11], v[26:27]
	s_add_i32 s15, s14, 0x150
	s_waitcnt vmcnt(0) lgkmcnt(1)
	v_mul_f64 v[26:27], v[212:213], v[4:5]
	v_mul_f64 v[4:5], v[210:211], v[4:5]
	v_fmac_f64_e32 v[4:5], v[212:213], v[2:3]
	v_fma_f64 v[26:27], v[210:211], v[2:3], -v[26:27]
	v_add_f64 v[24:25], v[24:25], v[4:5]
	scratch_load_dwordx4 v[2:5], off, s15
	s_add_i32 s15, s14, 0x160
	scratch_load_dwordx4 v[202:205], off, s15
	v_add_f64 v[10:11], v[10:11], v[26:27]
	s_add_i32 s15, s14, 0x170
	s_waitcnt vmcnt(1) lgkmcnt(0)
	v_mul_f64 v[26:27], v[216:217], v[4:5]
	v_mul_f64 v[4:5], v[214:215], v[4:5]
	v_fmac_f64_e32 v[4:5], v[216:217], v[2:3]
	v_fma_f64 v[26:27], v[214:215], v[2:3], -v[26:27]
	v_add_f64 v[24:25], v[24:25], v[4:5]
	ds_read_b128 v[2:5], v28 offset:1376
	v_add_f64 v[10:11], v[10:11], v[26:27]
	s_waitcnt vmcnt(0) lgkmcnt(0)
	v_mul_f64 v[26:27], v[4:5], v[204:205]
	v_fma_f64 v[26:27], v[2:3], v[202:203], -v[26:27]
	v_mul_f64 v[2:3], v[2:3], v[204:205]
	v_fmac_f64_e32 v[2:3], v[4:5], v[202:203]
	scratch_load_dwordx4 v[202:205], off, s15
	v_add_f64 v[24:25], v[24:25], v[2:3]
	ds_read_b128 v[2:5], v28 offset:1392
	v_add_f64 v[10:11], v[10:11], v[26:27]
	s_add_i32 s15, s14, 0x180
	s_addk_i32 s14, 0x190
	s_waitcnt vmcnt(0) lgkmcnt(0)
	v_mul_f64 v[26:27], v[4:5], v[204:205]
	v_fma_f64 v[26:27], v[2:3], v[202:203], -v[26:27]
	v_mul_f64 v[2:3], v[2:3], v[204:205]
	v_fmac_f64_e32 v[2:3], v[4:5], v[202:203]
	scratch_load_dwordx4 v[202:205], off, s15
	v_add_f64 v[24:25], v[24:25], v[2:3]
	ds_read_b128 v[2:5], v28 offset:1408
	v_add_f64 v[10:11], v[10:11], v[26:27]
	s_waitcnt vmcnt(0) lgkmcnt(0)
	v_mul_f64 v[26:27], v[4:5], v[204:205]
	v_fma_f64 v[26:27], v[2:3], v[202:203], -v[26:27]
	v_mul_f64 v[2:3], v[2:3], v[204:205]
	v_fmac_f64_e32 v[2:3], v[4:5], v[202:203]
	scratch_load_dwordx4 v[202:205], off, s14
	v_add_f64 v[24:25], v[24:25], v[2:3]
	ds_read_b128 v[2:5], v28 offset:1424
	v_add_f64 v[10:11], v[10:11], v[26:27]
	s_add_i32 s14, s13, 8
	v_cmp_eq_u32_e32 vcc, s14, v7
	s_add_i32 s13, s13, 26
	s_or_b64 s[10:11], vcc, s[10:11]
	s_waitcnt vmcnt(0) lgkmcnt(0)
	v_mul_f64 v[26:27], v[4:5], v[204:205]
	v_mul_f64 v[28:29], v[2:3], v[204:205]
	v_fma_f64 v[26:27], v[2:3], v[202:203], -v[26:27]
	v_fmac_f64_e32 v[28:29], v[4:5], v[202:203]
	v_add_f64 v[2:3], v[10:11], v[26:27]
	v_add_f64 v[4:5], v[24:25], v[28:29]
	v_mov_b32_e32 v202, s13
	s_mov_b32 s13, s14
	s_andn2_b64 exec, exec, s[10:11]
	s_cbranch_execnz .LBB127_627
; %bb.628:
	s_or_b64 exec, exec, s[10:11]
.LBB127_629:
	s_or_b64 exec, exec, s[0:1]
	v_and_b32_e32 v6, 7, v6
	v_cmp_ne_u32_e32 vcc, 0, v6
	s_and_saveexec_b64 s[0:1], vcc
	s_cbranch_execz .LBB127_633
; %bb.630:
	v_lshlrev_b32_e32 v10, 4, v202
	v_add_u32_e32 v7, 0x400, v10
	v_add_u32_e32 v201, 0, v10
	s_mov_b64 s[10:11], 0
.LBB127_631:                            ; =>This Inner Loop Header: Depth=1
	scratch_load_dwordx4 v[202:205], v201, off
	ds_read_b128 v[206:209], v7
	v_add_u32_e32 v6, -1, v6
	v_cmp_eq_u32_e32 vcc, 0, v6
	v_add_u32_e32 v7, 16, v7
	v_add_u32_e32 v201, 16, v201
	s_or_b64 s[10:11], vcc, s[10:11]
	s_waitcnt vmcnt(0) lgkmcnt(0)
	v_mul_f64 v[10:11], v[208:209], v[204:205]
	v_mul_f64 v[24:25], v[206:207], v[204:205]
	v_fma_f64 v[10:11], v[206:207], v[202:203], -v[10:11]
	v_fmac_f64_e32 v[24:25], v[208:209], v[202:203]
	v_add_f64 v[2:3], v[2:3], v[10:11]
	v_add_f64 v[4:5], v[4:5], v[24:25]
	s_andn2_b64 exec, exec, s[10:11]
	s_cbranch_execnz .LBB127_631
; %bb.632:
	s_or_b64 exec, exec, s[10:11]
.LBB127_633:
	s_or_b64 exec, exec, s[0:1]
.LBB127_634:
	s_or_b64 exec, exec, s[8:9]
	v_mov_b32_e32 v6, 0
	ds_read_b128 v[202:205], v6 offset:272
	s_waitcnt lgkmcnt(0)
	v_mul_f64 v[6:7], v[4:5], v[204:205]
	v_mul_f64 v[206:207], v[2:3], v[204:205]
	v_fma_f64 v[204:205], v[2:3], v[202:203], -v[6:7]
	v_fmac_f64_e32 v[206:207], v[4:5], v[202:203]
	scratch_store_dwordx4 off, v[204:207], off offset:272
.LBB127_635:
	s_or_b64 exec, exec, s[4:5]
	scratch_load_dwordx4 v[2:5], v185, off
	v_cmp_lt_u32_e64 s[0:1], 16, v0
	s_waitcnt vmcnt(0)
	ds_write_b128 v9, v[2:5]
	s_waitcnt lgkmcnt(0)
	; wave barrier
	s_waitcnt lgkmcnt(0)
	s_and_saveexec_b64 s[4:5], s[0:1]
	s_cbranch_execz .LBB127_649
; %bb.636:
	ds_read_b128 v[2:5], v9
	s_andn2_b64 vcc, exec, s[6:7]
	s_cbranch_vccnz .LBB127_638
; %bb.637:
	scratch_load_dwordx4 v[202:205], v8, off
	s_waitcnt vmcnt(0) lgkmcnt(0)
	v_mul_f64 v[10:11], v[2:3], v[204:205]
	v_mul_f64 v[6:7], v[4:5], v[204:205]
	v_fmac_f64_e32 v[10:11], v[4:5], v[202:203]
	v_fma_f64 v[2:3], v[2:3], v[202:203], -v[6:7]
	v_mov_b64_e32 v[4:5], v[10:11]
.LBB127_638:
	s_and_saveexec_b64 s[8:9], s[2:3]
	s_cbranch_execz .LBB127_648
; %bb.639:
	v_subrev_u32_e32 v7, 18, v0
	v_subrev_u32_e32 v6, 17, v0
	v_cmp_lt_u32_e32 vcc, 6, v7
	v_mov_b32_e32 v202, 17
	s_and_saveexec_b64 s[2:3], vcc
	s_cbranch_execz .LBB127_643
; %bb.640:
	v_and_b32_e32 v7, -8, v6
	s_mov_b32 s12, 0
	s_mov_b64 s[10:11], 0
	v_mov_b32_e32 v201, 0
	s_mov_b32 s13, 0
.LBB127_641:                            ; =>This Inner Loop Header: Depth=1
	v_readfirstlane_b32 s14, v201
	s_add_i32 s14, s14, s12
	s_add_i32 s15, s14, 0x110
	v_mov_b32_e32 v28, s12
	ds_read_b128 v[202:205], v28 offset:1296
	ds_read_b128 v[206:209], v28 offset:1312
	;; [unrolled: 1-line block ×4, first 2 shown]
	scratch_load_dwordx4 v[218:221], off, s15
	s_add_i32 s15, s14, 0x120
	s_addk_i32 s12, 0x80
	s_waitcnt vmcnt(0) lgkmcnt(3)
	v_mul_f64 v[10:11], v[204:205], v[220:221]
	v_mul_f64 v[24:25], v[202:203], v[220:221]
	v_fma_f64 v[10:11], v[202:203], v[218:219], -v[10:11]
	v_fmac_f64_e32 v[24:25], v[204:205], v[218:219]
	v_add_f64 v[10:11], v[2:3], v[10:11]
	v_add_f64 v[24:25], v[4:5], v[24:25]
	scratch_load_dwordx4 v[2:5], off, s15
	s_add_i32 s15, s14, 0x130
	s_waitcnt vmcnt(0) lgkmcnt(2)
	v_mul_f64 v[26:27], v[208:209], v[4:5]
	v_mul_f64 v[4:5], v[206:207], v[4:5]
	v_fmac_f64_e32 v[4:5], v[208:209], v[2:3]
	v_fma_f64 v[26:27], v[206:207], v[2:3], -v[26:27]
	v_add_f64 v[24:25], v[24:25], v[4:5]
	scratch_load_dwordx4 v[2:5], off, s15
	v_add_f64 v[10:11], v[10:11], v[26:27]
	s_add_i32 s15, s14, 0x140
	s_waitcnt vmcnt(0) lgkmcnt(1)
	v_mul_f64 v[26:27], v[212:213], v[4:5]
	v_mul_f64 v[4:5], v[210:211], v[4:5]
	v_fmac_f64_e32 v[4:5], v[212:213], v[2:3]
	v_fma_f64 v[26:27], v[210:211], v[2:3], -v[26:27]
	v_add_f64 v[24:25], v[24:25], v[4:5]
	scratch_load_dwordx4 v[2:5], off, s15
	s_add_i32 s15, s14, 0x150
	scratch_load_dwordx4 v[202:205], off, s15
	v_add_f64 v[10:11], v[10:11], v[26:27]
	s_add_i32 s15, s14, 0x160
	s_waitcnt vmcnt(1) lgkmcnt(0)
	v_mul_f64 v[26:27], v[216:217], v[4:5]
	v_mul_f64 v[4:5], v[214:215], v[4:5]
	v_fmac_f64_e32 v[4:5], v[216:217], v[2:3]
	v_fma_f64 v[26:27], v[214:215], v[2:3], -v[26:27]
	v_add_f64 v[24:25], v[24:25], v[4:5]
	ds_read_b128 v[2:5], v28 offset:1360
	v_add_f64 v[10:11], v[10:11], v[26:27]
	s_waitcnt vmcnt(0) lgkmcnt(0)
	v_mul_f64 v[26:27], v[4:5], v[204:205]
	v_fma_f64 v[26:27], v[2:3], v[202:203], -v[26:27]
	v_mul_f64 v[2:3], v[2:3], v[204:205]
	v_fmac_f64_e32 v[2:3], v[4:5], v[202:203]
	scratch_load_dwordx4 v[202:205], off, s15
	v_add_f64 v[24:25], v[24:25], v[2:3]
	ds_read_b128 v[2:5], v28 offset:1376
	v_add_f64 v[10:11], v[10:11], v[26:27]
	s_add_i32 s15, s14, 0x170
	s_addk_i32 s14, 0x180
	s_waitcnt vmcnt(0) lgkmcnt(0)
	v_mul_f64 v[26:27], v[4:5], v[204:205]
	v_fma_f64 v[26:27], v[2:3], v[202:203], -v[26:27]
	v_mul_f64 v[2:3], v[2:3], v[204:205]
	v_fmac_f64_e32 v[2:3], v[4:5], v[202:203]
	scratch_load_dwordx4 v[202:205], off, s15
	v_add_f64 v[24:25], v[24:25], v[2:3]
	ds_read_b128 v[2:5], v28 offset:1392
	v_add_f64 v[10:11], v[10:11], v[26:27]
	s_waitcnt vmcnt(0) lgkmcnt(0)
	v_mul_f64 v[26:27], v[4:5], v[204:205]
	v_fma_f64 v[26:27], v[2:3], v[202:203], -v[26:27]
	v_mul_f64 v[2:3], v[2:3], v[204:205]
	v_fmac_f64_e32 v[2:3], v[4:5], v[202:203]
	scratch_load_dwordx4 v[202:205], off, s14
	v_add_f64 v[24:25], v[24:25], v[2:3]
	ds_read_b128 v[2:5], v28 offset:1408
	v_add_f64 v[10:11], v[10:11], v[26:27]
	s_add_i32 s14, s13, 8
	v_cmp_eq_u32_e32 vcc, s14, v7
	s_add_i32 s13, s13, 25
	s_or_b64 s[10:11], vcc, s[10:11]
	s_waitcnt vmcnt(0) lgkmcnt(0)
	v_mul_f64 v[26:27], v[4:5], v[204:205]
	v_mul_f64 v[28:29], v[2:3], v[204:205]
	v_fma_f64 v[26:27], v[2:3], v[202:203], -v[26:27]
	v_fmac_f64_e32 v[28:29], v[4:5], v[202:203]
	v_add_f64 v[2:3], v[10:11], v[26:27]
	v_add_f64 v[4:5], v[24:25], v[28:29]
	v_mov_b32_e32 v202, s13
	s_mov_b32 s13, s14
	s_andn2_b64 exec, exec, s[10:11]
	s_cbranch_execnz .LBB127_641
; %bb.642:
	s_or_b64 exec, exec, s[10:11]
.LBB127_643:
	s_or_b64 exec, exec, s[2:3]
	v_and_b32_e32 v6, 7, v6
	v_cmp_ne_u32_e32 vcc, 0, v6
	s_and_saveexec_b64 s[2:3], vcc
	s_cbranch_execz .LBB127_647
; %bb.644:
	v_lshlrev_b32_e32 v10, 4, v202
	v_add_u32_e32 v7, 0x400, v10
	v_add_u32_e32 v201, 0, v10
	s_mov_b64 s[10:11], 0
.LBB127_645:                            ; =>This Inner Loop Header: Depth=1
	scratch_load_dwordx4 v[202:205], v201, off
	ds_read_b128 v[206:209], v7
	v_add_u32_e32 v6, -1, v6
	v_cmp_eq_u32_e32 vcc, 0, v6
	v_add_u32_e32 v7, 16, v7
	v_add_u32_e32 v201, 16, v201
	s_or_b64 s[10:11], vcc, s[10:11]
	s_waitcnt vmcnt(0) lgkmcnt(0)
	v_mul_f64 v[10:11], v[208:209], v[204:205]
	v_mul_f64 v[24:25], v[206:207], v[204:205]
	v_fma_f64 v[10:11], v[206:207], v[202:203], -v[10:11]
	v_fmac_f64_e32 v[24:25], v[208:209], v[202:203]
	v_add_f64 v[2:3], v[2:3], v[10:11]
	v_add_f64 v[4:5], v[4:5], v[24:25]
	s_andn2_b64 exec, exec, s[10:11]
	s_cbranch_execnz .LBB127_645
; %bb.646:
	s_or_b64 exec, exec, s[10:11]
.LBB127_647:
	s_or_b64 exec, exec, s[2:3]
.LBB127_648:
	s_or_b64 exec, exec, s[8:9]
	v_mov_b32_e32 v6, 0
	ds_read_b128 v[202:205], v6 offset:256
	s_waitcnt lgkmcnt(0)
	v_mul_f64 v[6:7], v[4:5], v[204:205]
	v_mul_f64 v[206:207], v[2:3], v[204:205]
	v_fma_f64 v[204:205], v[2:3], v[202:203], -v[6:7]
	v_fmac_f64_e32 v[206:207], v[4:5], v[202:203]
	scratch_store_dwordx4 off, v[204:207], off offset:256
.LBB127_649:
	s_or_b64 exec, exec, s[4:5]
	scratch_load_dwordx4 v[2:5], v186, off
	v_cmp_lt_u32_e64 s[2:3], 15, v0
	s_waitcnt vmcnt(0)
	ds_write_b128 v9, v[2:5]
	s_waitcnt lgkmcnt(0)
	; wave barrier
	s_waitcnt lgkmcnt(0)
	s_and_saveexec_b64 s[4:5], s[2:3]
	s_cbranch_execz .LBB127_663
; %bb.650:
	ds_read_b128 v[2:5], v9
	s_andn2_b64 vcc, exec, s[6:7]
	s_cbranch_vccnz .LBB127_652
; %bb.651:
	scratch_load_dwordx4 v[202:205], v8, off
	s_waitcnt vmcnt(0) lgkmcnt(0)
	v_mul_f64 v[10:11], v[2:3], v[204:205]
	v_mul_f64 v[6:7], v[4:5], v[204:205]
	v_fmac_f64_e32 v[10:11], v[4:5], v[202:203]
	v_fma_f64 v[2:3], v[2:3], v[202:203], -v[6:7]
	v_mov_b64_e32 v[4:5], v[10:11]
.LBB127_652:
	s_and_saveexec_b64 s[8:9], s[0:1]
	s_cbranch_execz .LBB127_662
; %bb.653:
	v_subrev_u32_e32 v6, 17, v0
	v_cmp_lt_u32_e32 vcc, 6, v6
	v_mov_b32_e32 v6, 16
	s_and_saveexec_b64 s[0:1], vcc
	s_cbranch_execz .LBB127_657
; %bb.654:
	v_and_b32_e32 v6, 56, v0
	s_mov_b32 s12, 16
	s_mov_b32 s13, 0
	s_mov_b64 s[10:11], 0
	v_mov_b32_e32 v7, 0
.LBB127_655:                            ; =>This Inner Loop Header: Depth=1
	s_nop 0
	v_readfirstlane_b32 s14, v7
	s_add_i32 s14, s14, s13
	s_add_i32 s15, s14, 0x100
	v_mov_b32_e32 v28, s13
	ds_read_b128 v[202:205], v28 offset:1280
	ds_read_b128 v[206:209], v28 offset:1296
	;; [unrolled: 1-line block ×4, first 2 shown]
	scratch_load_dwordx4 v[218:221], off, s15
	s_add_i32 s15, s14, 0x110
	s_add_i32 s12, s12, 8
	s_addk_i32 s13, 0x80
	v_cmp_eq_u32_e32 vcc, s12, v6
	s_waitcnt vmcnt(0) lgkmcnt(3)
	v_mul_f64 v[10:11], v[204:205], v[220:221]
	v_mul_f64 v[24:25], v[202:203], v[220:221]
	v_fma_f64 v[10:11], v[202:203], v[218:219], -v[10:11]
	v_fmac_f64_e32 v[24:25], v[204:205], v[218:219]
	v_add_f64 v[10:11], v[2:3], v[10:11]
	v_add_f64 v[24:25], v[4:5], v[24:25]
	scratch_load_dwordx4 v[2:5], off, s15
	s_add_i32 s15, s14, 0x120
	s_waitcnt vmcnt(0) lgkmcnt(2)
	v_mul_f64 v[26:27], v[208:209], v[4:5]
	v_mul_f64 v[4:5], v[206:207], v[4:5]
	v_fmac_f64_e32 v[4:5], v[208:209], v[2:3]
	v_fma_f64 v[26:27], v[206:207], v[2:3], -v[26:27]
	v_add_f64 v[24:25], v[24:25], v[4:5]
	scratch_load_dwordx4 v[2:5], off, s15
	v_add_f64 v[10:11], v[10:11], v[26:27]
	s_add_i32 s15, s14, 0x130
	s_waitcnt vmcnt(0) lgkmcnt(1)
	v_mul_f64 v[26:27], v[212:213], v[4:5]
	v_mul_f64 v[4:5], v[210:211], v[4:5]
	v_fmac_f64_e32 v[4:5], v[212:213], v[2:3]
	v_fma_f64 v[26:27], v[210:211], v[2:3], -v[26:27]
	v_add_f64 v[24:25], v[24:25], v[4:5]
	scratch_load_dwordx4 v[2:5], off, s15
	s_add_i32 s15, s14, 0x140
	scratch_load_dwordx4 v[202:205], off, s15
	v_add_f64 v[10:11], v[10:11], v[26:27]
	s_add_i32 s15, s14, 0x150
	s_waitcnt vmcnt(1) lgkmcnt(0)
	v_mul_f64 v[26:27], v[216:217], v[4:5]
	v_mul_f64 v[4:5], v[214:215], v[4:5]
	v_fmac_f64_e32 v[4:5], v[216:217], v[2:3]
	v_fma_f64 v[26:27], v[214:215], v[2:3], -v[26:27]
	v_add_f64 v[24:25], v[24:25], v[4:5]
	ds_read_b128 v[2:5], v28 offset:1344
	v_add_f64 v[10:11], v[10:11], v[26:27]
	s_waitcnt vmcnt(0) lgkmcnt(0)
	v_mul_f64 v[26:27], v[4:5], v[204:205]
	v_fma_f64 v[26:27], v[2:3], v[202:203], -v[26:27]
	v_mul_f64 v[2:3], v[2:3], v[204:205]
	v_fmac_f64_e32 v[2:3], v[4:5], v[202:203]
	scratch_load_dwordx4 v[202:205], off, s15
	v_add_f64 v[24:25], v[24:25], v[2:3]
	ds_read_b128 v[2:5], v28 offset:1360
	v_add_f64 v[10:11], v[10:11], v[26:27]
	s_add_i32 s15, s14, 0x160
	s_addk_i32 s14, 0x170
	s_or_b64 s[10:11], vcc, s[10:11]
	s_waitcnt vmcnt(0) lgkmcnt(0)
	v_mul_f64 v[26:27], v[4:5], v[204:205]
	v_fma_f64 v[26:27], v[2:3], v[202:203], -v[26:27]
	v_mul_f64 v[2:3], v[2:3], v[204:205]
	v_fmac_f64_e32 v[2:3], v[4:5], v[202:203]
	scratch_load_dwordx4 v[202:205], off, s15
	v_add_f64 v[24:25], v[24:25], v[2:3]
	ds_read_b128 v[2:5], v28 offset:1376
	v_add_f64 v[10:11], v[10:11], v[26:27]
	s_waitcnt vmcnt(0) lgkmcnt(0)
	v_mul_f64 v[26:27], v[4:5], v[204:205]
	v_fma_f64 v[26:27], v[2:3], v[202:203], -v[26:27]
	v_mul_f64 v[2:3], v[2:3], v[204:205]
	v_fmac_f64_e32 v[2:3], v[4:5], v[202:203]
	scratch_load_dwordx4 v[202:205], off, s14
	v_add_f64 v[24:25], v[24:25], v[2:3]
	ds_read_b128 v[2:5], v28 offset:1392
	v_add_f64 v[10:11], v[10:11], v[26:27]
	s_waitcnt vmcnt(0) lgkmcnt(0)
	v_mul_f64 v[26:27], v[4:5], v[204:205]
	v_mul_f64 v[28:29], v[2:3], v[204:205]
	v_fma_f64 v[26:27], v[2:3], v[202:203], -v[26:27]
	v_fmac_f64_e32 v[28:29], v[4:5], v[202:203]
	v_add_f64 v[2:3], v[10:11], v[26:27]
	v_add_f64 v[4:5], v[24:25], v[28:29]
	s_andn2_b64 exec, exec, s[10:11]
	s_cbranch_execnz .LBB127_655
; %bb.656:
	s_or_b64 exec, exec, s[10:11]
.LBB127_657:
	s_or_b64 exec, exec, s[0:1]
	v_and_b32_e32 v7, 7, v0
	v_cmp_ne_u32_e32 vcc, 0, v7
	s_and_saveexec_b64 s[0:1], vcc
	s_cbranch_execz .LBB127_661
; %bb.658:
	v_lshlrev_b32_e32 v10, 4, v6
	v_or_b32_e32 v6, 0x400, v10
	v_add_u32_e32 v201, 0, v10
	s_mov_b64 s[10:11], 0
.LBB127_659:                            ; =>This Inner Loop Header: Depth=1
	scratch_load_dwordx4 v[202:205], v201, off
	ds_read_b128 v[206:209], v6
	v_add_u32_e32 v7, -1, v7
	v_cmp_eq_u32_e32 vcc, 0, v7
	v_add_u32_e32 v6, 16, v6
	v_add_u32_e32 v201, 16, v201
	s_or_b64 s[10:11], vcc, s[10:11]
	s_waitcnt vmcnt(0) lgkmcnt(0)
	v_mul_f64 v[10:11], v[208:209], v[204:205]
	v_mul_f64 v[24:25], v[206:207], v[204:205]
	v_fma_f64 v[10:11], v[206:207], v[202:203], -v[10:11]
	v_fmac_f64_e32 v[24:25], v[208:209], v[202:203]
	v_add_f64 v[2:3], v[2:3], v[10:11]
	v_add_f64 v[4:5], v[4:5], v[24:25]
	s_andn2_b64 exec, exec, s[10:11]
	s_cbranch_execnz .LBB127_659
; %bb.660:
	s_or_b64 exec, exec, s[10:11]
.LBB127_661:
	s_or_b64 exec, exec, s[0:1]
.LBB127_662:
	s_or_b64 exec, exec, s[8:9]
	v_mov_b32_e32 v6, 0
	ds_read_b128 v[202:205], v6 offset:240
	s_waitcnt lgkmcnt(0)
	v_mul_f64 v[6:7], v[4:5], v[204:205]
	v_mul_f64 v[206:207], v[2:3], v[204:205]
	v_fma_f64 v[204:205], v[2:3], v[202:203], -v[6:7]
	v_fmac_f64_e32 v[206:207], v[4:5], v[202:203]
	scratch_store_dwordx4 off, v[204:207], off offset:240
.LBB127_663:
	s_or_b64 exec, exec, s[4:5]
	scratch_load_dwordx4 v[2:5], v187, off
	v_cmp_lt_u32_e64 s[0:1], 14, v0
	s_waitcnt vmcnt(0)
	ds_write_b128 v9, v[2:5]
	s_waitcnt lgkmcnt(0)
	; wave barrier
	s_waitcnt lgkmcnt(0)
	s_and_saveexec_b64 s[4:5], s[0:1]
	s_cbranch_execz .LBB127_677
; %bb.664:
	ds_read_b128 v[2:5], v9
	s_andn2_b64 vcc, exec, s[6:7]
	s_cbranch_vccnz .LBB127_666
; %bb.665:
	scratch_load_dwordx4 v[202:205], v8, off
	s_waitcnt vmcnt(0) lgkmcnt(0)
	v_mul_f64 v[10:11], v[2:3], v[204:205]
	v_mul_f64 v[6:7], v[4:5], v[204:205]
	v_fmac_f64_e32 v[10:11], v[4:5], v[202:203]
	v_fma_f64 v[2:3], v[2:3], v[202:203], -v[6:7]
	v_mov_b64_e32 v[4:5], v[10:11]
.LBB127_666:
	s_and_saveexec_b64 s[8:9], s[2:3]
	s_cbranch_execz .LBB127_676
; %bb.667:
	v_add_u32_e32 v7, -16, v0
	v_add_u32_e32 v6, -15, v0
	v_cmp_lt_u32_e32 vcc, 6, v7
	v_mov_b32_e32 v202, 15
	s_and_saveexec_b64 s[2:3], vcc
	s_cbranch_execz .LBB127_671
; %bb.668:
	v_and_b32_e32 v7, -8, v6
	s_mov_b32 s12, 0
	s_mov_b64 s[10:11], 0
	v_mov_b32_e32 v201, 0
	s_mov_b32 s13, 0
.LBB127_669:                            ; =>This Inner Loop Header: Depth=1
	v_readfirstlane_b32 s14, v201
	s_add_i32 s14, s14, s12
	s_add_i32 s15, s14, 0xf0
	v_mov_b32_e32 v28, s12
	ds_read_b128 v[202:205], v28 offset:1264
	ds_read_b128 v[206:209], v28 offset:1280
	;; [unrolled: 1-line block ×4, first 2 shown]
	scratch_load_dwordx4 v[218:221], off, s15
	s_add_i32 s15, s14, 0x100
	s_addk_i32 s12, 0x80
	s_waitcnt vmcnt(0) lgkmcnt(3)
	v_mul_f64 v[10:11], v[204:205], v[220:221]
	v_mul_f64 v[24:25], v[202:203], v[220:221]
	v_fma_f64 v[10:11], v[202:203], v[218:219], -v[10:11]
	v_fmac_f64_e32 v[24:25], v[204:205], v[218:219]
	v_add_f64 v[10:11], v[2:3], v[10:11]
	v_add_f64 v[24:25], v[4:5], v[24:25]
	scratch_load_dwordx4 v[2:5], off, s15
	s_add_i32 s15, s14, 0x110
	s_waitcnt vmcnt(0) lgkmcnt(2)
	v_mul_f64 v[26:27], v[208:209], v[4:5]
	v_mul_f64 v[4:5], v[206:207], v[4:5]
	v_fmac_f64_e32 v[4:5], v[208:209], v[2:3]
	v_fma_f64 v[26:27], v[206:207], v[2:3], -v[26:27]
	v_add_f64 v[24:25], v[24:25], v[4:5]
	scratch_load_dwordx4 v[2:5], off, s15
	v_add_f64 v[10:11], v[10:11], v[26:27]
	s_add_i32 s15, s14, 0x120
	s_waitcnt vmcnt(0) lgkmcnt(1)
	v_mul_f64 v[26:27], v[212:213], v[4:5]
	v_mul_f64 v[4:5], v[210:211], v[4:5]
	v_fmac_f64_e32 v[4:5], v[212:213], v[2:3]
	v_fma_f64 v[26:27], v[210:211], v[2:3], -v[26:27]
	v_add_f64 v[24:25], v[24:25], v[4:5]
	scratch_load_dwordx4 v[2:5], off, s15
	s_add_i32 s15, s14, 0x130
	scratch_load_dwordx4 v[202:205], off, s15
	v_add_f64 v[10:11], v[10:11], v[26:27]
	s_add_i32 s15, s14, 0x140
	s_waitcnt vmcnt(1) lgkmcnt(0)
	v_mul_f64 v[26:27], v[216:217], v[4:5]
	v_mul_f64 v[4:5], v[214:215], v[4:5]
	v_fmac_f64_e32 v[4:5], v[216:217], v[2:3]
	v_fma_f64 v[26:27], v[214:215], v[2:3], -v[26:27]
	v_add_f64 v[24:25], v[24:25], v[4:5]
	ds_read_b128 v[2:5], v28 offset:1328
	v_add_f64 v[10:11], v[10:11], v[26:27]
	s_waitcnt vmcnt(0) lgkmcnt(0)
	v_mul_f64 v[26:27], v[4:5], v[204:205]
	v_fma_f64 v[26:27], v[2:3], v[202:203], -v[26:27]
	v_mul_f64 v[2:3], v[2:3], v[204:205]
	v_fmac_f64_e32 v[2:3], v[4:5], v[202:203]
	scratch_load_dwordx4 v[202:205], off, s15
	v_add_f64 v[24:25], v[24:25], v[2:3]
	ds_read_b128 v[2:5], v28 offset:1344
	v_add_f64 v[10:11], v[10:11], v[26:27]
	s_add_i32 s15, s14, 0x150
	s_addk_i32 s14, 0x160
	s_waitcnt vmcnt(0) lgkmcnt(0)
	v_mul_f64 v[26:27], v[4:5], v[204:205]
	v_fma_f64 v[26:27], v[2:3], v[202:203], -v[26:27]
	v_mul_f64 v[2:3], v[2:3], v[204:205]
	v_fmac_f64_e32 v[2:3], v[4:5], v[202:203]
	scratch_load_dwordx4 v[202:205], off, s15
	v_add_f64 v[24:25], v[24:25], v[2:3]
	ds_read_b128 v[2:5], v28 offset:1360
	v_add_f64 v[10:11], v[10:11], v[26:27]
	s_waitcnt vmcnt(0) lgkmcnt(0)
	v_mul_f64 v[26:27], v[4:5], v[204:205]
	v_fma_f64 v[26:27], v[2:3], v[202:203], -v[26:27]
	v_mul_f64 v[2:3], v[2:3], v[204:205]
	v_fmac_f64_e32 v[2:3], v[4:5], v[202:203]
	scratch_load_dwordx4 v[202:205], off, s14
	v_add_f64 v[24:25], v[24:25], v[2:3]
	ds_read_b128 v[2:5], v28 offset:1376
	v_add_f64 v[10:11], v[10:11], v[26:27]
	s_add_i32 s14, s13, 8
	v_cmp_eq_u32_e32 vcc, s14, v7
	s_add_i32 s13, s13, 23
	s_or_b64 s[10:11], vcc, s[10:11]
	s_waitcnt vmcnt(0) lgkmcnt(0)
	v_mul_f64 v[26:27], v[4:5], v[204:205]
	v_mul_f64 v[28:29], v[2:3], v[204:205]
	v_fma_f64 v[26:27], v[2:3], v[202:203], -v[26:27]
	v_fmac_f64_e32 v[28:29], v[4:5], v[202:203]
	v_add_f64 v[2:3], v[10:11], v[26:27]
	v_add_f64 v[4:5], v[24:25], v[28:29]
	v_mov_b32_e32 v202, s13
	s_mov_b32 s13, s14
	s_andn2_b64 exec, exec, s[10:11]
	s_cbranch_execnz .LBB127_669
; %bb.670:
	s_or_b64 exec, exec, s[10:11]
.LBB127_671:
	s_or_b64 exec, exec, s[2:3]
	v_and_b32_e32 v6, 7, v6
	v_cmp_ne_u32_e32 vcc, 0, v6
	s_and_saveexec_b64 s[2:3], vcc
	s_cbranch_execz .LBB127_675
; %bb.672:
	v_lshlrev_b32_e32 v10, 4, v202
	v_add_u32_e32 v7, 0x400, v10
	v_add_u32_e32 v201, 0, v10
	s_mov_b64 s[10:11], 0
.LBB127_673:                            ; =>This Inner Loop Header: Depth=1
	scratch_load_dwordx4 v[202:205], v201, off
	ds_read_b128 v[206:209], v7
	v_add_u32_e32 v6, -1, v6
	v_cmp_eq_u32_e32 vcc, 0, v6
	v_add_u32_e32 v7, 16, v7
	v_add_u32_e32 v201, 16, v201
	s_or_b64 s[10:11], vcc, s[10:11]
	s_waitcnt vmcnt(0) lgkmcnt(0)
	v_mul_f64 v[10:11], v[208:209], v[204:205]
	v_mul_f64 v[24:25], v[206:207], v[204:205]
	v_fma_f64 v[10:11], v[206:207], v[202:203], -v[10:11]
	v_fmac_f64_e32 v[24:25], v[208:209], v[202:203]
	v_add_f64 v[2:3], v[2:3], v[10:11]
	v_add_f64 v[4:5], v[4:5], v[24:25]
	s_andn2_b64 exec, exec, s[10:11]
	s_cbranch_execnz .LBB127_673
; %bb.674:
	s_or_b64 exec, exec, s[10:11]
.LBB127_675:
	s_or_b64 exec, exec, s[2:3]
.LBB127_676:
	s_or_b64 exec, exec, s[8:9]
	v_mov_b32_e32 v6, 0
	ds_read_b128 v[202:205], v6 offset:224
	s_waitcnt lgkmcnt(0)
	v_mul_f64 v[6:7], v[4:5], v[204:205]
	v_mul_f64 v[206:207], v[2:3], v[204:205]
	v_fma_f64 v[204:205], v[2:3], v[202:203], -v[6:7]
	v_fmac_f64_e32 v[206:207], v[4:5], v[202:203]
	scratch_store_dwordx4 off, v[204:207], off offset:224
.LBB127_677:
	s_or_b64 exec, exec, s[4:5]
	scratch_load_dwordx4 v[2:5], v188, off
	v_cmp_lt_u32_e64 s[2:3], 13, v0
	s_waitcnt vmcnt(0)
	ds_write_b128 v9, v[2:5]
	s_waitcnt lgkmcnt(0)
	; wave barrier
	s_waitcnt lgkmcnt(0)
	s_and_saveexec_b64 s[4:5], s[2:3]
	s_cbranch_execz .LBB127_691
; %bb.678:
	ds_read_b128 v[2:5], v9
	s_andn2_b64 vcc, exec, s[6:7]
	s_cbranch_vccnz .LBB127_680
; %bb.679:
	scratch_load_dwordx4 v[202:205], v8, off
	s_waitcnt vmcnt(0) lgkmcnt(0)
	v_mul_f64 v[10:11], v[2:3], v[204:205]
	v_mul_f64 v[6:7], v[4:5], v[204:205]
	v_fmac_f64_e32 v[10:11], v[4:5], v[202:203]
	v_fma_f64 v[2:3], v[2:3], v[202:203], -v[6:7]
	v_mov_b64_e32 v[4:5], v[10:11]
.LBB127_680:
	s_and_saveexec_b64 s[8:9], s[0:1]
	s_cbranch_execz .LBB127_690
; %bb.681:
	v_add_u32_e32 v7, -15, v0
	v_add_u32_e32 v6, -14, v0
	v_cmp_lt_u32_e32 vcc, 6, v7
	v_mov_b32_e32 v202, 14
	s_and_saveexec_b64 s[0:1], vcc
	s_cbranch_execz .LBB127_685
; %bb.682:
	v_and_b32_e32 v7, -8, v6
	s_mov_b32 s12, 0
	s_mov_b64 s[10:11], 0
	v_mov_b32_e32 v201, 0
	s_mov_b32 s13, 0
.LBB127_683:                            ; =>This Inner Loop Header: Depth=1
	v_readfirstlane_b32 s14, v201
	s_add_i32 s14, s14, s12
	s_add_i32 s15, s14, 0xe0
	v_mov_b32_e32 v28, s12
	ds_read_b128 v[202:205], v28 offset:1248
	ds_read_b128 v[206:209], v28 offset:1264
	;; [unrolled: 1-line block ×4, first 2 shown]
	scratch_load_dwordx4 v[218:221], off, s15
	s_add_i32 s15, s14, 0xf0
	s_addk_i32 s12, 0x80
	s_waitcnt vmcnt(0) lgkmcnt(3)
	v_mul_f64 v[10:11], v[204:205], v[220:221]
	v_mul_f64 v[24:25], v[202:203], v[220:221]
	v_fma_f64 v[10:11], v[202:203], v[218:219], -v[10:11]
	v_fmac_f64_e32 v[24:25], v[204:205], v[218:219]
	v_add_f64 v[10:11], v[2:3], v[10:11]
	v_add_f64 v[24:25], v[4:5], v[24:25]
	scratch_load_dwordx4 v[2:5], off, s15
	s_add_i32 s15, s14, 0x100
	s_waitcnt vmcnt(0) lgkmcnt(2)
	v_mul_f64 v[26:27], v[208:209], v[4:5]
	v_mul_f64 v[4:5], v[206:207], v[4:5]
	v_fmac_f64_e32 v[4:5], v[208:209], v[2:3]
	v_fma_f64 v[26:27], v[206:207], v[2:3], -v[26:27]
	v_add_f64 v[24:25], v[24:25], v[4:5]
	scratch_load_dwordx4 v[2:5], off, s15
	v_add_f64 v[10:11], v[10:11], v[26:27]
	s_add_i32 s15, s14, 0x110
	s_waitcnt vmcnt(0) lgkmcnt(1)
	v_mul_f64 v[26:27], v[212:213], v[4:5]
	v_mul_f64 v[4:5], v[210:211], v[4:5]
	v_fmac_f64_e32 v[4:5], v[212:213], v[2:3]
	v_fma_f64 v[26:27], v[210:211], v[2:3], -v[26:27]
	v_add_f64 v[24:25], v[24:25], v[4:5]
	scratch_load_dwordx4 v[2:5], off, s15
	s_add_i32 s15, s14, 0x120
	scratch_load_dwordx4 v[202:205], off, s15
	v_add_f64 v[10:11], v[10:11], v[26:27]
	s_add_i32 s15, s14, 0x130
	s_waitcnt vmcnt(1) lgkmcnt(0)
	v_mul_f64 v[26:27], v[216:217], v[4:5]
	v_mul_f64 v[4:5], v[214:215], v[4:5]
	v_fmac_f64_e32 v[4:5], v[216:217], v[2:3]
	v_fma_f64 v[26:27], v[214:215], v[2:3], -v[26:27]
	v_add_f64 v[24:25], v[24:25], v[4:5]
	ds_read_b128 v[2:5], v28 offset:1312
	v_add_f64 v[10:11], v[10:11], v[26:27]
	s_waitcnt vmcnt(0) lgkmcnt(0)
	v_mul_f64 v[26:27], v[4:5], v[204:205]
	v_fma_f64 v[26:27], v[2:3], v[202:203], -v[26:27]
	v_mul_f64 v[2:3], v[2:3], v[204:205]
	v_fmac_f64_e32 v[2:3], v[4:5], v[202:203]
	scratch_load_dwordx4 v[202:205], off, s15
	v_add_f64 v[24:25], v[24:25], v[2:3]
	ds_read_b128 v[2:5], v28 offset:1328
	v_add_f64 v[10:11], v[10:11], v[26:27]
	s_add_i32 s15, s14, 0x140
	s_addk_i32 s14, 0x150
	s_waitcnt vmcnt(0) lgkmcnt(0)
	v_mul_f64 v[26:27], v[4:5], v[204:205]
	v_fma_f64 v[26:27], v[2:3], v[202:203], -v[26:27]
	v_mul_f64 v[2:3], v[2:3], v[204:205]
	v_fmac_f64_e32 v[2:3], v[4:5], v[202:203]
	scratch_load_dwordx4 v[202:205], off, s15
	v_add_f64 v[24:25], v[24:25], v[2:3]
	ds_read_b128 v[2:5], v28 offset:1344
	v_add_f64 v[10:11], v[10:11], v[26:27]
	s_waitcnt vmcnt(0) lgkmcnt(0)
	v_mul_f64 v[26:27], v[4:5], v[204:205]
	v_fma_f64 v[26:27], v[2:3], v[202:203], -v[26:27]
	v_mul_f64 v[2:3], v[2:3], v[204:205]
	v_fmac_f64_e32 v[2:3], v[4:5], v[202:203]
	scratch_load_dwordx4 v[202:205], off, s14
	v_add_f64 v[24:25], v[24:25], v[2:3]
	ds_read_b128 v[2:5], v28 offset:1360
	v_add_f64 v[10:11], v[10:11], v[26:27]
	s_add_i32 s14, s13, 8
	v_cmp_eq_u32_e32 vcc, s14, v7
	s_add_i32 s13, s13, 22
	s_or_b64 s[10:11], vcc, s[10:11]
	s_waitcnt vmcnt(0) lgkmcnt(0)
	v_mul_f64 v[26:27], v[4:5], v[204:205]
	v_mul_f64 v[28:29], v[2:3], v[204:205]
	v_fma_f64 v[26:27], v[2:3], v[202:203], -v[26:27]
	v_fmac_f64_e32 v[28:29], v[4:5], v[202:203]
	v_add_f64 v[2:3], v[10:11], v[26:27]
	v_add_f64 v[4:5], v[24:25], v[28:29]
	v_mov_b32_e32 v202, s13
	s_mov_b32 s13, s14
	s_andn2_b64 exec, exec, s[10:11]
	s_cbranch_execnz .LBB127_683
; %bb.684:
	s_or_b64 exec, exec, s[10:11]
.LBB127_685:
	s_or_b64 exec, exec, s[0:1]
	v_and_b32_e32 v6, 7, v6
	v_cmp_ne_u32_e32 vcc, 0, v6
	s_and_saveexec_b64 s[0:1], vcc
	s_cbranch_execz .LBB127_689
; %bb.686:
	v_lshlrev_b32_e32 v10, 4, v202
	v_add_u32_e32 v7, 0x400, v10
	v_add_u32_e32 v201, 0, v10
	s_mov_b64 s[10:11], 0
.LBB127_687:                            ; =>This Inner Loop Header: Depth=1
	scratch_load_dwordx4 v[202:205], v201, off
	ds_read_b128 v[206:209], v7
	v_add_u32_e32 v6, -1, v6
	v_cmp_eq_u32_e32 vcc, 0, v6
	v_add_u32_e32 v7, 16, v7
	v_add_u32_e32 v201, 16, v201
	s_or_b64 s[10:11], vcc, s[10:11]
	s_waitcnt vmcnt(0) lgkmcnt(0)
	v_mul_f64 v[10:11], v[208:209], v[204:205]
	v_mul_f64 v[24:25], v[206:207], v[204:205]
	v_fma_f64 v[10:11], v[206:207], v[202:203], -v[10:11]
	v_fmac_f64_e32 v[24:25], v[208:209], v[202:203]
	v_add_f64 v[2:3], v[2:3], v[10:11]
	v_add_f64 v[4:5], v[4:5], v[24:25]
	s_andn2_b64 exec, exec, s[10:11]
	s_cbranch_execnz .LBB127_687
; %bb.688:
	s_or_b64 exec, exec, s[10:11]
.LBB127_689:
	s_or_b64 exec, exec, s[0:1]
.LBB127_690:
	s_or_b64 exec, exec, s[8:9]
	v_mov_b32_e32 v6, 0
	ds_read_b128 v[202:205], v6 offset:208
	s_waitcnt lgkmcnt(0)
	v_mul_f64 v[6:7], v[4:5], v[204:205]
	v_mul_f64 v[206:207], v[2:3], v[204:205]
	v_fma_f64 v[204:205], v[2:3], v[202:203], -v[6:7]
	v_fmac_f64_e32 v[206:207], v[4:5], v[202:203]
	scratch_store_dwordx4 off, v[204:207], off offset:208
.LBB127_691:
	s_or_b64 exec, exec, s[4:5]
	scratch_load_dwordx4 v[2:5], v189, off
	v_cmp_lt_u32_e64 s[0:1], 12, v0
	s_waitcnt vmcnt(0)
	ds_write_b128 v9, v[2:5]
	s_waitcnt lgkmcnt(0)
	; wave barrier
	s_waitcnt lgkmcnt(0)
	s_and_saveexec_b64 s[4:5], s[0:1]
	s_cbranch_execz .LBB127_705
; %bb.692:
	ds_read_b128 v[2:5], v9
	s_andn2_b64 vcc, exec, s[6:7]
	s_cbranch_vccnz .LBB127_694
; %bb.693:
	scratch_load_dwordx4 v[202:205], v8, off
	s_waitcnt vmcnt(0) lgkmcnt(0)
	v_mul_f64 v[10:11], v[2:3], v[204:205]
	v_mul_f64 v[6:7], v[4:5], v[204:205]
	v_fmac_f64_e32 v[10:11], v[4:5], v[202:203]
	v_fma_f64 v[2:3], v[2:3], v[202:203], -v[6:7]
	v_mov_b64_e32 v[4:5], v[10:11]
.LBB127_694:
	s_and_saveexec_b64 s[8:9], s[2:3]
	s_cbranch_execz .LBB127_704
; %bb.695:
	v_add_u32_e32 v7, -14, v0
	v_add_u32_e32 v6, -13, v0
	v_cmp_lt_u32_e32 vcc, 6, v7
	v_mov_b32_e32 v202, 13
	s_and_saveexec_b64 s[2:3], vcc
	s_cbranch_execz .LBB127_699
; %bb.696:
	v_and_b32_e32 v7, -8, v6
	s_mov_b32 s12, 0
	s_mov_b64 s[10:11], 0
	v_mov_b32_e32 v201, 0
	s_mov_b32 s13, 0
.LBB127_697:                            ; =>This Inner Loop Header: Depth=1
	v_readfirstlane_b32 s14, v201
	s_add_i32 s14, s14, s12
	s_add_i32 s15, s14, 0xd0
	v_mov_b32_e32 v28, s12
	ds_read_b128 v[202:205], v28 offset:1232
	ds_read_b128 v[206:209], v28 offset:1248
	ds_read_b128 v[210:213], v28 offset:1264
	ds_read_b128 v[214:217], v28 offset:1280
	scratch_load_dwordx4 v[218:221], off, s15
	s_add_i32 s15, s14, 0xe0
	s_addk_i32 s12, 0x80
	s_waitcnt vmcnt(0) lgkmcnt(3)
	v_mul_f64 v[10:11], v[204:205], v[220:221]
	v_mul_f64 v[24:25], v[202:203], v[220:221]
	v_fma_f64 v[10:11], v[202:203], v[218:219], -v[10:11]
	v_fmac_f64_e32 v[24:25], v[204:205], v[218:219]
	v_add_f64 v[10:11], v[2:3], v[10:11]
	v_add_f64 v[24:25], v[4:5], v[24:25]
	scratch_load_dwordx4 v[2:5], off, s15
	s_add_i32 s15, s14, 0xf0
	s_waitcnt vmcnt(0) lgkmcnt(2)
	v_mul_f64 v[26:27], v[208:209], v[4:5]
	v_mul_f64 v[4:5], v[206:207], v[4:5]
	v_fmac_f64_e32 v[4:5], v[208:209], v[2:3]
	v_fma_f64 v[26:27], v[206:207], v[2:3], -v[26:27]
	v_add_f64 v[24:25], v[24:25], v[4:5]
	scratch_load_dwordx4 v[2:5], off, s15
	v_add_f64 v[10:11], v[10:11], v[26:27]
	s_add_i32 s15, s14, 0x100
	s_waitcnt vmcnt(0) lgkmcnt(1)
	v_mul_f64 v[26:27], v[212:213], v[4:5]
	v_mul_f64 v[4:5], v[210:211], v[4:5]
	v_fmac_f64_e32 v[4:5], v[212:213], v[2:3]
	v_fma_f64 v[26:27], v[210:211], v[2:3], -v[26:27]
	v_add_f64 v[24:25], v[24:25], v[4:5]
	scratch_load_dwordx4 v[2:5], off, s15
	s_add_i32 s15, s14, 0x110
	scratch_load_dwordx4 v[202:205], off, s15
	v_add_f64 v[10:11], v[10:11], v[26:27]
	s_add_i32 s15, s14, 0x120
	s_waitcnt vmcnt(1) lgkmcnt(0)
	v_mul_f64 v[26:27], v[216:217], v[4:5]
	v_mul_f64 v[4:5], v[214:215], v[4:5]
	v_fmac_f64_e32 v[4:5], v[216:217], v[2:3]
	v_fma_f64 v[26:27], v[214:215], v[2:3], -v[26:27]
	v_add_f64 v[24:25], v[24:25], v[4:5]
	ds_read_b128 v[2:5], v28 offset:1296
	v_add_f64 v[10:11], v[10:11], v[26:27]
	s_waitcnt vmcnt(0) lgkmcnt(0)
	v_mul_f64 v[26:27], v[4:5], v[204:205]
	v_fma_f64 v[26:27], v[2:3], v[202:203], -v[26:27]
	v_mul_f64 v[2:3], v[2:3], v[204:205]
	v_fmac_f64_e32 v[2:3], v[4:5], v[202:203]
	scratch_load_dwordx4 v[202:205], off, s15
	v_add_f64 v[24:25], v[24:25], v[2:3]
	ds_read_b128 v[2:5], v28 offset:1312
	v_add_f64 v[10:11], v[10:11], v[26:27]
	s_add_i32 s15, s14, 0x130
	s_addk_i32 s14, 0x140
	s_waitcnt vmcnt(0) lgkmcnt(0)
	v_mul_f64 v[26:27], v[4:5], v[204:205]
	v_fma_f64 v[26:27], v[2:3], v[202:203], -v[26:27]
	v_mul_f64 v[2:3], v[2:3], v[204:205]
	v_fmac_f64_e32 v[2:3], v[4:5], v[202:203]
	scratch_load_dwordx4 v[202:205], off, s15
	v_add_f64 v[24:25], v[24:25], v[2:3]
	ds_read_b128 v[2:5], v28 offset:1328
	v_add_f64 v[10:11], v[10:11], v[26:27]
	s_waitcnt vmcnt(0) lgkmcnt(0)
	v_mul_f64 v[26:27], v[4:5], v[204:205]
	v_fma_f64 v[26:27], v[2:3], v[202:203], -v[26:27]
	v_mul_f64 v[2:3], v[2:3], v[204:205]
	v_fmac_f64_e32 v[2:3], v[4:5], v[202:203]
	scratch_load_dwordx4 v[202:205], off, s14
	v_add_f64 v[24:25], v[24:25], v[2:3]
	ds_read_b128 v[2:5], v28 offset:1344
	v_add_f64 v[10:11], v[10:11], v[26:27]
	s_add_i32 s14, s13, 8
	v_cmp_eq_u32_e32 vcc, s14, v7
	s_add_i32 s13, s13, 21
	s_or_b64 s[10:11], vcc, s[10:11]
	s_waitcnt vmcnt(0) lgkmcnt(0)
	v_mul_f64 v[26:27], v[4:5], v[204:205]
	v_mul_f64 v[28:29], v[2:3], v[204:205]
	v_fma_f64 v[26:27], v[2:3], v[202:203], -v[26:27]
	v_fmac_f64_e32 v[28:29], v[4:5], v[202:203]
	v_add_f64 v[2:3], v[10:11], v[26:27]
	v_add_f64 v[4:5], v[24:25], v[28:29]
	v_mov_b32_e32 v202, s13
	s_mov_b32 s13, s14
	s_andn2_b64 exec, exec, s[10:11]
	s_cbranch_execnz .LBB127_697
; %bb.698:
	s_or_b64 exec, exec, s[10:11]
.LBB127_699:
	s_or_b64 exec, exec, s[2:3]
	v_and_b32_e32 v6, 7, v6
	v_cmp_ne_u32_e32 vcc, 0, v6
	s_and_saveexec_b64 s[2:3], vcc
	s_cbranch_execz .LBB127_703
; %bb.700:
	v_lshlrev_b32_e32 v10, 4, v202
	v_add_u32_e32 v7, 0x400, v10
	v_add_u32_e32 v201, 0, v10
	s_mov_b64 s[10:11], 0
.LBB127_701:                            ; =>This Inner Loop Header: Depth=1
	scratch_load_dwordx4 v[202:205], v201, off
	ds_read_b128 v[206:209], v7
	v_add_u32_e32 v6, -1, v6
	v_cmp_eq_u32_e32 vcc, 0, v6
	v_add_u32_e32 v7, 16, v7
	v_add_u32_e32 v201, 16, v201
	s_or_b64 s[10:11], vcc, s[10:11]
	s_waitcnt vmcnt(0) lgkmcnt(0)
	v_mul_f64 v[10:11], v[208:209], v[204:205]
	v_mul_f64 v[24:25], v[206:207], v[204:205]
	v_fma_f64 v[10:11], v[206:207], v[202:203], -v[10:11]
	v_fmac_f64_e32 v[24:25], v[208:209], v[202:203]
	v_add_f64 v[2:3], v[2:3], v[10:11]
	v_add_f64 v[4:5], v[4:5], v[24:25]
	s_andn2_b64 exec, exec, s[10:11]
	s_cbranch_execnz .LBB127_701
; %bb.702:
	s_or_b64 exec, exec, s[10:11]
.LBB127_703:
	s_or_b64 exec, exec, s[2:3]
.LBB127_704:
	s_or_b64 exec, exec, s[8:9]
	v_mov_b32_e32 v6, 0
	ds_read_b128 v[202:205], v6 offset:192
	s_waitcnt lgkmcnt(0)
	v_mul_f64 v[6:7], v[4:5], v[204:205]
	v_mul_f64 v[206:207], v[2:3], v[204:205]
	v_fma_f64 v[204:205], v[2:3], v[202:203], -v[6:7]
	v_fmac_f64_e32 v[206:207], v[4:5], v[202:203]
	scratch_store_dwordx4 off, v[204:207], off offset:192
.LBB127_705:
	s_or_b64 exec, exec, s[4:5]
	scratch_load_dwordx4 v[2:5], v190, off
	v_cmp_lt_u32_e64 s[2:3], 11, v0
	s_waitcnt vmcnt(0)
	ds_write_b128 v9, v[2:5]
	s_waitcnt lgkmcnt(0)
	; wave barrier
	s_waitcnt lgkmcnt(0)
	s_and_saveexec_b64 s[4:5], s[2:3]
	s_cbranch_execz .LBB127_719
; %bb.706:
	ds_read_b128 v[2:5], v9
	s_andn2_b64 vcc, exec, s[6:7]
	s_cbranch_vccnz .LBB127_708
; %bb.707:
	scratch_load_dwordx4 v[202:205], v8, off
	s_waitcnt vmcnt(0) lgkmcnt(0)
	v_mul_f64 v[10:11], v[2:3], v[204:205]
	v_mul_f64 v[6:7], v[4:5], v[204:205]
	v_fmac_f64_e32 v[10:11], v[4:5], v[202:203]
	v_fma_f64 v[2:3], v[2:3], v[202:203], -v[6:7]
	v_mov_b64_e32 v[4:5], v[10:11]
.LBB127_708:
	s_and_saveexec_b64 s[8:9], s[0:1]
	s_cbranch_execz .LBB127_718
; %bb.709:
	v_add_u32_e32 v7, -13, v0
	v_add_u32_e32 v6, -12, v0
	v_cmp_lt_u32_e32 vcc, 6, v7
	v_mov_b32_e32 v202, 12
	s_and_saveexec_b64 s[0:1], vcc
	s_cbranch_execz .LBB127_713
; %bb.710:
	v_and_b32_e32 v7, -8, v6
	s_mov_b32 s12, 0
	s_mov_b64 s[10:11], 0
	v_mov_b32_e32 v201, 0
	s_mov_b32 s13, 0
.LBB127_711:                            ; =>This Inner Loop Header: Depth=1
	v_readfirstlane_b32 s14, v201
	s_add_i32 s14, s14, s12
	s_add_i32 s15, s14, 0xc0
	v_mov_b32_e32 v28, s12
	ds_read_b128 v[202:205], v28 offset:1216
	ds_read_b128 v[206:209], v28 offset:1232
	;; [unrolled: 1-line block ×4, first 2 shown]
	scratch_load_dwordx4 v[218:221], off, s15
	s_add_i32 s15, s14, 0xd0
	s_addk_i32 s12, 0x80
	s_waitcnt vmcnt(0) lgkmcnt(3)
	v_mul_f64 v[10:11], v[204:205], v[220:221]
	v_mul_f64 v[24:25], v[202:203], v[220:221]
	v_fma_f64 v[10:11], v[202:203], v[218:219], -v[10:11]
	v_fmac_f64_e32 v[24:25], v[204:205], v[218:219]
	v_add_f64 v[10:11], v[2:3], v[10:11]
	v_add_f64 v[24:25], v[4:5], v[24:25]
	scratch_load_dwordx4 v[2:5], off, s15
	s_add_i32 s15, s14, 0xe0
	s_waitcnt vmcnt(0) lgkmcnt(2)
	v_mul_f64 v[26:27], v[208:209], v[4:5]
	v_mul_f64 v[4:5], v[206:207], v[4:5]
	v_fmac_f64_e32 v[4:5], v[208:209], v[2:3]
	v_fma_f64 v[26:27], v[206:207], v[2:3], -v[26:27]
	v_add_f64 v[24:25], v[24:25], v[4:5]
	scratch_load_dwordx4 v[2:5], off, s15
	v_add_f64 v[10:11], v[10:11], v[26:27]
	s_add_i32 s15, s14, 0xf0
	s_waitcnt vmcnt(0) lgkmcnt(1)
	v_mul_f64 v[26:27], v[212:213], v[4:5]
	v_mul_f64 v[4:5], v[210:211], v[4:5]
	v_fmac_f64_e32 v[4:5], v[212:213], v[2:3]
	v_fma_f64 v[26:27], v[210:211], v[2:3], -v[26:27]
	v_add_f64 v[24:25], v[24:25], v[4:5]
	scratch_load_dwordx4 v[2:5], off, s15
	s_add_i32 s15, s14, 0x100
	scratch_load_dwordx4 v[202:205], off, s15
	v_add_f64 v[10:11], v[10:11], v[26:27]
	s_add_i32 s15, s14, 0x110
	s_waitcnt vmcnt(1) lgkmcnt(0)
	v_mul_f64 v[26:27], v[216:217], v[4:5]
	v_mul_f64 v[4:5], v[214:215], v[4:5]
	v_fmac_f64_e32 v[4:5], v[216:217], v[2:3]
	v_fma_f64 v[26:27], v[214:215], v[2:3], -v[26:27]
	v_add_f64 v[24:25], v[24:25], v[4:5]
	ds_read_b128 v[2:5], v28 offset:1280
	v_add_f64 v[10:11], v[10:11], v[26:27]
	s_waitcnt vmcnt(0) lgkmcnt(0)
	v_mul_f64 v[26:27], v[4:5], v[204:205]
	v_fma_f64 v[26:27], v[2:3], v[202:203], -v[26:27]
	v_mul_f64 v[2:3], v[2:3], v[204:205]
	v_fmac_f64_e32 v[2:3], v[4:5], v[202:203]
	scratch_load_dwordx4 v[202:205], off, s15
	v_add_f64 v[24:25], v[24:25], v[2:3]
	ds_read_b128 v[2:5], v28 offset:1296
	v_add_f64 v[10:11], v[10:11], v[26:27]
	s_add_i32 s15, s14, 0x120
	s_addk_i32 s14, 0x130
	s_waitcnt vmcnt(0) lgkmcnt(0)
	v_mul_f64 v[26:27], v[4:5], v[204:205]
	v_fma_f64 v[26:27], v[2:3], v[202:203], -v[26:27]
	v_mul_f64 v[2:3], v[2:3], v[204:205]
	v_fmac_f64_e32 v[2:3], v[4:5], v[202:203]
	scratch_load_dwordx4 v[202:205], off, s15
	v_add_f64 v[24:25], v[24:25], v[2:3]
	ds_read_b128 v[2:5], v28 offset:1312
	v_add_f64 v[10:11], v[10:11], v[26:27]
	s_waitcnt vmcnt(0) lgkmcnt(0)
	v_mul_f64 v[26:27], v[4:5], v[204:205]
	v_fma_f64 v[26:27], v[2:3], v[202:203], -v[26:27]
	v_mul_f64 v[2:3], v[2:3], v[204:205]
	v_fmac_f64_e32 v[2:3], v[4:5], v[202:203]
	scratch_load_dwordx4 v[202:205], off, s14
	v_add_f64 v[24:25], v[24:25], v[2:3]
	ds_read_b128 v[2:5], v28 offset:1328
	v_add_f64 v[10:11], v[10:11], v[26:27]
	s_add_i32 s14, s13, 8
	v_cmp_eq_u32_e32 vcc, s14, v7
	s_add_i32 s13, s13, 20
	s_or_b64 s[10:11], vcc, s[10:11]
	s_waitcnt vmcnt(0) lgkmcnt(0)
	v_mul_f64 v[26:27], v[4:5], v[204:205]
	v_mul_f64 v[28:29], v[2:3], v[204:205]
	v_fma_f64 v[26:27], v[2:3], v[202:203], -v[26:27]
	v_fmac_f64_e32 v[28:29], v[4:5], v[202:203]
	v_add_f64 v[2:3], v[10:11], v[26:27]
	v_add_f64 v[4:5], v[24:25], v[28:29]
	v_mov_b32_e32 v202, s13
	s_mov_b32 s13, s14
	s_andn2_b64 exec, exec, s[10:11]
	s_cbranch_execnz .LBB127_711
; %bb.712:
	s_or_b64 exec, exec, s[10:11]
.LBB127_713:
	s_or_b64 exec, exec, s[0:1]
	v_and_b32_e32 v6, 7, v6
	v_cmp_ne_u32_e32 vcc, 0, v6
	s_and_saveexec_b64 s[0:1], vcc
	s_cbranch_execz .LBB127_717
; %bb.714:
	v_lshlrev_b32_e32 v10, 4, v202
	v_add_u32_e32 v7, 0x400, v10
	v_add_u32_e32 v201, 0, v10
	s_mov_b64 s[10:11], 0
.LBB127_715:                            ; =>This Inner Loop Header: Depth=1
	scratch_load_dwordx4 v[202:205], v201, off
	ds_read_b128 v[206:209], v7
	v_add_u32_e32 v6, -1, v6
	v_cmp_eq_u32_e32 vcc, 0, v6
	v_add_u32_e32 v7, 16, v7
	v_add_u32_e32 v201, 16, v201
	s_or_b64 s[10:11], vcc, s[10:11]
	s_waitcnt vmcnt(0) lgkmcnt(0)
	v_mul_f64 v[10:11], v[208:209], v[204:205]
	v_mul_f64 v[24:25], v[206:207], v[204:205]
	v_fma_f64 v[10:11], v[206:207], v[202:203], -v[10:11]
	v_fmac_f64_e32 v[24:25], v[208:209], v[202:203]
	v_add_f64 v[2:3], v[2:3], v[10:11]
	v_add_f64 v[4:5], v[4:5], v[24:25]
	s_andn2_b64 exec, exec, s[10:11]
	s_cbranch_execnz .LBB127_715
; %bb.716:
	s_or_b64 exec, exec, s[10:11]
.LBB127_717:
	s_or_b64 exec, exec, s[0:1]
.LBB127_718:
	s_or_b64 exec, exec, s[8:9]
	v_mov_b32_e32 v6, 0
	ds_read_b128 v[202:205], v6 offset:176
	s_waitcnt lgkmcnt(0)
	v_mul_f64 v[6:7], v[4:5], v[204:205]
	v_mul_f64 v[206:207], v[2:3], v[204:205]
	v_fma_f64 v[204:205], v[2:3], v[202:203], -v[6:7]
	v_fmac_f64_e32 v[206:207], v[4:5], v[202:203]
	scratch_store_dwordx4 off, v[204:207], off offset:176
.LBB127_719:
	s_or_b64 exec, exec, s[4:5]
	scratch_load_dwordx4 v[2:5], v191, off
	v_cmp_lt_u32_e64 s[0:1], 10, v0
	s_waitcnt vmcnt(0)
	ds_write_b128 v9, v[2:5]
	s_waitcnt lgkmcnt(0)
	; wave barrier
	s_waitcnt lgkmcnt(0)
	s_and_saveexec_b64 s[4:5], s[0:1]
	s_cbranch_execz .LBB127_733
; %bb.720:
	ds_read_b128 v[2:5], v9
	s_andn2_b64 vcc, exec, s[6:7]
	s_cbranch_vccnz .LBB127_722
; %bb.721:
	scratch_load_dwordx4 v[202:205], v8, off
	s_waitcnt vmcnt(0) lgkmcnt(0)
	v_mul_f64 v[10:11], v[2:3], v[204:205]
	v_mul_f64 v[6:7], v[4:5], v[204:205]
	v_fmac_f64_e32 v[10:11], v[4:5], v[202:203]
	v_fma_f64 v[2:3], v[2:3], v[202:203], -v[6:7]
	v_mov_b64_e32 v[4:5], v[10:11]
.LBB127_722:
	s_and_saveexec_b64 s[8:9], s[2:3]
	s_cbranch_execz .LBB127_732
; %bb.723:
	v_add_u32_e32 v7, -12, v0
	v_add_u32_e32 v6, -11, v0
	v_cmp_lt_u32_e32 vcc, 6, v7
	v_mov_b32_e32 v202, 11
	s_and_saveexec_b64 s[2:3], vcc
	s_cbranch_execz .LBB127_727
; %bb.724:
	v_and_b32_e32 v7, -8, v6
	s_mov_b32 s12, 0
	s_mov_b64 s[10:11], 0
	v_mov_b32_e32 v201, 0
	s_mov_b32 s13, 0
.LBB127_725:                            ; =>This Inner Loop Header: Depth=1
	v_readfirstlane_b32 s14, v201
	s_add_i32 s14, s14, s12
	s_add_i32 s15, s14, 0xb0
	v_mov_b32_e32 v28, s12
	ds_read_b128 v[202:205], v28 offset:1200
	ds_read_b128 v[206:209], v28 offset:1216
	;; [unrolled: 1-line block ×4, first 2 shown]
	scratch_load_dwordx4 v[218:221], off, s15
	s_add_i32 s15, s14, 0xc0
	s_addk_i32 s12, 0x80
	s_waitcnt vmcnt(0) lgkmcnt(3)
	v_mul_f64 v[10:11], v[204:205], v[220:221]
	v_mul_f64 v[24:25], v[202:203], v[220:221]
	v_fma_f64 v[10:11], v[202:203], v[218:219], -v[10:11]
	v_fmac_f64_e32 v[24:25], v[204:205], v[218:219]
	v_add_f64 v[10:11], v[2:3], v[10:11]
	v_add_f64 v[24:25], v[4:5], v[24:25]
	scratch_load_dwordx4 v[2:5], off, s15
	s_add_i32 s15, s14, 0xd0
	s_waitcnt vmcnt(0) lgkmcnt(2)
	v_mul_f64 v[26:27], v[208:209], v[4:5]
	v_mul_f64 v[4:5], v[206:207], v[4:5]
	v_fmac_f64_e32 v[4:5], v[208:209], v[2:3]
	v_fma_f64 v[26:27], v[206:207], v[2:3], -v[26:27]
	v_add_f64 v[24:25], v[24:25], v[4:5]
	scratch_load_dwordx4 v[2:5], off, s15
	v_add_f64 v[10:11], v[10:11], v[26:27]
	s_add_i32 s15, s14, 0xe0
	s_waitcnt vmcnt(0) lgkmcnt(1)
	v_mul_f64 v[26:27], v[212:213], v[4:5]
	v_mul_f64 v[4:5], v[210:211], v[4:5]
	v_fmac_f64_e32 v[4:5], v[212:213], v[2:3]
	v_fma_f64 v[26:27], v[210:211], v[2:3], -v[26:27]
	v_add_f64 v[24:25], v[24:25], v[4:5]
	scratch_load_dwordx4 v[2:5], off, s15
	s_add_i32 s15, s14, 0xf0
	scratch_load_dwordx4 v[202:205], off, s15
	v_add_f64 v[10:11], v[10:11], v[26:27]
	s_add_i32 s15, s14, 0x100
	s_waitcnt vmcnt(1) lgkmcnt(0)
	v_mul_f64 v[26:27], v[216:217], v[4:5]
	v_mul_f64 v[4:5], v[214:215], v[4:5]
	v_fmac_f64_e32 v[4:5], v[216:217], v[2:3]
	v_fma_f64 v[26:27], v[214:215], v[2:3], -v[26:27]
	v_add_f64 v[24:25], v[24:25], v[4:5]
	ds_read_b128 v[2:5], v28 offset:1264
	v_add_f64 v[10:11], v[10:11], v[26:27]
	s_waitcnt vmcnt(0) lgkmcnt(0)
	v_mul_f64 v[26:27], v[4:5], v[204:205]
	v_fma_f64 v[26:27], v[2:3], v[202:203], -v[26:27]
	v_mul_f64 v[2:3], v[2:3], v[204:205]
	v_fmac_f64_e32 v[2:3], v[4:5], v[202:203]
	scratch_load_dwordx4 v[202:205], off, s15
	v_add_f64 v[24:25], v[24:25], v[2:3]
	ds_read_b128 v[2:5], v28 offset:1280
	v_add_f64 v[10:11], v[10:11], v[26:27]
	s_add_i32 s15, s14, 0x110
	s_addk_i32 s14, 0x120
	s_waitcnt vmcnt(0) lgkmcnt(0)
	v_mul_f64 v[26:27], v[4:5], v[204:205]
	v_fma_f64 v[26:27], v[2:3], v[202:203], -v[26:27]
	v_mul_f64 v[2:3], v[2:3], v[204:205]
	v_fmac_f64_e32 v[2:3], v[4:5], v[202:203]
	scratch_load_dwordx4 v[202:205], off, s15
	v_add_f64 v[24:25], v[24:25], v[2:3]
	ds_read_b128 v[2:5], v28 offset:1296
	v_add_f64 v[10:11], v[10:11], v[26:27]
	s_waitcnt vmcnt(0) lgkmcnt(0)
	v_mul_f64 v[26:27], v[4:5], v[204:205]
	v_fma_f64 v[26:27], v[2:3], v[202:203], -v[26:27]
	v_mul_f64 v[2:3], v[2:3], v[204:205]
	v_fmac_f64_e32 v[2:3], v[4:5], v[202:203]
	scratch_load_dwordx4 v[202:205], off, s14
	v_add_f64 v[24:25], v[24:25], v[2:3]
	ds_read_b128 v[2:5], v28 offset:1312
	v_add_f64 v[10:11], v[10:11], v[26:27]
	s_add_i32 s14, s13, 8
	v_cmp_eq_u32_e32 vcc, s14, v7
	s_add_i32 s13, s13, 19
	s_or_b64 s[10:11], vcc, s[10:11]
	s_waitcnt vmcnt(0) lgkmcnt(0)
	v_mul_f64 v[26:27], v[4:5], v[204:205]
	v_mul_f64 v[28:29], v[2:3], v[204:205]
	v_fma_f64 v[26:27], v[2:3], v[202:203], -v[26:27]
	v_fmac_f64_e32 v[28:29], v[4:5], v[202:203]
	v_add_f64 v[2:3], v[10:11], v[26:27]
	v_add_f64 v[4:5], v[24:25], v[28:29]
	v_mov_b32_e32 v202, s13
	s_mov_b32 s13, s14
	s_andn2_b64 exec, exec, s[10:11]
	s_cbranch_execnz .LBB127_725
; %bb.726:
	s_or_b64 exec, exec, s[10:11]
.LBB127_727:
	s_or_b64 exec, exec, s[2:3]
	v_and_b32_e32 v6, 7, v6
	v_cmp_ne_u32_e32 vcc, 0, v6
	s_and_saveexec_b64 s[2:3], vcc
	s_cbranch_execz .LBB127_731
; %bb.728:
	v_lshlrev_b32_e32 v10, 4, v202
	v_add_u32_e32 v7, 0x400, v10
	v_add_u32_e32 v201, 0, v10
	s_mov_b64 s[10:11], 0
.LBB127_729:                            ; =>This Inner Loop Header: Depth=1
	scratch_load_dwordx4 v[202:205], v201, off
	ds_read_b128 v[206:209], v7
	v_add_u32_e32 v6, -1, v6
	v_cmp_eq_u32_e32 vcc, 0, v6
	v_add_u32_e32 v7, 16, v7
	v_add_u32_e32 v201, 16, v201
	s_or_b64 s[10:11], vcc, s[10:11]
	s_waitcnt vmcnt(0) lgkmcnt(0)
	v_mul_f64 v[10:11], v[208:209], v[204:205]
	v_mul_f64 v[24:25], v[206:207], v[204:205]
	v_fma_f64 v[10:11], v[206:207], v[202:203], -v[10:11]
	v_fmac_f64_e32 v[24:25], v[208:209], v[202:203]
	v_add_f64 v[2:3], v[2:3], v[10:11]
	v_add_f64 v[4:5], v[4:5], v[24:25]
	s_andn2_b64 exec, exec, s[10:11]
	s_cbranch_execnz .LBB127_729
; %bb.730:
	s_or_b64 exec, exec, s[10:11]
.LBB127_731:
	s_or_b64 exec, exec, s[2:3]
.LBB127_732:
	s_or_b64 exec, exec, s[8:9]
	v_mov_b32_e32 v6, 0
	ds_read_b128 v[202:205], v6 offset:160
	s_waitcnt lgkmcnt(0)
	v_mul_f64 v[6:7], v[4:5], v[204:205]
	v_mul_f64 v[206:207], v[2:3], v[204:205]
	v_fma_f64 v[204:205], v[2:3], v[202:203], -v[6:7]
	v_fmac_f64_e32 v[206:207], v[4:5], v[202:203]
	scratch_store_dwordx4 off, v[204:207], off offset:160
.LBB127_733:
	s_or_b64 exec, exec, s[4:5]
	scratch_load_dwordx4 v[2:5], v192, off
	v_cmp_lt_u32_e64 s[2:3], 9, v0
	s_waitcnt vmcnt(0)
	ds_write_b128 v9, v[2:5]
	s_waitcnt lgkmcnt(0)
	; wave barrier
	s_waitcnt lgkmcnt(0)
	s_and_saveexec_b64 s[4:5], s[2:3]
	s_cbranch_execz .LBB127_747
; %bb.734:
	ds_read_b128 v[2:5], v9
	s_andn2_b64 vcc, exec, s[6:7]
	s_cbranch_vccnz .LBB127_736
; %bb.735:
	scratch_load_dwordx4 v[202:205], v8, off
	s_waitcnt vmcnt(0) lgkmcnt(0)
	v_mul_f64 v[10:11], v[2:3], v[204:205]
	v_mul_f64 v[6:7], v[4:5], v[204:205]
	v_fmac_f64_e32 v[10:11], v[4:5], v[202:203]
	v_fma_f64 v[2:3], v[2:3], v[202:203], -v[6:7]
	v_mov_b64_e32 v[4:5], v[10:11]
.LBB127_736:
	s_and_saveexec_b64 s[8:9], s[0:1]
	s_cbranch_execz .LBB127_746
; %bb.737:
	v_add_u32_e32 v7, -11, v0
	v_add_u32_e32 v6, -10, v0
	v_cmp_lt_u32_e32 vcc, 6, v7
	v_mov_b32_e32 v202, 10
	s_and_saveexec_b64 s[0:1], vcc
	s_cbranch_execz .LBB127_741
; %bb.738:
	v_and_b32_e32 v7, -8, v6
	s_mov_b32 s12, 0
	s_mov_b64 s[10:11], 0
	v_mov_b32_e32 v201, 0
	s_mov_b32 s13, 0
.LBB127_739:                            ; =>This Inner Loop Header: Depth=1
	v_readfirstlane_b32 s14, v201
	s_add_i32 s14, s14, s12
	s_add_i32 s15, s14, 0xa0
	v_mov_b32_e32 v28, s12
	ds_read_b128 v[202:205], v28 offset:1184
	ds_read_b128 v[206:209], v28 offset:1200
	;; [unrolled: 1-line block ×4, first 2 shown]
	scratch_load_dwordx4 v[218:221], off, s15
	s_add_i32 s15, s14, 0xb0
	s_addk_i32 s12, 0x80
	s_waitcnt vmcnt(0) lgkmcnt(3)
	v_mul_f64 v[10:11], v[204:205], v[220:221]
	v_mul_f64 v[24:25], v[202:203], v[220:221]
	v_fma_f64 v[10:11], v[202:203], v[218:219], -v[10:11]
	v_fmac_f64_e32 v[24:25], v[204:205], v[218:219]
	v_add_f64 v[10:11], v[2:3], v[10:11]
	v_add_f64 v[24:25], v[4:5], v[24:25]
	scratch_load_dwordx4 v[2:5], off, s15
	s_add_i32 s15, s14, 0xc0
	s_waitcnt vmcnt(0) lgkmcnt(2)
	v_mul_f64 v[26:27], v[208:209], v[4:5]
	v_mul_f64 v[4:5], v[206:207], v[4:5]
	v_fmac_f64_e32 v[4:5], v[208:209], v[2:3]
	v_fma_f64 v[26:27], v[206:207], v[2:3], -v[26:27]
	v_add_f64 v[24:25], v[24:25], v[4:5]
	scratch_load_dwordx4 v[2:5], off, s15
	v_add_f64 v[10:11], v[10:11], v[26:27]
	s_add_i32 s15, s14, 0xd0
	s_waitcnt vmcnt(0) lgkmcnt(1)
	v_mul_f64 v[26:27], v[212:213], v[4:5]
	v_mul_f64 v[4:5], v[210:211], v[4:5]
	v_fmac_f64_e32 v[4:5], v[212:213], v[2:3]
	v_fma_f64 v[26:27], v[210:211], v[2:3], -v[26:27]
	v_add_f64 v[24:25], v[24:25], v[4:5]
	scratch_load_dwordx4 v[2:5], off, s15
	s_add_i32 s15, s14, 0xe0
	scratch_load_dwordx4 v[202:205], off, s15
	v_add_f64 v[10:11], v[10:11], v[26:27]
	s_add_i32 s15, s14, 0xf0
	s_waitcnt vmcnt(1) lgkmcnt(0)
	v_mul_f64 v[26:27], v[216:217], v[4:5]
	v_mul_f64 v[4:5], v[214:215], v[4:5]
	v_fmac_f64_e32 v[4:5], v[216:217], v[2:3]
	v_fma_f64 v[26:27], v[214:215], v[2:3], -v[26:27]
	v_add_f64 v[24:25], v[24:25], v[4:5]
	ds_read_b128 v[2:5], v28 offset:1248
	v_add_f64 v[10:11], v[10:11], v[26:27]
	s_waitcnt vmcnt(0) lgkmcnt(0)
	v_mul_f64 v[26:27], v[4:5], v[204:205]
	v_fma_f64 v[26:27], v[2:3], v[202:203], -v[26:27]
	v_mul_f64 v[2:3], v[2:3], v[204:205]
	v_fmac_f64_e32 v[2:3], v[4:5], v[202:203]
	scratch_load_dwordx4 v[202:205], off, s15
	v_add_f64 v[24:25], v[24:25], v[2:3]
	ds_read_b128 v[2:5], v28 offset:1264
	v_add_f64 v[10:11], v[10:11], v[26:27]
	s_add_i32 s15, s14, 0x100
	s_addk_i32 s14, 0x110
	s_waitcnt vmcnt(0) lgkmcnt(0)
	v_mul_f64 v[26:27], v[4:5], v[204:205]
	v_fma_f64 v[26:27], v[2:3], v[202:203], -v[26:27]
	v_mul_f64 v[2:3], v[2:3], v[204:205]
	v_fmac_f64_e32 v[2:3], v[4:5], v[202:203]
	scratch_load_dwordx4 v[202:205], off, s15
	v_add_f64 v[24:25], v[24:25], v[2:3]
	ds_read_b128 v[2:5], v28 offset:1280
	v_add_f64 v[10:11], v[10:11], v[26:27]
	s_waitcnt vmcnt(0) lgkmcnt(0)
	v_mul_f64 v[26:27], v[4:5], v[204:205]
	v_fma_f64 v[26:27], v[2:3], v[202:203], -v[26:27]
	v_mul_f64 v[2:3], v[2:3], v[204:205]
	v_fmac_f64_e32 v[2:3], v[4:5], v[202:203]
	scratch_load_dwordx4 v[202:205], off, s14
	v_add_f64 v[24:25], v[24:25], v[2:3]
	ds_read_b128 v[2:5], v28 offset:1296
	v_add_f64 v[10:11], v[10:11], v[26:27]
	s_add_i32 s14, s13, 8
	v_cmp_eq_u32_e32 vcc, s14, v7
	s_add_i32 s13, s13, 18
	s_or_b64 s[10:11], vcc, s[10:11]
	s_waitcnt vmcnt(0) lgkmcnt(0)
	v_mul_f64 v[26:27], v[4:5], v[204:205]
	v_mul_f64 v[28:29], v[2:3], v[204:205]
	v_fma_f64 v[26:27], v[2:3], v[202:203], -v[26:27]
	v_fmac_f64_e32 v[28:29], v[4:5], v[202:203]
	v_add_f64 v[2:3], v[10:11], v[26:27]
	v_add_f64 v[4:5], v[24:25], v[28:29]
	v_mov_b32_e32 v202, s13
	s_mov_b32 s13, s14
	s_andn2_b64 exec, exec, s[10:11]
	s_cbranch_execnz .LBB127_739
; %bb.740:
	s_or_b64 exec, exec, s[10:11]
.LBB127_741:
	s_or_b64 exec, exec, s[0:1]
	v_and_b32_e32 v6, 7, v6
	v_cmp_ne_u32_e32 vcc, 0, v6
	s_and_saveexec_b64 s[0:1], vcc
	s_cbranch_execz .LBB127_745
; %bb.742:
	v_lshlrev_b32_e32 v10, 4, v202
	v_add_u32_e32 v7, 0x400, v10
	v_add_u32_e32 v201, 0, v10
	s_mov_b64 s[10:11], 0
.LBB127_743:                            ; =>This Inner Loop Header: Depth=1
	scratch_load_dwordx4 v[202:205], v201, off
	ds_read_b128 v[206:209], v7
	v_add_u32_e32 v6, -1, v6
	v_cmp_eq_u32_e32 vcc, 0, v6
	v_add_u32_e32 v7, 16, v7
	v_add_u32_e32 v201, 16, v201
	s_or_b64 s[10:11], vcc, s[10:11]
	s_waitcnt vmcnt(0) lgkmcnt(0)
	v_mul_f64 v[10:11], v[208:209], v[204:205]
	v_mul_f64 v[24:25], v[206:207], v[204:205]
	v_fma_f64 v[10:11], v[206:207], v[202:203], -v[10:11]
	v_fmac_f64_e32 v[24:25], v[208:209], v[202:203]
	v_add_f64 v[2:3], v[2:3], v[10:11]
	v_add_f64 v[4:5], v[4:5], v[24:25]
	s_andn2_b64 exec, exec, s[10:11]
	s_cbranch_execnz .LBB127_743
; %bb.744:
	s_or_b64 exec, exec, s[10:11]
.LBB127_745:
	s_or_b64 exec, exec, s[0:1]
.LBB127_746:
	s_or_b64 exec, exec, s[8:9]
	v_mov_b32_e32 v6, 0
	ds_read_b128 v[202:205], v6 offset:144
	s_waitcnt lgkmcnt(0)
	v_mul_f64 v[6:7], v[4:5], v[204:205]
	v_mul_f64 v[206:207], v[2:3], v[204:205]
	v_fma_f64 v[204:205], v[2:3], v[202:203], -v[6:7]
	v_fmac_f64_e32 v[206:207], v[4:5], v[202:203]
	scratch_store_dwordx4 off, v[204:207], off offset:144
.LBB127_747:
	s_or_b64 exec, exec, s[4:5]
	scratch_load_dwordx4 v[2:5], v193, off
	v_cmp_lt_u32_e64 s[0:1], 8, v0
	s_waitcnt vmcnt(0)
	ds_write_b128 v9, v[2:5]
	s_waitcnt lgkmcnt(0)
	; wave barrier
	s_waitcnt lgkmcnt(0)
	s_and_saveexec_b64 s[4:5], s[0:1]
	s_cbranch_execz .LBB127_761
; %bb.748:
	ds_read_b128 v[2:5], v9
	s_andn2_b64 vcc, exec, s[6:7]
	s_cbranch_vccnz .LBB127_750
; %bb.749:
	scratch_load_dwordx4 v[202:205], v8, off
	s_waitcnt vmcnt(0) lgkmcnt(0)
	v_mul_f64 v[10:11], v[2:3], v[204:205]
	v_mul_f64 v[6:7], v[4:5], v[204:205]
	v_fmac_f64_e32 v[10:11], v[4:5], v[202:203]
	v_fma_f64 v[2:3], v[2:3], v[202:203], -v[6:7]
	v_mov_b64_e32 v[4:5], v[10:11]
.LBB127_750:
	s_and_saveexec_b64 s[8:9], s[2:3]
	s_cbranch_execz .LBB127_760
; %bb.751:
	v_add_u32_e32 v7, -10, v0
	v_add_u32_e32 v6, -9, v0
	v_cmp_lt_u32_e32 vcc, 6, v7
	v_mov_b32_e32 v202, 9
	s_and_saveexec_b64 s[2:3], vcc
	s_cbranch_execz .LBB127_755
; %bb.752:
	v_and_b32_e32 v7, -8, v6
	s_mov_b32 s12, 0
	s_mov_b64 s[10:11], 0
	v_mov_b32_e32 v201, 0
	s_mov_b32 s13, 0
.LBB127_753:                            ; =>This Inner Loop Header: Depth=1
	v_readfirstlane_b32 s14, v201
	s_add_i32 s14, s14, s12
	s_add_i32 s15, s14, 0x90
	v_mov_b32_e32 v28, s12
	ds_read_b128 v[202:205], v28 offset:1168
	ds_read_b128 v[206:209], v28 offset:1184
	ds_read_b128 v[210:213], v28 offset:1200
	ds_read_b128 v[214:217], v28 offset:1216
	scratch_load_dwordx4 v[218:221], off, s15
	s_add_i32 s15, s14, 0xa0
	s_addk_i32 s12, 0x80
	s_waitcnt vmcnt(0) lgkmcnt(3)
	v_mul_f64 v[10:11], v[204:205], v[220:221]
	v_mul_f64 v[24:25], v[202:203], v[220:221]
	v_fma_f64 v[10:11], v[202:203], v[218:219], -v[10:11]
	v_fmac_f64_e32 v[24:25], v[204:205], v[218:219]
	v_add_f64 v[10:11], v[2:3], v[10:11]
	v_add_f64 v[24:25], v[4:5], v[24:25]
	scratch_load_dwordx4 v[2:5], off, s15
	s_add_i32 s15, s14, 0xb0
	s_waitcnt vmcnt(0) lgkmcnt(2)
	v_mul_f64 v[26:27], v[208:209], v[4:5]
	v_mul_f64 v[4:5], v[206:207], v[4:5]
	v_fmac_f64_e32 v[4:5], v[208:209], v[2:3]
	v_fma_f64 v[26:27], v[206:207], v[2:3], -v[26:27]
	v_add_f64 v[24:25], v[24:25], v[4:5]
	scratch_load_dwordx4 v[2:5], off, s15
	v_add_f64 v[10:11], v[10:11], v[26:27]
	s_add_i32 s15, s14, 0xc0
	s_waitcnt vmcnt(0) lgkmcnt(1)
	v_mul_f64 v[26:27], v[212:213], v[4:5]
	v_mul_f64 v[4:5], v[210:211], v[4:5]
	v_fmac_f64_e32 v[4:5], v[212:213], v[2:3]
	v_fma_f64 v[26:27], v[210:211], v[2:3], -v[26:27]
	v_add_f64 v[24:25], v[24:25], v[4:5]
	scratch_load_dwordx4 v[2:5], off, s15
	s_add_i32 s15, s14, 0xd0
	scratch_load_dwordx4 v[202:205], off, s15
	v_add_f64 v[10:11], v[10:11], v[26:27]
	s_add_i32 s15, s14, 0xe0
	s_waitcnt vmcnt(1) lgkmcnt(0)
	v_mul_f64 v[26:27], v[216:217], v[4:5]
	v_mul_f64 v[4:5], v[214:215], v[4:5]
	v_fmac_f64_e32 v[4:5], v[216:217], v[2:3]
	v_fma_f64 v[26:27], v[214:215], v[2:3], -v[26:27]
	v_add_f64 v[24:25], v[24:25], v[4:5]
	ds_read_b128 v[2:5], v28 offset:1232
	v_add_f64 v[10:11], v[10:11], v[26:27]
	s_waitcnt vmcnt(0) lgkmcnt(0)
	v_mul_f64 v[26:27], v[4:5], v[204:205]
	v_fma_f64 v[26:27], v[2:3], v[202:203], -v[26:27]
	v_mul_f64 v[2:3], v[2:3], v[204:205]
	v_fmac_f64_e32 v[2:3], v[4:5], v[202:203]
	scratch_load_dwordx4 v[202:205], off, s15
	v_add_f64 v[24:25], v[24:25], v[2:3]
	ds_read_b128 v[2:5], v28 offset:1248
	v_add_f64 v[10:11], v[10:11], v[26:27]
	s_add_i32 s15, s14, 0xf0
	s_addk_i32 s14, 0x100
	s_waitcnt vmcnt(0) lgkmcnt(0)
	v_mul_f64 v[26:27], v[4:5], v[204:205]
	v_fma_f64 v[26:27], v[2:3], v[202:203], -v[26:27]
	v_mul_f64 v[2:3], v[2:3], v[204:205]
	v_fmac_f64_e32 v[2:3], v[4:5], v[202:203]
	scratch_load_dwordx4 v[202:205], off, s15
	v_add_f64 v[24:25], v[24:25], v[2:3]
	ds_read_b128 v[2:5], v28 offset:1264
	v_add_f64 v[10:11], v[10:11], v[26:27]
	s_waitcnt vmcnt(0) lgkmcnt(0)
	v_mul_f64 v[26:27], v[4:5], v[204:205]
	v_fma_f64 v[26:27], v[2:3], v[202:203], -v[26:27]
	v_mul_f64 v[2:3], v[2:3], v[204:205]
	v_fmac_f64_e32 v[2:3], v[4:5], v[202:203]
	scratch_load_dwordx4 v[202:205], off, s14
	v_add_f64 v[24:25], v[24:25], v[2:3]
	ds_read_b128 v[2:5], v28 offset:1280
	v_add_f64 v[10:11], v[10:11], v[26:27]
	s_add_i32 s14, s13, 8
	v_cmp_eq_u32_e32 vcc, s14, v7
	s_add_i32 s13, s13, 17
	s_or_b64 s[10:11], vcc, s[10:11]
	s_waitcnt vmcnt(0) lgkmcnt(0)
	v_mul_f64 v[26:27], v[4:5], v[204:205]
	v_mul_f64 v[28:29], v[2:3], v[204:205]
	v_fma_f64 v[26:27], v[2:3], v[202:203], -v[26:27]
	v_fmac_f64_e32 v[28:29], v[4:5], v[202:203]
	v_add_f64 v[2:3], v[10:11], v[26:27]
	v_add_f64 v[4:5], v[24:25], v[28:29]
	v_mov_b32_e32 v202, s13
	s_mov_b32 s13, s14
	s_andn2_b64 exec, exec, s[10:11]
	s_cbranch_execnz .LBB127_753
; %bb.754:
	s_or_b64 exec, exec, s[10:11]
.LBB127_755:
	s_or_b64 exec, exec, s[2:3]
	v_and_b32_e32 v6, 7, v6
	v_cmp_ne_u32_e32 vcc, 0, v6
	s_and_saveexec_b64 s[2:3], vcc
	s_cbranch_execz .LBB127_759
; %bb.756:
	v_lshlrev_b32_e32 v10, 4, v202
	v_add_u32_e32 v7, 0x400, v10
	v_add_u32_e32 v201, 0, v10
	s_mov_b64 s[10:11], 0
.LBB127_757:                            ; =>This Inner Loop Header: Depth=1
	scratch_load_dwordx4 v[202:205], v201, off
	ds_read_b128 v[206:209], v7
	v_add_u32_e32 v6, -1, v6
	v_cmp_eq_u32_e32 vcc, 0, v6
	v_add_u32_e32 v7, 16, v7
	v_add_u32_e32 v201, 16, v201
	s_or_b64 s[10:11], vcc, s[10:11]
	s_waitcnt vmcnt(0) lgkmcnt(0)
	v_mul_f64 v[10:11], v[208:209], v[204:205]
	v_mul_f64 v[24:25], v[206:207], v[204:205]
	v_fma_f64 v[10:11], v[206:207], v[202:203], -v[10:11]
	v_fmac_f64_e32 v[24:25], v[208:209], v[202:203]
	v_add_f64 v[2:3], v[2:3], v[10:11]
	v_add_f64 v[4:5], v[4:5], v[24:25]
	s_andn2_b64 exec, exec, s[10:11]
	s_cbranch_execnz .LBB127_757
; %bb.758:
	s_or_b64 exec, exec, s[10:11]
.LBB127_759:
	s_or_b64 exec, exec, s[2:3]
.LBB127_760:
	s_or_b64 exec, exec, s[8:9]
	v_mov_b32_e32 v6, 0
	ds_read_b128 v[202:205], v6 offset:128
	s_waitcnt lgkmcnt(0)
	v_mul_f64 v[6:7], v[4:5], v[204:205]
	v_mul_f64 v[206:207], v[2:3], v[204:205]
	v_fma_f64 v[204:205], v[2:3], v[202:203], -v[6:7]
	v_fmac_f64_e32 v[206:207], v[4:5], v[202:203]
	scratch_store_dwordx4 off, v[204:207], off offset:128
.LBB127_761:
	s_or_b64 exec, exec, s[4:5]
	scratch_load_dwordx4 v[2:5], v194, off
	v_cmp_lt_u32_e64 s[2:3], 7, v0
	s_waitcnt vmcnt(0)
	ds_write_b128 v9, v[2:5]
	s_waitcnt lgkmcnt(0)
	; wave barrier
	s_waitcnt lgkmcnt(0)
	s_and_saveexec_b64 s[4:5], s[2:3]
	s_cbranch_execz .LBB127_775
; %bb.762:
	ds_read_b128 v[2:5], v9
	s_andn2_b64 vcc, exec, s[6:7]
	s_cbranch_vccnz .LBB127_764
; %bb.763:
	scratch_load_dwordx4 v[202:205], v8, off
	s_waitcnt vmcnt(0) lgkmcnt(0)
	v_mul_f64 v[10:11], v[2:3], v[204:205]
	v_mul_f64 v[6:7], v[4:5], v[204:205]
	v_fmac_f64_e32 v[10:11], v[4:5], v[202:203]
	v_fma_f64 v[2:3], v[2:3], v[202:203], -v[6:7]
	v_mov_b64_e32 v[4:5], v[10:11]
.LBB127_764:
	s_and_saveexec_b64 s[8:9], s[0:1]
	s_cbranch_execz .LBB127_774
; %bb.765:
	v_add_u32_e32 v6, -9, v0
	v_cmp_lt_u32_e32 vcc, 6, v6
	v_mov_b32_e32 v6, 8
	s_and_saveexec_b64 s[0:1], vcc
	s_cbranch_execz .LBB127_769
; %bb.766:
	v_and_b32_e32 v6, 56, v0
	s_mov_b32 s12, 8
	s_mov_b32 s13, 0
	s_mov_b64 s[10:11], 0
	v_mov_b32_e32 v7, 0
.LBB127_767:                            ; =>This Inner Loop Header: Depth=1
	s_nop 0
	v_readfirstlane_b32 s14, v7
	s_add_i32 s14, s14, s13
	s_add_i32 s15, s14, 0x80
	v_mov_b32_e32 v28, s13
	ds_read_b128 v[202:205], v28 offset:1152
	ds_read_b128 v[206:209], v28 offset:1168
	ds_read_b128 v[210:213], v28 offset:1184
	ds_read_b128 v[214:217], v28 offset:1200
	scratch_load_dwordx4 v[218:221], off, s15
	s_add_i32 s15, s14, 0x90
	s_add_i32 s12, s12, 8
	s_addk_i32 s13, 0x80
	v_cmp_eq_u32_e32 vcc, s12, v6
	s_waitcnt vmcnt(0) lgkmcnt(3)
	v_mul_f64 v[10:11], v[204:205], v[220:221]
	v_mul_f64 v[24:25], v[202:203], v[220:221]
	v_fma_f64 v[10:11], v[202:203], v[218:219], -v[10:11]
	v_fmac_f64_e32 v[24:25], v[204:205], v[218:219]
	v_add_f64 v[10:11], v[2:3], v[10:11]
	v_add_f64 v[24:25], v[4:5], v[24:25]
	scratch_load_dwordx4 v[2:5], off, s15
	s_add_i32 s15, s14, 0xa0
	s_waitcnt vmcnt(0) lgkmcnt(2)
	v_mul_f64 v[26:27], v[208:209], v[4:5]
	v_mul_f64 v[4:5], v[206:207], v[4:5]
	v_fmac_f64_e32 v[4:5], v[208:209], v[2:3]
	v_fma_f64 v[26:27], v[206:207], v[2:3], -v[26:27]
	v_add_f64 v[24:25], v[24:25], v[4:5]
	scratch_load_dwordx4 v[2:5], off, s15
	v_add_f64 v[10:11], v[10:11], v[26:27]
	s_add_i32 s15, s14, 0xb0
	s_waitcnt vmcnt(0) lgkmcnt(1)
	v_mul_f64 v[26:27], v[212:213], v[4:5]
	v_mul_f64 v[4:5], v[210:211], v[4:5]
	v_fmac_f64_e32 v[4:5], v[212:213], v[2:3]
	v_fma_f64 v[26:27], v[210:211], v[2:3], -v[26:27]
	v_add_f64 v[24:25], v[24:25], v[4:5]
	scratch_load_dwordx4 v[2:5], off, s15
	s_add_i32 s15, s14, 0xc0
	scratch_load_dwordx4 v[202:205], off, s15
	v_add_f64 v[10:11], v[10:11], v[26:27]
	s_add_i32 s15, s14, 0xd0
	s_waitcnt vmcnt(1) lgkmcnt(0)
	v_mul_f64 v[26:27], v[216:217], v[4:5]
	v_mul_f64 v[4:5], v[214:215], v[4:5]
	v_fmac_f64_e32 v[4:5], v[216:217], v[2:3]
	v_fma_f64 v[26:27], v[214:215], v[2:3], -v[26:27]
	v_add_f64 v[24:25], v[24:25], v[4:5]
	ds_read_b128 v[2:5], v28 offset:1216
	v_add_f64 v[10:11], v[10:11], v[26:27]
	s_waitcnt vmcnt(0) lgkmcnt(0)
	v_mul_f64 v[26:27], v[4:5], v[204:205]
	v_fma_f64 v[26:27], v[2:3], v[202:203], -v[26:27]
	v_mul_f64 v[2:3], v[2:3], v[204:205]
	v_fmac_f64_e32 v[2:3], v[4:5], v[202:203]
	scratch_load_dwordx4 v[202:205], off, s15
	v_add_f64 v[24:25], v[24:25], v[2:3]
	ds_read_b128 v[2:5], v28 offset:1232
	v_add_f64 v[10:11], v[10:11], v[26:27]
	s_add_i32 s15, s14, 0xe0
	s_addk_i32 s14, 0xf0
	s_or_b64 s[10:11], vcc, s[10:11]
	s_waitcnt vmcnt(0) lgkmcnt(0)
	v_mul_f64 v[26:27], v[4:5], v[204:205]
	v_fma_f64 v[26:27], v[2:3], v[202:203], -v[26:27]
	v_mul_f64 v[2:3], v[2:3], v[204:205]
	v_fmac_f64_e32 v[2:3], v[4:5], v[202:203]
	scratch_load_dwordx4 v[202:205], off, s15
	v_add_f64 v[24:25], v[24:25], v[2:3]
	ds_read_b128 v[2:5], v28 offset:1248
	v_add_f64 v[10:11], v[10:11], v[26:27]
	s_waitcnt vmcnt(0) lgkmcnt(0)
	v_mul_f64 v[26:27], v[4:5], v[204:205]
	v_fma_f64 v[26:27], v[2:3], v[202:203], -v[26:27]
	v_mul_f64 v[2:3], v[2:3], v[204:205]
	v_fmac_f64_e32 v[2:3], v[4:5], v[202:203]
	scratch_load_dwordx4 v[202:205], off, s14
	v_add_f64 v[24:25], v[24:25], v[2:3]
	ds_read_b128 v[2:5], v28 offset:1264
	v_add_f64 v[10:11], v[10:11], v[26:27]
	s_waitcnt vmcnt(0) lgkmcnt(0)
	v_mul_f64 v[26:27], v[4:5], v[204:205]
	v_mul_f64 v[28:29], v[2:3], v[204:205]
	v_fma_f64 v[26:27], v[2:3], v[202:203], -v[26:27]
	v_fmac_f64_e32 v[28:29], v[4:5], v[202:203]
	v_add_f64 v[2:3], v[10:11], v[26:27]
	v_add_f64 v[4:5], v[24:25], v[28:29]
	s_andn2_b64 exec, exec, s[10:11]
	s_cbranch_execnz .LBB127_767
; %bb.768:
	s_or_b64 exec, exec, s[10:11]
.LBB127_769:
	s_or_b64 exec, exec, s[0:1]
	v_and_b32_e32 v7, 7, v0
	v_cmp_ne_u32_e32 vcc, 0, v7
	s_and_saveexec_b64 s[0:1], vcc
	s_cbranch_execz .LBB127_773
; %bb.770:
	v_lshlrev_b32_e32 v10, 4, v6
	v_or_b32_e32 v6, 0x400, v10
	v_add_u32_e32 v201, 0, v10
	s_mov_b64 s[10:11], 0
.LBB127_771:                            ; =>This Inner Loop Header: Depth=1
	scratch_load_dwordx4 v[202:205], v201, off
	ds_read_b128 v[206:209], v6
	v_add_u32_e32 v7, -1, v7
	v_cmp_eq_u32_e32 vcc, 0, v7
	v_add_u32_e32 v6, 16, v6
	v_add_u32_e32 v201, 16, v201
	s_or_b64 s[10:11], vcc, s[10:11]
	s_waitcnt vmcnt(0) lgkmcnt(0)
	v_mul_f64 v[10:11], v[208:209], v[204:205]
	v_mul_f64 v[24:25], v[206:207], v[204:205]
	v_fma_f64 v[10:11], v[206:207], v[202:203], -v[10:11]
	v_fmac_f64_e32 v[24:25], v[208:209], v[202:203]
	v_add_f64 v[2:3], v[2:3], v[10:11]
	v_add_f64 v[4:5], v[4:5], v[24:25]
	s_andn2_b64 exec, exec, s[10:11]
	s_cbranch_execnz .LBB127_771
; %bb.772:
	s_or_b64 exec, exec, s[10:11]
.LBB127_773:
	s_or_b64 exec, exec, s[0:1]
.LBB127_774:
	s_or_b64 exec, exec, s[8:9]
	v_mov_b32_e32 v6, 0
	ds_read_b128 v[202:205], v6 offset:112
	s_waitcnt lgkmcnt(0)
	v_mul_f64 v[6:7], v[4:5], v[204:205]
	v_mul_f64 v[206:207], v[2:3], v[204:205]
	v_fma_f64 v[204:205], v[2:3], v[202:203], -v[6:7]
	v_fmac_f64_e32 v[206:207], v[4:5], v[202:203]
	scratch_store_dwordx4 off, v[204:207], off offset:112
.LBB127_775:
	s_or_b64 exec, exec, s[4:5]
	scratch_load_dwordx4 v[2:5], v195, off
	v_cmp_lt_u32_e64 s[0:1], 6, v0
	s_waitcnt vmcnt(0)
	ds_write_b128 v9, v[2:5]
	s_waitcnt lgkmcnt(0)
	; wave barrier
	s_waitcnt lgkmcnt(0)
	s_and_saveexec_b64 s[4:5], s[0:1]
	s_cbranch_execz .LBB127_789
; %bb.776:
	ds_read_b128 v[2:5], v9
	s_andn2_b64 vcc, exec, s[6:7]
	s_cbranch_vccnz .LBB127_778
; %bb.777:
	scratch_load_dwordx4 v[202:205], v8, off
	s_waitcnt vmcnt(0) lgkmcnt(0)
	v_mul_f64 v[10:11], v[2:3], v[204:205]
	v_mul_f64 v[6:7], v[4:5], v[204:205]
	v_fmac_f64_e32 v[10:11], v[4:5], v[202:203]
	v_fma_f64 v[2:3], v[2:3], v[202:203], -v[6:7]
	v_mov_b64_e32 v[4:5], v[10:11]
.LBB127_778:
	s_and_saveexec_b64 s[8:9], s[2:3]
	s_cbranch_execz .LBB127_788
; %bb.779:
	v_add_u32_e32 v7, -8, v0
	v_add_u32_e32 v6, -7, v0
	v_cmp_lt_u32_e32 vcc, 6, v7
	v_mov_b32_e32 v202, 7
	s_and_saveexec_b64 s[2:3], vcc
	s_cbranch_execz .LBB127_783
; %bb.780:
	v_and_b32_e32 v7, -8, v6
	s_mov_b32 s12, 0
	s_mov_b64 s[10:11], 0
	v_mov_b32_e32 v201, 0
	s_mov_b32 s13, 0
.LBB127_781:                            ; =>This Inner Loop Header: Depth=1
	v_readfirstlane_b32 s14, v201
	s_add_i32 s14, s14, s12
	s_add_i32 s15, s14, 0x70
	v_mov_b32_e32 v28, s12
	ds_read_b128 v[202:205], v28 offset:1136
	ds_read_b128 v[206:209], v28 offset:1152
	;; [unrolled: 1-line block ×4, first 2 shown]
	scratch_load_dwordx4 v[218:221], off, s15
	s_add_i32 s15, s14, 0x80
	s_addk_i32 s12, 0x80
	s_waitcnt vmcnt(0) lgkmcnt(3)
	v_mul_f64 v[10:11], v[204:205], v[220:221]
	v_mul_f64 v[24:25], v[202:203], v[220:221]
	v_fma_f64 v[10:11], v[202:203], v[218:219], -v[10:11]
	v_fmac_f64_e32 v[24:25], v[204:205], v[218:219]
	v_add_f64 v[10:11], v[2:3], v[10:11]
	v_add_f64 v[24:25], v[4:5], v[24:25]
	scratch_load_dwordx4 v[2:5], off, s15
	s_add_i32 s15, s14, 0x90
	s_waitcnt vmcnt(0) lgkmcnt(2)
	v_mul_f64 v[26:27], v[208:209], v[4:5]
	v_mul_f64 v[4:5], v[206:207], v[4:5]
	v_fmac_f64_e32 v[4:5], v[208:209], v[2:3]
	v_fma_f64 v[26:27], v[206:207], v[2:3], -v[26:27]
	v_add_f64 v[24:25], v[24:25], v[4:5]
	scratch_load_dwordx4 v[2:5], off, s15
	v_add_f64 v[10:11], v[10:11], v[26:27]
	s_add_i32 s15, s14, 0xa0
	s_waitcnt vmcnt(0) lgkmcnt(1)
	v_mul_f64 v[26:27], v[212:213], v[4:5]
	v_mul_f64 v[4:5], v[210:211], v[4:5]
	v_fmac_f64_e32 v[4:5], v[212:213], v[2:3]
	v_fma_f64 v[26:27], v[210:211], v[2:3], -v[26:27]
	v_add_f64 v[24:25], v[24:25], v[4:5]
	scratch_load_dwordx4 v[2:5], off, s15
	s_add_i32 s15, s14, 0xb0
	scratch_load_dwordx4 v[202:205], off, s15
	v_add_f64 v[10:11], v[10:11], v[26:27]
	s_add_i32 s15, s14, 0xc0
	s_waitcnt vmcnt(1) lgkmcnt(0)
	v_mul_f64 v[26:27], v[216:217], v[4:5]
	v_mul_f64 v[4:5], v[214:215], v[4:5]
	v_fmac_f64_e32 v[4:5], v[216:217], v[2:3]
	v_fma_f64 v[26:27], v[214:215], v[2:3], -v[26:27]
	v_add_f64 v[24:25], v[24:25], v[4:5]
	ds_read_b128 v[2:5], v28 offset:1200
	v_add_f64 v[10:11], v[10:11], v[26:27]
	s_waitcnt vmcnt(0) lgkmcnt(0)
	v_mul_f64 v[26:27], v[4:5], v[204:205]
	v_fma_f64 v[26:27], v[2:3], v[202:203], -v[26:27]
	v_mul_f64 v[2:3], v[2:3], v[204:205]
	v_fmac_f64_e32 v[2:3], v[4:5], v[202:203]
	scratch_load_dwordx4 v[202:205], off, s15
	v_add_f64 v[24:25], v[24:25], v[2:3]
	ds_read_b128 v[2:5], v28 offset:1216
	v_add_f64 v[10:11], v[10:11], v[26:27]
	s_add_i32 s15, s14, 0xd0
	s_addk_i32 s14, 0xe0
	s_waitcnt vmcnt(0) lgkmcnt(0)
	v_mul_f64 v[26:27], v[4:5], v[204:205]
	v_fma_f64 v[26:27], v[2:3], v[202:203], -v[26:27]
	v_mul_f64 v[2:3], v[2:3], v[204:205]
	v_fmac_f64_e32 v[2:3], v[4:5], v[202:203]
	scratch_load_dwordx4 v[202:205], off, s15
	v_add_f64 v[24:25], v[24:25], v[2:3]
	ds_read_b128 v[2:5], v28 offset:1232
	v_add_f64 v[10:11], v[10:11], v[26:27]
	s_waitcnt vmcnt(0) lgkmcnt(0)
	v_mul_f64 v[26:27], v[4:5], v[204:205]
	v_fma_f64 v[26:27], v[2:3], v[202:203], -v[26:27]
	v_mul_f64 v[2:3], v[2:3], v[204:205]
	v_fmac_f64_e32 v[2:3], v[4:5], v[202:203]
	scratch_load_dwordx4 v[202:205], off, s14
	v_add_f64 v[24:25], v[24:25], v[2:3]
	ds_read_b128 v[2:5], v28 offset:1248
	v_add_f64 v[10:11], v[10:11], v[26:27]
	s_add_i32 s14, s13, 8
	v_cmp_eq_u32_e32 vcc, s14, v7
	s_add_i32 s13, s13, 15
	s_or_b64 s[10:11], vcc, s[10:11]
	s_waitcnt vmcnt(0) lgkmcnt(0)
	v_mul_f64 v[26:27], v[4:5], v[204:205]
	v_mul_f64 v[28:29], v[2:3], v[204:205]
	v_fma_f64 v[26:27], v[2:3], v[202:203], -v[26:27]
	v_fmac_f64_e32 v[28:29], v[4:5], v[202:203]
	v_add_f64 v[2:3], v[10:11], v[26:27]
	v_add_f64 v[4:5], v[24:25], v[28:29]
	v_mov_b32_e32 v202, s13
	s_mov_b32 s13, s14
	s_andn2_b64 exec, exec, s[10:11]
	s_cbranch_execnz .LBB127_781
; %bb.782:
	s_or_b64 exec, exec, s[10:11]
.LBB127_783:
	s_or_b64 exec, exec, s[2:3]
	v_and_b32_e32 v6, 7, v6
	v_cmp_ne_u32_e32 vcc, 0, v6
	s_and_saveexec_b64 s[2:3], vcc
	s_cbranch_execz .LBB127_787
; %bb.784:
	v_lshlrev_b32_e32 v10, 4, v202
	v_add_u32_e32 v7, 0x400, v10
	v_add_u32_e32 v201, 0, v10
	s_mov_b64 s[10:11], 0
.LBB127_785:                            ; =>This Inner Loop Header: Depth=1
	scratch_load_dwordx4 v[202:205], v201, off
	ds_read_b128 v[206:209], v7
	v_add_u32_e32 v6, -1, v6
	v_cmp_eq_u32_e32 vcc, 0, v6
	v_add_u32_e32 v7, 16, v7
	v_add_u32_e32 v201, 16, v201
	s_or_b64 s[10:11], vcc, s[10:11]
	s_waitcnt vmcnt(0) lgkmcnt(0)
	v_mul_f64 v[10:11], v[208:209], v[204:205]
	v_mul_f64 v[24:25], v[206:207], v[204:205]
	v_fma_f64 v[10:11], v[206:207], v[202:203], -v[10:11]
	v_fmac_f64_e32 v[24:25], v[208:209], v[202:203]
	v_add_f64 v[2:3], v[2:3], v[10:11]
	v_add_f64 v[4:5], v[4:5], v[24:25]
	s_andn2_b64 exec, exec, s[10:11]
	s_cbranch_execnz .LBB127_785
; %bb.786:
	s_or_b64 exec, exec, s[10:11]
.LBB127_787:
	s_or_b64 exec, exec, s[2:3]
.LBB127_788:
	s_or_b64 exec, exec, s[8:9]
	v_mov_b32_e32 v6, 0
	ds_read_b128 v[202:205], v6 offset:96
	s_waitcnt lgkmcnt(0)
	v_mul_f64 v[6:7], v[4:5], v[204:205]
	v_mul_f64 v[206:207], v[2:3], v[204:205]
	v_fma_f64 v[204:205], v[2:3], v[202:203], -v[6:7]
	v_fmac_f64_e32 v[206:207], v[4:5], v[202:203]
	scratch_store_dwordx4 off, v[204:207], off offset:96
.LBB127_789:
	s_or_b64 exec, exec, s[4:5]
	scratch_load_dwordx4 v[2:5], v196, off
	v_cmp_lt_u32_e64 s[2:3], 5, v0
	s_waitcnt vmcnt(0)
	ds_write_b128 v9, v[2:5]
	s_waitcnt lgkmcnt(0)
	; wave barrier
	s_waitcnt lgkmcnt(0)
	s_and_saveexec_b64 s[4:5], s[2:3]
	s_cbranch_execz .LBB127_803
; %bb.790:
	ds_read_b128 v[2:5], v9
	s_andn2_b64 vcc, exec, s[6:7]
	s_cbranch_vccnz .LBB127_792
; %bb.791:
	scratch_load_dwordx4 v[202:205], v8, off
	s_waitcnt vmcnt(0) lgkmcnt(0)
	v_mul_f64 v[10:11], v[2:3], v[204:205]
	v_mul_f64 v[6:7], v[4:5], v[204:205]
	v_fmac_f64_e32 v[10:11], v[4:5], v[202:203]
	v_fma_f64 v[2:3], v[2:3], v[202:203], -v[6:7]
	v_mov_b64_e32 v[4:5], v[10:11]
.LBB127_792:
	s_and_saveexec_b64 s[8:9], s[0:1]
	s_cbranch_execz .LBB127_802
; %bb.793:
	v_add_u32_e32 v7, -7, v0
	v_add_u32_e32 v6, -6, v0
	v_cmp_lt_u32_e32 vcc, 6, v7
	v_mov_b32_e32 v202, 6
	s_and_saveexec_b64 s[0:1], vcc
	s_cbranch_execz .LBB127_797
; %bb.794:
	v_and_b32_e32 v7, -8, v6
	s_mov_b32 s12, 0
	s_mov_b64 s[10:11], 0
	v_mov_b32_e32 v201, 0
	s_mov_b32 s13, 0
.LBB127_795:                            ; =>This Inner Loop Header: Depth=1
	v_readfirstlane_b32 s14, v201
	s_add_i32 s14, s14, s12
	s_add_i32 s15, s14, 0x60
	v_mov_b32_e32 v28, s12
	ds_read_b128 v[202:205], v28 offset:1120
	ds_read_b128 v[206:209], v28 offset:1136
	;; [unrolled: 1-line block ×4, first 2 shown]
	scratch_load_dwordx4 v[218:221], off, s15
	s_add_i32 s15, s14, 0x70
	s_addk_i32 s12, 0x80
	s_waitcnt vmcnt(0) lgkmcnt(3)
	v_mul_f64 v[10:11], v[204:205], v[220:221]
	v_mul_f64 v[24:25], v[202:203], v[220:221]
	v_fma_f64 v[10:11], v[202:203], v[218:219], -v[10:11]
	v_fmac_f64_e32 v[24:25], v[204:205], v[218:219]
	v_add_f64 v[10:11], v[2:3], v[10:11]
	v_add_f64 v[24:25], v[4:5], v[24:25]
	scratch_load_dwordx4 v[2:5], off, s15
	s_add_i32 s15, s14, 0x80
	s_waitcnt vmcnt(0) lgkmcnt(2)
	v_mul_f64 v[26:27], v[208:209], v[4:5]
	v_mul_f64 v[4:5], v[206:207], v[4:5]
	v_fmac_f64_e32 v[4:5], v[208:209], v[2:3]
	v_fma_f64 v[26:27], v[206:207], v[2:3], -v[26:27]
	v_add_f64 v[24:25], v[24:25], v[4:5]
	scratch_load_dwordx4 v[2:5], off, s15
	v_add_f64 v[10:11], v[10:11], v[26:27]
	s_add_i32 s15, s14, 0x90
	s_waitcnt vmcnt(0) lgkmcnt(1)
	v_mul_f64 v[26:27], v[212:213], v[4:5]
	v_mul_f64 v[4:5], v[210:211], v[4:5]
	v_fmac_f64_e32 v[4:5], v[212:213], v[2:3]
	v_fma_f64 v[26:27], v[210:211], v[2:3], -v[26:27]
	v_add_f64 v[24:25], v[24:25], v[4:5]
	scratch_load_dwordx4 v[2:5], off, s15
	s_add_i32 s15, s14, 0xa0
	scratch_load_dwordx4 v[202:205], off, s15
	v_add_f64 v[10:11], v[10:11], v[26:27]
	s_add_i32 s15, s14, 0xb0
	s_waitcnt vmcnt(1) lgkmcnt(0)
	v_mul_f64 v[26:27], v[216:217], v[4:5]
	v_mul_f64 v[4:5], v[214:215], v[4:5]
	v_fmac_f64_e32 v[4:5], v[216:217], v[2:3]
	v_fma_f64 v[26:27], v[214:215], v[2:3], -v[26:27]
	v_add_f64 v[24:25], v[24:25], v[4:5]
	ds_read_b128 v[2:5], v28 offset:1184
	v_add_f64 v[10:11], v[10:11], v[26:27]
	s_waitcnt vmcnt(0) lgkmcnt(0)
	v_mul_f64 v[26:27], v[4:5], v[204:205]
	v_fma_f64 v[26:27], v[2:3], v[202:203], -v[26:27]
	v_mul_f64 v[2:3], v[2:3], v[204:205]
	v_fmac_f64_e32 v[2:3], v[4:5], v[202:203]
	scratch_load_dwordx4 v[202:205], off, s15
	v_add_f64 v[24:25], v[24:25], v[2:3]
	ds_read_b128 v[2:5], v28 offset:1200
	v_add_f64 v[10:11], v[10:11], v[26:27]
	s_add_i32 s15, s14, 0xc0
	s_addk_i32 s14, 0xd0
	s_waitcnt vmcnt(0) lgkmcnt(0)
	v_mul_f64 v[26:27], v[4:5], v[204:205]
	v_fma_f64 v[26:27], v[2:3], v[202:203], -v[26:27]
	v_mul_f64 v[2:3], v[2:3], v[204:205]
	v_fmac_f64_e32 v[2:3], v[4:5], v[202:203]
	scratch_load_dwordx4 v[202:205], off, s15
	v_add_f64 v[24:25], v[24:25], v[2:3]
	ds_read_b128 v[2:5], v28 offset:1216
	v_add_f64 v[10:11], v[10:11], v[26:27]
	s_waitcnt vmcnt(0) lgkmcnt(0)
	v_mul_f64 v[26:27], v[4:5], v[204:205]
	v_fma_f64 v[26:27], v[2:3], v[202:203], -v[26:27]
	v_mul_f64 v[2:3], v[2:3], v[204:205]
	v_fmac_f64_e32 v[2:3], v[4:5], v[202:203]
	scratch_load_dwordx4 v[202:205], off, s14
	v_add_f64 v[24:25], v[24:25], v[2:3]
	ds_read_b128 v[2:5], v28 offset:1232
	v_add_f64 v[10:11], v[10:11], v[26:27]
	s_add_i32 s14, s13, 8
	v_cmp_eq_u32_e32 vcc, s14, v7
	s_add_i32 s13, s13, 14
	s_or_b64 s[10:11], vcc, s[10:11]
	s_waitcnt vmcnt(0) lgkmcnt(0)
	v_mul_f64 v[26:27], v[4:5], v[204:205]
	v_mul_f64 v[28:29], v[2:3], v[204:205]
	v_fma_f64 v[26:27], v[2:3], v[202:203], -v[26:27]
	v_fmac_f64_e32 v[28:29], v[4:5], v[202:203]
	v_add_f64 v[2:3], v[10:11], v[26:27]
	v_add_f64 v[4:5], v[24:25], v[28:29]
	v_mov_b32_e32 v202, s13
	s_mov_b32 s13, s14
	s_andn2_b64 exec, exec, s[10:11]
	s_cbranch_execnz .LBB127_795
; %bb.796:
	s_or_b64 exec, exec, s[10:11]
.LBB127_797:
	s_or_b64 exec, exec, s[0:1]
	v_and_b32_e32 v6, 7, v6
	v_cmp_ne_u32_e32 vcc, 0, v6
	s_and_saveexec_b64 s[0:1], vcc
	s_cbranch_execz .LBB127_801
; %bb.798:
	v_lshlrev_b32_e32 v10, 4, v202
	v_add_u32_e32 v7, 0x400, v10
	v_add_u32_e32 v201, 0, v10
	s_mov_b64 s[10:11], 0
.LBB127_799:                            ; =>This Inner Loop Header: Depth=1
	scratch_load_dwordx4 v[202:205], v201, off
	ds_read_b128 v[206:209], v7
	v_add_u32_e32 v6, -1, v6
	v_cmp_eq_u32_e32 vcc, 0, v6
	v_add_u32_e32 v7, 16, v7
	v_add_u32_e32 v201, 16, v201
	s_or_b64 s[10:11], vcc, s[10:11]
	s_waitcnt vmcnt(0) lgkmcnt(0)
	v_mul_f64 v[10:11], v[208:209], v[204:205]
	v_mul_f64 v[24:25], v[206:207], v[204:205]
	v_fma_f64 v[10:11], v[206:207], v[202:203], -v[10:11]
	v_fmac_f64_e32 v[24:25], v[208:209], v[202:203]
	v_add_f64 v[2:3], v[2:3], v[10:11]
	v_add_f64 v[4:5], v[4:5], v[24:25]
	s_andn2_b64 exec, exec, s[10:11]
	s_cbranch_execnz .LBB127_799
; %bb.800:
	s_or_b64 exec, exec, s[10:11]
.LBB127_801:
	s_or_b64 exec, exec, s[0:1]
.LBB127_802:
	s_or_b64 exec, exec, s[8:9]
	v_mov_b32_e32 v6, 0
	ds_read_b128 v[202:205], v6 offset:80
	s_waitcnt lgkmcnt(0)
	v_mul_f64 v[6:7], v[4:5], v[204:205]
	v_mul_f64 v[206:207], v[2:3], v[204:205]
	v_fma_f64 v[204:205], v[2:3], v[202:203], -v[6:7]
	v_fmac_f64_e32 v[206:207], v[4:5], v[202:203]
	scratch_store_dwordx4 off, v[204:207], off offset:80
.LBB127_803:
	s_or_b64 exec, exec, s[4:5]
	scratch_load_dwordx4 v[2:5], v197, off
	v_cmp_lt_u32_e64 s[0:1], 4, v0
	s_waitcnt vmcnt(0)
	ds_write_b128 v9, v[2:5]
	s_waitcnt lgkmcnt(0)
	; wave barrier
	s_waitcnt lgkmcnt(0)
	s_and_saveexec_b64 s[4:5], s[0:1]
	s_cbranch_execz .LBB127_817
; %bb.804:
	ds_read_b128 v[2:5], v9
	s_andn2_b64 vcc, exec, s[6:7]
	s_cbranch_vccnz .LBB127_806
; %bb.805:
	scratch_load_dwordx4 v[202:205], v8, off
	s_waitcnt vmcnt(0) lgkmcnt(0)
	v_mul_f64 v[10:11], v[2:3], v[204:205]
	v_mul_f64 v[6:7], v[4:5], v[204:205]
	v_fmac_f64_e32 v[10:11], v[4:5], v[202:203]
	v_fma_f64 v[2:3], v[2:3], v[202:203], -v[6:7]
	v_mov_b64_e32 v[4:5], v[10:11]
.LBB127_806:
	s_and_saveexec_b64 s[8:9], s[2:3]
	s_cbranch_execz .LBB127_816
; %bb.807:
	v_add_u32_e32 v7, -6, v0
	v_add_u32_e32 v6, -5, v0
	v_cmp_lt_u32_e32 vcc, 6, v7
	v_mov_b32_e32 v202, 5
	s_and_saveexec_b64 s[2:3], vcc
	s_cbranch_execz .LBB127_811
; %bb.808:
	v_and_b32_e32 v7, -8, v6
	s_mov_b32 s12, 0
	s_mov_b64 s[10:11], 0
	v_mov_b32_e32 v201, 0
	s_mov_b32 s13, 0
.LBB127_809:                            ; =>This Inner Loop Header: Depth=1
	v_readfirstlane_b32 s14, v201
	s_add_i32 s14, s14, s12
	s_add_i32 s15, s14, 0x50
	v_mov_b32_e32 v28, s12
	ds_read_b128 v[202:205], v28 offset:1104
	ds_read_b128 v[206:209], v28 offset:1120
	ds_read_b128 v[210:213], v28 offset:1136
	ds_read_b128 v[214:217], v28 offset:1152
	scratch_load_dwordx4 v[218:221], off, s15
	s_add_i32 s15, s14, 0x60
	s_addk_i32 s12, 0x80
	s_waitcnt vmcnt(0) lgkmcnt(3)
	v_mul_f64 v[10:11], v[204:205], v[220:221]
	v_mul_f64 v[24:25], v[202:203], v[220:221]
	v_fma_f64 v[10:11], v[202:203], v[218:219], -v[10:11]
	v_fmac_f64_e32 v[24:25], v[204:205], v[218:219]
	v_add_f64 v[10:11], v[2:3], v[10:11]
	v_add_f64 v[24:25], v[4:5], v[24:25]
	scratch_load_dwordx4 v[2:5], off, s15
	s_add_i32 s15, s14, 0x70
	s_waitcnt vmcnt(0) lgkmcnt(2)
	v_mul_f64 v[26:27], v[208:209], v[4:5]
	v_mul_f64 v[4:5], v[206:207], v[4:5]
	v_fmac_f64_e32 v[4:5], v[208:209], v[2:3]
	v_fma_f64 v[26:27], v[206:207], v[2:3], -v[26:27]
	v_add_f64 v[24:25], v[24:25], v[4:5]
	scratch_load_dwordx4 v[2:5], off, s15
	v_add_f64 v[10:11], v[10:11], v[26:27]
	s_add_i32 s15, s14, 0x80
	s_waitcnt vmcnt(0) lgkmcnt(1)
	v_mul_f64 v[26:27], v[212:213], v[4:5]
	v_mul_f64 v[4:5], v[210:211], v[4:5]
	v_fmac_f64_e32 v[4:5], v[212:213], v[2:3]
	v_fma_f64 v[26:27], v[210:211], v[2:3], -v[26:27]
	v_add_f64 v[24:25], v[24:25], v[4:5]
	scratch_load_dwordx4 v[2:5], off, s15
	s_add_i32 s15, s14, 0x90
	scratch_load_dwordx4 v[202:205], off, s15
	v_add_f64 v[10:11], v[10:11], v[26:27]
	s_add_i32 s15, s14, 0xa0
	s_waitcnt vmcnt(1) lgkmcnt(0)
	v_mul_f64 v[26:27], v[216:217], v[4:5]
	v_mul_f64 v[4:5], v[214:215], v[4:5]
	v_fmac_f64_e32 v[4:5], v[216:217], v[2:3]
	v_fma_f64 v[26:27], v[214:215], v[2:3], -v[26:27]
	v_add_f64 v[24:25], v[24:25], v[4:5]
	ds_read_b128 v[2:5], v28 offset:1168
	v_add_f64 v[10:11], v[10:11], v[26:27]
	s_waitcnt vmcnt(0) lgkmcnt(0)
	v_mul_f64 v[26:27], v[4:5], v[204:205]
	v_fma_f64 v[26:27], v[2:3], v[202:203], -v[26:27]
	v_mul_f64 v[2:3], v[2:3], v[204:205]
	v_fmac_f64_e32 v[2:3], v[4:5], v[202:203]
	scratch_load_dwordx4 v[202:205], off, s15
	v_add_f64 v[24:25], v[24:25], v[2:3]
	ds_read_b128 v[2:5], v28 offset:1184
	v_add_f64 v[10:11], v[10:11], v[26:27]
	s_add_i32 s15, s14, 0xb0
	s_addk_i32 s14, 0xc0
	s_waitcnt vmcnt(0) lgkmcnt(0)
	v_mul_f64 v[26:27], v[4:5], v[204:205]
	v_fma_f64 v[26:27], v[2:3], v[202:203], -v[26:27]
	v_mul_f64 v[2:3], v[2:3], v[204:205]
	v_fmac_f64_e32 v[2:3], v[4:5], v[202:203]
	scratch_load_dwordx4 v[202:205], off, s15
	v_add_f64 v[24:25], v[24:25], v[2:3]
	ds_read_b128 v[2:5], v28 offset:1200
	v_add_f64 v[10:11], v[10:11], v[26:27]
	s_waitcnt vmcnt(0) lgkmcnt(0)
	v_mul_f64 v[26:27], v[4:5], v[204:205]
	v_fma_f64 v[26:27], v[2:3], v[202:203], -v[26:27]
	v_mul_f64 v[2:3], v[2:3], v[204:205]
	v_fmac_f64_e32 v[2:3], v[4:5], v[202:203]
	scratch_load_dwordx4 v[202:205], off, s14
	v_add_f64 v[24:25], v[24:25], v[2:3]
	ds_read_b128 v[2:5], v28 offset:1216
	v_add_f64 v[10:11], v[10:11], v[26:27]
	s_add_i32 s14, s13, 8
	v_cmp_eq_u32_e32 vcc, s14, v7
	s_add_i32 s13, s13, 13
	s_or_b64 s[10:11], vcc, s[10:11]
	s_waitcnt vmcnt(0) lgkmcnt(0)
	v_mul_f64 v[26:27], v[4:5], v[204:205]
	v_mul_f64 v[28:29], v[2:3], v[204:205]
	v_fma_f64 v[26:27], v[2:3], v[202:203], -v[26:27]
	v_fmac_f64_e32 v[28:29], v[4:5], v[202:203]
	v_add_f64 v[2:3], v[10:11], v[26:27]
	v_add_f64 v[4:5], v[24:25], v[28:29]
	v_mov_b32_e32 v202, s13
	s_mov_b32 s13, s14
	s_andn2_b64 exec, exec, s[10:11]
	s_cbranch_execnz .LBB127_809
; %bb.810:
	s_or_b64 exec, exec, s[10:11]
.LBB127_811:
	s_or_b64 exec, exec, s[2:3]
	v_and_b32_e32 v6, 7, v6
	v_cmp_ne_u32_e32 vcc, 0, v6
	s_and_saveexec_b64 s[2:3], vcc
	s_cbranch_execz .LBB127_815
; %bb.812:
	v_lshlrev_b32_e32 v10, 4, v202
	v_add_u32_e32 v7, 0x400, v10
	v_add_u32_e32 v201, 0, v10
	s_mov_b64 s[10:11], 0
.LBB127_813:                            ; =>This Inner Loop Header: Depth=1
	scratch_load_dwordx4 v[202:205], v201, off
	ds_read_b128 v[206:209], v7
	v_add_u32_e32 v6, -1, v6
	v_cmp_eq_u32_e32 vcc, 0, v6
	v_add_u32_e32 v7, 16, v7
	v_add_u32_e32 v201, 16, v201
	s_or_b64 s[10:11], vcc, s[10:11]
	s_waitcnt vmcnt(0) lgkmcnt(0)
	v_mul_f64 v[10:11], v[208:209], v[204:205]
	v_mul_f64 v[24:25], v[206:207], v[204:205]
	v_fma_f64 v[10:11], v[206:207], v[202:203], -v[10:11]
	v_fmac_f64_e32 v[24:25], v[208:209], v[202:203]
	v_add_f64 v[2:3], v[2:3], v[10:11]
	v_add_f64 v[4:5], v[4:5], v[24:25]
	s_andn2_b64 exec, exec, s[10:11]
	s_cbranch_execnz .LBB127_813
; %bb.814:
	s_or_b64 exec, exec, s[10:11]
.LBB127_815:
	s_or_b64 exec, exec, s[2:3]
.LBB127_816:
	s_or_b64 exec, exec, s[8:9]
	v_mov_b32_e32 v6, 0
	ds_read_b128 v[202:205], v6 offset:64
	s_waitcnt lgkmcnt(0)
	v_mul_f64 v[6:7], v[4:5], v[204:205]
	v_mul_f64 v[206:207], v[2:3], v[204:205]
	v_fma_f64 v[204:205], v[2:3], v[202:203], -v[6:7]
	v_fmac_f64_e32 v[206:207], v[4:5], v[202:203]
	scratch_store_dwordx4 off, v[204:207], off offset:64
.LBB127_817:
	s_or_b64 exec, exec, s[4:5]
	scratch_load_dwordx4 v[2:5], v198, off
	v_cmp_lt_u32_e64 s[2:3], 3, v0
	s_waitcnt vmcnt(0)
	ds_write_b128 v9, v[2:5]
	s_waitcnt lgkmcnt(0)
	; wave barrier
	s_waitcnt lgkmcnt(0)
	s_and_saveexec_b64 s[4:5], s[2:3]
	s_cbranch_execz .LBB127_831
; %bb.818:
	ds_read_b128 v[2:5], v9
	s_andn2_b64 vcc, exec, s[6:7]
	s_cbranch_vccnz .LBB127_820
; %bb.819:
	scratch_load_dwordx4 v[202:205], v8, off
	s_waitcnt vmcnt(0) lgkmcnt(0)
	v_mul_f64 v[10:11], v[2:3], v[204:205]
	v_mul_f64 v[6:7], v[4:5], v[204:205]
	v_fmac_f64_e32 v[10:11], v[4:5], v[202:203]
	v_fma_f64 v[2:3], v[2:3], v[202:203], -v[6:7]
	v_mov_b64_e32 v[4:5], v[10:11]
.LBB127_820:
	s_and_saveexec_b64 s[8:9], s[0:1]
	s_cbranch_execz .LBB127_830
; %bb.821:
	v_add_u32_e32 v7, -5, v0
	v_add_u32_e32 v6, -4, v0
	v_cmp_lt_u32_e32 vcc, 6, v7
	v_mov_b32_e32 v202, 4
	s_and_saveexec_b64 s[0:1], vcc
	s_cbranch_execz .LBB127_825
; %bb.822:
	v_and_b32_e32 v7, -8, v6
	s_mov_b32 s12, 0
	s_mov_b64 s[10:11], 0
	v_mov_b32_e32 v201, 0
	s_mov_b32 s13, 0
.LBB127_823:                            ; =>This Inner Loop Header: Depth=1
	v_readfirstlane_b32 s14, v201
	s_add_i32 s14, s14, s12
	s_add_i32 s15, s14, 64
	v_mov_b32_e32 v28, s12
	ds_read_b128 v[202:205], v28 offset:1088
	ds_read_b128 v[206:209], v28 offset:1104
	;; [unrolled: 1-line block ×4, first 2 shown]
	scratch_load_dwordx4 v[218:221], off, s15
	s_add_i32 s15, s14, 0x50
	s_addk_i32 s12, 0x80
	s_waitcnt vmcnt(0) lgkmcnt(3)
	v_mul_f64 v[10:11], v[204:205], v[220:221]
	v_mul_f64 v[24:25], v[202:203], v[220:221]
	v_fma_f64 v[10:11], v[202:203], v[218:219], -v[10:11]
	v_fmac_f64_e32 v[24:25], v[204:205], v[218:219]
	v_add_f64 v[10:11], v[2:3], v[10:11]
	v_add_f64 v[24:25], v[4:5], v[24:25]
	scratch_load_dwordx4 v[2:5], off, s15
	s_add_i32 s15, s14, 0x60
	s_waitcnt vmcnt(0) lgkmcnt(2)
	v_mul_f64 v[26:27], v[208:209], v[4:5]
	v_mul_f64 v[4:5], v[206:207], v[4:5]
	v_fmac_f64_e32 v[4:5], v[208:209], v[2:3]
	v_fma_f64 v[26:27], v[206:207], v[2:3], -v[26:27]
	v_add_f64 v[24:25], v[24:25], v[4:5]
	scratch_load_dwordx4 v[2:5], off, s15
	v_add_f64 v[10:11], v[10:11], v[26:27]
	s_add_i32 s15, s14, 0x70
	s_waitcnt vmcnt(0) lgkmcnt(1)
	v_mul_f64 v[26:27], v[212:213], v[4:5]
	v_mul_f64 v[4:5], v[210:211], v[4:5]
	v_fmac_f64_e32 v[4:5], v[212:213], v[2:3]
	v_fma_f64 v[26:27], v[210:211], v[2:3], -v[26:27]
	v_add_f64 v[24:25], v[24:25], v[4:5]
	scratch_load_dwordx4 v[2:5], off, s15
	s_add_i32 s15, s14, 0x80
	scratch_load_dwordx4 v[202:205], off, s15
	v_add_f64 v[10:11], v[10:11], v[26:27]
	s_add_i32 s15, s14, 0x90
	s_waitcnt vmcnt(1) lgkmcnt(0)
	v_mul_f64 v[26:27], v[216:217], v[4:5]
	v_mul_f64 v[4:5], v[214:215], v[4:5]
	v_fmac_f64_e32 v[4:5], v[216:217], v[2:3]
	v_fma_f64 v[26:27], v[214:215], v[2:3], -v[26:27]
	v_add_f64 v[24:25], v[24:25], v[4:5]
	ds_read_b128 v[2:5], v28 offset:1152
	v_add_f64 v[10:11], v[10:11], v[26:27]
	s_waitcnt vmcnt(0) lgkmcnt(0)
	v_mul_f64 v[26:27], v[4:5], v[204:205]
	v_fma_f64 v[26:27], v[2:3], v[202:203], -v[26:27]
	v_mul_f64 v[2:3], v[2:3], v[204:205]
	v_fmac_f64_e32 v[2:3], v[4:5], v[202:203]
	scratch_load_dwordx4 v[202:205], off, s15
	v_add_f64 v[24:25], v[24:25], v[2:3]
	ds_read_b128 v[2:5], v28 offset:1168
	v_add_f64 v[10:11], v[10:11], v[26:27]
	s_add_i32 s15, s14, 0xa0
	s_addk_i32 s14, 0xb0
	s_waitcnt vmcnt(0) lgkmcnt(0)
	v_mul_f64 v[26:27], v[4:5], v[204:205]
	v_fma_f64 v[26:27], v[2:3], v[202:203], -v[26:27]
	v_mul_f64 v[2:3], v[2:3], v[204:205]
	v_fmac_f64_e32 v[2:3], v[4:5], v[202:203]
	scratch_load_dwordx4 v[202:205], off, s15
	v_add_f64 v[24:25], v[24:25], v[2:3]
	ds_read_b128 v[2:5], v28 offset:1184
	v_add_f64 v[10:11], v[10:11], v[26:27]
	s_waitcnt vmcnt(0) lgkmcnt(0)
	v_mul_f64 v[26:27], v[4:5], v[204:205]
	v_fma_f64 v[26:27], v[2:3], v[202:203], -v[26:27]
	v_mul_f64 v[2:3], v[2:3], v[204:205]
	v_fmac_f64_e32 v[2:3], v[4:5], v[202:203]
	scratch_load_dwordx4 v[202:205], off, s14
	v_add_f64 v[24:25], v[24:25], v[2:3]
	ds_read_b128 v[2:5], v28 offset:1200
	v_add_f64 v[10:11], v[10:11], v[26:27]
	s_add_i32 s14, s13, 8
	v_cmp_eq_u32_e32 vcc, s14, v7
	s_add_i32 s13, s13, 12
	s_or_b64 s[10:11], vcc, s[10:11]
	s_waitcnt vmcnt(0) lgkmcnt(0)
	v_mul_f64 v[26:27], v[4:5], v[204:205]
	v_mul_f64 v[28:29], v[2:3], v[204:205]
	v_fma_f64 v[26:27], v[2:3], v[202:203], -v[26:27]
	v_fmac_f64_e32 v[28:29], v[4:5], v[202:203]
	v_add_f64 v[2:3], v[10:11], v[26:27]
	v_add_f64 v[4:5], v[24:25], v[28:29]
	v_mov_b32_e32 v202, s13
	s_mov_b32 s13, s14
	s_andn2_b64 exec, exec, s[10:11]
	s_cbranch_execnz .LBB127_823
; %bb.824:
	s_or_b64 exec, exec, s[10:11]
.LBB127_825:
	s_or_b64 exec, exec, s[0:1]
	v_and_b32_e32 v6, 7, v6
	v_cmp_ne_u32_e32 vcc, 0, v6
	s_and_saveexec_b64 s[0:1], vcc
	s_cbranch_execz .LBB127_829
; %bb.826:
	v_lshlrev_b32_e32 v10, 4, v202
	v_add_u32_e32 v7, 0x400, v10
	v_add_u32_e32 v201, 0, v10
	s_mov_b64 s[10:11], 0
.LBB127_827:                            ; =>This Inner Loop Header: Depth=1
	scratch_load_dwordx4 v[202:205], v201, off
	ds_read_b128 v[206:209], v7
	v_add_u32_e32 v6, -1, v6
	v_cmp_eq_u32_e32 vcc, 0, v6
	v_add_u32_e32 v7, 16, v7
	v_add_u32_e32 v201, 16, v201
	s_or_b64 s[10:11], vcc, s[10:11]
	s_waitcnt vmcnt(0) lgkmcnt(0)
	v_mul_f64 v[10:11], v[208:209], v[204:205]
	v_mul_f64 v[24:25], v[206:207], v[204:205]
	v_fma_f64 v[10:11], v[206:207], v[202:203], -v[10:11]
	v_fmac_f64_e32 v[24:25], v[208:209], v[202:203]
	v_add_f64 v[2:3], v[2:3], v[10:11]
	v_add_f64 v[4:5], v[4:5], v[24:25]
	s_andn2_b64 exec, exec, s[10:11]
	s_cbranch_execnz .LBB127_827
; %bb.828:
	s_or_b64 exec, exec, s[10:11]
.LBB127_829:
	s_or_b64 exec, exec, s[0:1]
.LBB127_830:
	s_or_b64 exec, exec, s[8:9]
	v_mov_b32_e32 v6, 0
	ds_read_b128 v[202:205], v6 offset:48
	s_waitcnt lgkmcnt(0)
	v_mul_f64 v[6:7], v[4:5], v[204:205]
	v_mul_f64 v[206:207], v[2:3], v[204:205]
	v_fma_f64 v[204:205], v[2:3], v[202:203], -v[6:7]
	v_fmac_f64_e32 v[206:207], v[4:5], v[202:203]
	scratch_store_dwordx4 off, v[204:207], off offset:48
.LBB127_831:
	s_or_b64 exec, exec, s[4:5]
	scratch_load_dwordx4 v[2:5], v199, off
	v_cmp_lt_u32_e64 s[4:5], 2, v0
	s_waitcnt vmcnt(0)
	ds_write_b128 v9, v[2:5]
	s_waitcnt lgkmcnt(0)
	; wave barrier
	s_waitcnt lgkmcnt(0)
	s_and_saveexec_b64 s[0:1], s[4:5]
	s_cbranch_execz .LBB127_845
; %bb.832:
	ds_read_b128 v[2:5], v9
	s_andn2_b64 vcc, exec, s[6:7]
	s_cbranch_vccnz .LBB127_834
; %bb.833:
	scratch_load_dwordx4 v[202:205], v8, off
	s_waitcnt vmcnt(0) lgkmcnt(0)
	v_mul_f64 v[10:11], v[2:3], v[204:205]
	v_mul_f64 v[6:7], v[4:5], v[204:205]
	v_fmac_f64_e32 v[10:11], v[4:5], v[202:203]
	v_fma_f64 v[2:3], v[2:3], v[202:203], -v[6:7]
	v_mov_b64_e32 v[4:5], v[10:11]
.LBB127_834:
	s_and_saveexec_b64 s[8:9], s[2:3]
	s_cbranch_execz .LBB127_844
; %bb.835:
	v_add_u32_e32 v7, -4, v0
	v_add_u32_e32 v6, -3, v0
	v_cmp_lt_u32_e32 vcc, 6, v7
	v_mov_b32_e32 v202, 3
	s_and_saveexec_b64 s[2:3], vcc
	s_cbranch_execz .LBB127_839
; %bb.836:
	v_and_b32_e32 v7, -8, v6
	s_mov_b32 s12, 0
	s_mov_b64 s[10:11], 0
	v_mov_b32_e32 v201, 0
	s_mov_b32 s13, 0
.LBB127_837:                            ; =>This Inner Loop Header: Depth=1
	v_readfirstlane_b32 s14, v201
	s_add_i32 s14, s14, s12
	s_add_i32 s15, s14, 48
	v_mov_b32_e32 v28, s12
	ds_read_b128 v[202:205], v28 offset:1072
	ds_read_b128 v[206:209], v28 offset:1088
	;; [unrolled: 1-line block ×4, first 2 shown]
	scratch_load_dwordx4 v[218:221], off, s15
	s_add_i32 s15, s14, 64
	s_addk_i32 s12, 0x80
	s_waitcnt vmcnt(0) lgkmcnt(3)
	v_mul_f64 v[10:11], v[204:205], v[220:221]
	v_mul_f64 v[24:25], v[202:203], v[220:221]
	v_fma_f64 v[10:11], v[202:203], v[218:219], -v[10:11]
	v_fmac_f64_e32 v[24:25], v[204:205], v[218:219]
	v_add_f64 v[10:11], v[2:3], v[10:11]
	v_add_f64 v[24:25], v[4:5], v[24:25]
	scratch_load_dwordx4 v[2:5], off, s15
	s_add_i32 s15, s14, 0x50
	s_waitcnt vmcnt(0) lgkmcnt(2)
	v_mul_f64 v[26:27], v[208:209], v[4:5]
	v_mul_f64 v[4:5], v[206:207], v[4:5]
	v_fmac_f64_e32 v[4:5], v[208:209], v[2:3]
	v_fma_f64 v[26:27], v[206:207], v[2:3], -v[26:27]
	v_add_f64 v[24:25], v[24:25], v[4:5]
	scratch_load_dwordx4 v[2:5], off, s15
	v_add_f64 v[10:11], v[10:11], v[26:27]
	s_add_i32 s15, s14, 0x60
	s_waitcnt vmcnt(0) lgkmcnt(1)
	v_mul_f64 v[26:27], v[212:213], v[4:5]
	v_mul_f64 v[4:5], v[210:211], v[4:5]
	v_fmac_f64_e32 v[4:5], v[212:213], v[2:3]
	v_fma_f64 v[26:27], v[210:211], v[2:3], -v[26:27]
	v_add_f64 v[24:25], v[24:25], v[4:5]
	scratch_load_dwordx4 v[2:5], off, s15
	s_add_i32 s15, s14, 0x70
	scratch_load_dwordx4 v[202:205], off, s15
	v_add_f64 v[10:11], v[10:11], v[26:27]
	s_add_i32 s15, s14, 0x80
	s_waitcnt vmcnt(1) lgkmcnt(0)
	v_mul_f64 v[26:27], v[216:217], v[4:5]
	v_mul_f64 v[4:5], v[214:215], v[4:5]
	v_fmac_f64_e32 v[4:5], v[216:217], v[2:3]
	v_fma_f64 v[26:27], v[214:215], v[2:3], -v[26:27]
	v_add_f64 v[24:25], v[24:25], v[4:5]
	ds_read_b128 v[2:5], v28 offset:1136
	v_add_f64 v[10:11], v[10:11], v[26:27]
	s_waitcnt vmcnt(0) lgkmcnt(0)
	v_mul_f64 v[26:27], v[4:5], v[204:205]
	v_fma_f64 v[26:27], v[2:3], v[202:203], -v[26:27]
	v_mul_f64 v[2:3], v[2:3], v[204:205]
	v_fmac_f64_e32 v[2:3], v[4:5], v[202:203]
	scratch_load_dwordx4 v[202:205], off, s15
	v_add_f64 v[24:25], v[24:25], v[2:3]
	ds_read_b128 v[2:5], v28 offset:1152
	v_add_f64 v[10:11], v[10:11], v[26:27]
	s_add_i32 s15, s14, 0x90
	s_addk_i32 s14, 0xa0
	s_waitcnt vmcnt(0) lgkmcnt(0)
	v_mul_f64 v[26:27], v[4:5], v[204:205]
	v_fma_f64 v[26:27], v[2:3], v[202:203], -v[26:27]
	v_mul_f64 v[2:3], v[2:3], v[204:205]
	v_fmac_f64_e32 v[2:3], v[4:5], v[202:203]
	scratch_load_dwordx4 v[202:205], off, s15
	v_add_f64 v[24:25], v[24:25], v[2:3]
	ds_read_b128 v[2:5], v28 offset:1168
	v_add_f64 v[10:11], v[10:11], v[26:27]
	s_waitcnt vmcnt(0) lgkmcnt(0)
	v_mul_f64 v[26:27], v[4:5], v[204:205]
	v_fma_f64 v[26:27], v[2:3], v[202:203], -v[26:27]
	v_mul_f64 v[2:3], v[2:3], v[204:205]
	v_fmac_f64_e32 v[2:3], v[4:5], v[202:203]
	scratch_load_dwordx4 v[202:205], off, s14
	v_add_f64 v[24:25], v[24:25], v[2:3]
	ds_read_b128 v[2:5], v28 offset:1184
	v_add_f64 v[10:11], v[10:11], v[26:27]
	s_add_i32 s14, s13, 8
	v_cmp_eq_u32_e32 vcc, s14, v7
	s_add_i32 s13, s13, 11
	s_or_b64 s[10:11], vcc, s[10:11]
	s_waitcnt vmcnt(0) lgkmcnt(0)
	v_mul_f64 v[26:27], v[4:5], v[204:205]
	v_mul_f64 v[28:29], v[2:3], v[204:205]
	v_fma_f64 v[26:27], v[2:3], v[202:203], -v[26:27]
	v_fmac_f64_e32 v[28:29], v[4:5], v[202:203]
	v_add_f64 v[2:3], v[10:11], v[26:27]
	v_add_f64 v[4:5], v[24:25], v[28:29]
	v_mov_b32_e32 v202, s13
	s_mov_b32 s13, s14
	s_andn2_b64 exec, exec, s[10:11]
	s_cbranch_execnz .LBB127_837
; %bb.838:
	s_or_b64 exec, exec, s[10:11]
.LBB127_839:
	s_or_b64 exec, exec, s[2:3]
	v_and_b32_e32 v6, 7, v6
	v_cmp_ne_u32_e32 vcc, 0, v6
	s_and_saveexec_b64 s[2:3], vcc
	s_cbranch_execz .LBB127_843
; %bb.840:
	v_lshlrev_b32_e32 v10, 4, v202
	v_add_u32_e32 v7, 0x400, v10
	v_add_u32_e32 v201, 0, v10
	s_mov_b64 s[10:11], 0
.LBB127_841:                            ; =>This Inner Loop Header: Depth=1
	scratch_load_dwordx4 v[202:205], v201, off
	ds_read_b128 v[206:209], v7
	v_add_u32_e32 v6, -1, v6
	v_cmp_eq_u32_e32 vcc, 0, v6
	v_add_u32_e32 v7, 16, v7
	v_add_u32_e32 v201, 16, v201
	s_or_b64 s[10:11], vcc, s[10:11]
	s_waitcnt vmcnt(0) lgkmcnt(0)
	v_mul_f64 v[10:11], v[208:209], v[204:205]
	v_mul_f64 v[24:25], v[206:207], v[204:205]
	v_fma_f64 v[10:11], v[206:207], v[202:203], -v[10:11]
	v_fmac_f64_e32 v[24:25], v[208:209], v[202:203]
	v_add_f64 v[2:3], v[2:3], v[10:11]
	v_add_f64 v[4:5], v[4:5], v[24:25]
	s_andn2_b64 exec, exec, s[10:11]
	s_cbranch_execnz .LBB127_841
; %bb.842:
	s_or_b64 exec, exec, s[10:11]
.LBB127_843:
	s_or_b64 exec, exec, s[2:3]
.LBB127_844:
	s_or_b64 exec, exec, s[8:9]
	v_mov_b32_e32 v6, 0
	ds_read_b128 v[202:205], v6 offset:32
	s_waitcnt lgkmcnt(0)
	v_mul_f64 v[6:7], v[4:5], v[204:205]
	v_mul_f64 v[206:207], v[2:3], v[204:205]
	v_fma_f64 v[204:205], v[2:3], v[202:203], -v[6:7]
	v_fmac_f64_e32 v[206:207], v[4:5], v[202:203]
	scratch_store_dwordx4 off, v[204:207], off offset:32
.LBB127_845:
	s_or_b64 exec, exec, s[0:1]
	scratch_load_dwordx4 v[2:5], v200, off
	v_cmp_lt_u32_e64 s[0:1], 1, v0
	s_waitcnt vmcnt(0)
	ds_write_b128 v9, v[2:5]
	s_waitcnt lgkmcnt(0)
	; wave barrier
	s_waitcnt lgkmcnt(0)
	s_and_saveexec_b64 s[2:3], s[0:1]
	s_cbranch_execz .LBB127_859
; %bb.846:
	ds_read_b128 v[2:5], v9
	s_andn2_b64 vcc, exec, s[6:7]
	s_cbranch_vccnz .LBB127_848
; %bb.847:
	scratch_load_dwordx4 v[202:205], v8, off
	s_waitcnt vmcnt(0) lgkmcnt(0)
	v_mul_f64 v[10:11], v[2:3], v[204:205]
	v_mul_f64 v[6:7], v[4:5], v[204:205]
	v_fmac_f64_e32 v[10:11], v[4:5], v[202:203]
	v_fma_f64 v[2:3], v[2:3], v[202:203], -v[6:7]
	v_mov_b64_e32 v[4:5], v[10:11]
.LBB127_848:
	s_and_saveexec_b64 s[8:9], s[4:5]
	s_cbranch_execz .LBB127_858
; %bb.849:
	v_add_u32_e32 v7, -3, v0
	v_add_u32_e32 v6, -2, v0
	v_cmp_lt_u32_e32 vcc, 6, v7
	v_mov_b32_e32 v202, 2
	s_and_saveexec_b64 s[4:5], vcc
	s_cbranch_execz .LBB127_853
; %bb.850:
	v_and_b32_e32 v7, -8, v6
	s_mov_b32 s12, 0
	s_mov_b64 s[10:11], 0
	v_mov_b32_e32 v201, 0
	s_mov_b32 s13, 0
.LBB127_851:                            ; =>This Inner Loop Header: Depth=1
	v_readfirstlane_b32 s14, v201
	s_add_i32 s14, s14, s12
	s_add_i32 s15, s14, 32
	v_mov_b32_e32 v28, s12
	ds_read_b128 v[202:205], v28 offset:1056
	ds_read_b128 v[206:209], v28 offset:1072
	;; [unrolled: 1-line block ×4, first 2 shown]
	scratch_load_dwordx4 v[218:221], off, s15
	s_add_i32 s15, s14, 48
	s_addk_i32 s12, 0x80
	s_waitcnt vmcnt(0) lgkmcnt(3)
	v_mul_f64 v[10:11], v[204:205], v[220:221]
	v_mul_f64 v[24:25], v[202:203], v[220:221]
	v_fma_f64 v[10:11], v[202:203], v[218:219], -v[10:11]
	v_fmac_f64_e32 v[24:25], v[204:205], v[218:219]
	v_add_f64 v[10:11], v[2:3], v[10:11]
	v_add_f64 v[24:25], v[4:5], v[24:25]
	scratch_load_dwordx4 v[2:5], off, s15
	s_add_i32 s15, s14, 64
	s_waitcnt vmcnt(0) lgkmcnt(2)
	v_mul_f64 v[26:27], v[208:209], v[4:5]
	v_mul_f64 v[4:5], v[206:207], v[4:5]
	v_fmac_f64_e32 v[4:5], v[208:209], v[2:3]
	v_fma_f64 v[26:27], v[206:207], v[2:3], -v[26:27]
	v_add_f64 v[24:25], v[24:25], v[4:5]
	scratch_load_dwordx4 v[2:5], off, s15
	v_add_f64 v[10:11], v[10:11], v[26:27]
	s_add_i32 s15, s14, 0x50
	s_waitcnt vmcnt(0) lgkmcnt(1)
	v_mul_f64 v[26:27], v[212:213], v[4:5]
	v_mul_f64 v[4:5], v[210:211], v[4:5]
	v_fmac_f64_e32 v[4:5], v[212:213], v[2:3]
	v_fma_f64 v[26:27], v[210:211], v[2:3], -v[26:27]
	v_add_f64 v[24:25], v[24:25], v[4:5]
	scratch_load_dwordx4 v[2:5], off, s15
	s_add_i32 s15, s14, 0x60
	scratch_load_dwordx4 v[202:205], off, s15
	v_add_f64 v[10:11], v[10:11], v[26:27]
	s_add_i32 s15, s14, 0x70
	s_waitcnt vmcnt(1) lgkmcnt(0)
	v_mul_f64 v[26:27], v[216:217], v[4:5]
	v_mul_f64 v[4:5], v[214:215], v[4:5]
	v_fmac_f64_e32 v[4:5], v[216:217], v[2:3]
	v_fma_f64 v[26:27], v[214:215], v[2:3], -v[26:27]
	v_add_f64 v[24:25], v[24:25], v[4:5]
	ds_read_b128 v[2:5], v28 offset:1120
	v_add_f64 v[10:11], v[10:11], v[26:27]
	s_waitcnt vmcnt(0) lgkmcnt(0)
	v_mul_f64 v[26:27], v[4:5], v[204:205]
	v_fma_f64 v[26:27], v[2:3], v[202:203], -v[26:27]
	v_mul_f64 v[2:3], v[2:3], v[204:205]
	v_fmac_f64_e32 v[2:3], v[4:5], v[202:203]
	scratch_load_dwordx4 v[202:205], off, s15
	v_add_f64 v[24:25], v[24:25], v[2:3]
	ds_read_b128 v[2:5], v28 offset:1136
	v_add_f64 v[10:11], v[10:11], v[26:27]
	s_add_i32 s15, s14, 0x80
	s_addk_i32 s14, 0x90
	s_waitcnt vmcnt(0) lgkmcnt(0)
	v_mul_f64 v[26:27], v[4:5], v[204:205]
	v_fma_f64 v[26:27], v[2:3], v[202:203], -v[26:27]
	v_mul_f64 v[2:3], v[2:3], v[204:205]
	v_fmac_f64_e32 v[2:3], v[4:5], v[202:203]
	scratch_load_dwordx4 v[202:205], off, s15
	v_add_f64 v[24:25], v[24:25], v[2:3]
	ds_read_b128 v[2:5], v28 offset:1152
	v_add_f64 v[10:11], v[10:11], v[26:27]
	s_waitcnt vmcnt(0) lgkmcnt(0)
	v_mul_f64 v[26:27], v[4:5], v[204:205]
	v_fma_f64 v[26:27], v[2:3], v[202:203], -v[26:27]
	v_mul_f64 v[2:3], v[2:3], v[204:205]
	v_fmac_f64_e32 v[2:3], v[4:5], v[202:203]
	scratch_load_dwordx4 v[202:205], off, s14
	v_add_f64 v[24:25], v[24:25], v[2:3]
	ds_read_b128 v[2:5], v28 offset:1168
	v_add_f64 v[10:11], v[10:11], v[26:27]
	s_add_i32 s14, s13, 8
	v_cmp_eq_u32_e32 vcc, s14, v7
	s_add_i32 s13, s13, 10
	s_or_b64 s[10:11], vcc, s[10:11]
	s_waitcnt vmcnt(0) lgkmcnt(0)
	v_mul_f64 v[26:27], v[4:5], v[204:205]
	v_mul_f64 v[28:29], v[2:3], v[204:205]
	v_fma_f64 v[26:27], v[2:3], v[202:203], -v[26:27]
	v_fmac_f64_e32 v[28:29], v[4:5], v[202:203]
	v_add_f64 v[2:3], v[10:11], v[26:27]
	v_add_f64 v[4:5], v[24:25], v[28:29]
	v_mov_b32_e32 v202, s13
	s_mov_b32 s13, s14
	s_andn2_b64 exec, exec, s[10:11]
	s_cbranch_execnz .LBB127_851
; %bb.852:
	s_or_b64 exec, exec, s[10:11]
.LBB127_853:
	s_or_b64 exec, exec, s[4:5]
	v_and_b32_e32 v6, 7, v6
	v_cmp_ne_u32_e32 vcc, 0, v6
	s_and_saveexec_b64 s[4:5], vcc
	s_cbranch_execz .LBB127_857
; %bb.854:
	v_lshlrev_b32_e32 v10, 4, v202
	v_add_u32_e32 v7, 0x400, v10
	v_add_u32_e32 v201, 0, v10
	s_mov_b64 s[10:11], 0
.LBB127_855:                            ; =>This Inner Loop Header: Depth=1
	scratch_load_dwordx4 v[202:205], v201, off
	ds_read_b128 v[206:209], v7
	v_add_u32_e32 v6, -1, v6
	v_cmp_eq_u32_e32 vcc, 0, v6
	v_add_u32_e32 v7, 16, v7
	v_add_u32_e32 v201, 16, v201
	s_or_b64 s[10:11], vcc, s[10:11]
	s_waitcnt vmcnt(0) lgkmcnt(0)
	v_mul_f64 v[10:11], v[208:209], v[204:205]
	v_mul_f64 v[24:25], v[206:207], v[204:205]
	v_fma_f64 v[10:11], v[206:207], v[202:203], -v[10:11]
	v_fmac_f64_e32 v[24:25], v[208:209], v[202:203]
	v_add_f64 v[2:3], v[2:3], v[10:11]
	v_add_f64 v[4:5], v[4:5], v[24:25]
	s_andn2_b64 exec, exec, s[10:11]
	s_cbranch_execnz .LBB127_855
; %bb.856:
	s_or_b64 exec, exec, s[10:11]
.LBB127_857:
	s_or_b64 exec, exec, s[4:5]
.LBB127_858:
	s_or_b64 exec, exec, s[8:9]
	v_mov_b32_e32 v6, 0
	ds_read_b128 v[202:205], v6 offset:16
	s_waitcnt lgkmcnt(0)
	v_mul_f64 v[6:7], v[4:5], v[204:205]
	v_mul_f64 v[206:207], v[2:3], v[204:205]
	v_fma_f64 v[204:205], v[2:3], v[202:203], -v[6:7]
	v_fmac_f64_e32 v[206:207], v[4:5], v[202:203]
	scratch_store_dwordx4 off, v[204:207], off offset:16
.LBB127_859:
	s_or_b64 exec, exec, s[2:3]
	scratch_load_dwordx4 v[2:5], off, off
	v_cmp_ne_u32_e32 vcc, 0, v0
	s_mov_b64 s[2:3], 0
	s_mov_b64 s[10:11], 0
                                        ; implicit-def: $vgpr6_vgpr7
                                        ; implicit-def: $vgpr201
	s_waitcnt vmcnt(0)
	ds_write_b128 v9, v[2:5]
	s_waitcnt lgkmcnt(0)
	; wave barrier
	s_waitcnt lgkmcnt(0)
	s_and_saveexec_b64 s[4:5], vcc
	s_cbranch_execz .LBB127_873
; %bb.860:
	ds_read_b128 v[2:5], v9
	s_andn2_b64 vcc, exec, s[6:7]
	s_cbranch_vccnz .LBB127_862
; %bb.861:
	scratch_load_dwordx4 v[202:205], v8, off
	s_waitcnt vmcnt(0) lgkmcnt(0)
	v_mul_f64 v[10:11], v[2:3], v[204:205]
	v_mul_f64 v[6:7], v[4:5], v[204:205]
	v_fmac_f64_e32 v[10:11], v[4:5], v[202:203]
	v_fma_f64 v[2:3], v[2:3], v[202:203], -v[6:7]
	v_mov_b64_e32 v[4:5], v[10:11]
.LBB127_862:
	s_and_saveexec_b64 s[8:9], s[0:1]
	s_cbranch_execz .LBB127_872
; %bb.863:
	v_add_u32_e32 v7, -2, v0
	v_add_u32_e32 v6, -1, v0
	v_cmp_lt_u32_e32 vcc, 6, v7
	v_mov_b32_e32 v202, 1
	s_and_saveexec_b64 s[0:1], vcc
	s_cbranch_execz .LBB127_867
; %bb.864:
	v_and_b32_e32 v7, -8, v6
	s_mov_b32 s12, 0
	v_mov_b32_e32 v201, 0
	s_mov_b32 s13, 0
.LBB127_865:                            ; =>This Inner Loop Header: Depth=1
	v_readfirstlane_b32 s14, v201
	s_add_i32 s14, s14, s12
	s_add_i32 s15, s14, 16
	v_mov_b32_e32 v28, s12
	ds_read_b128 v[202:205], v28 offset:1040
	ds_read_b128 v[206:209], v28 offset:1056
	;; [unrolled: 1-line block ×4, first 2 shown]
	scratch_load_dwordx4 v[218:221], off, s15
	s_add_i32 s15, s14, 32
	s_addk_i32 s12, 0x80
	s_waitcnt vmcnt(0) lgkmcnt(3)
	v_mul_f64 v[10:11], v[204:205], v[220:221]
	v_mul_f64 v[24:25], v[202:203], v[220:221]
	v_fma_f64 v[10:11], v[202:203], v[218:219], -v[10:11]
	v_fmac_f64_e32 v[24:25], v[204:205], v[218:219]
	v_add_f64 v[10:11], v[2:3], v[10:11]
	v_add_f64 v[24:25], v[4:5], v[24:25]
	scratch_load_dwordx4 v[2:5], off, s15
	s_add_i32 s15, s14, 48
	s_waitcnt vmcnt(0) lgkmcnt(2)
	v_mul_f64 v[26:27], v[208:209], v[4:5]
	v_mul_f64 v[4:5], v[206:207], v[4:5]
	v_fmac_f64_e32 v[4:5], v[208:209], v[2:3]
	v_fma_f64 v[26:27], v[206:207], v[2:3], -v[26:27]
	v_add_f64 v[24:25], v[24:25], v[4:5]
	scratch_load_dwordx4 v[2:5], off, s15
	v_add_f64 v[10:11], v[10:11], v[26:27]
	s_add_i32 s15, s14, 64
	s_waitcnt vmcnt(0) lgkmcnt(1)
	v_mul_f64 v[26:27], v[212:213], v[4:5]
	v_mul_f64 v[4:5], v[210:211], v[4:5]
	v_fmac_f64_e32 v[4:5], v[212:213], v[2:3]
	v_fma_f64 v[26:27], v[210:211], v[2:3], -v[26:27]
	v_add_f64 v[24:25], v[24:25], v[4:5]
	scratch_load_dwordx4 v[2:5], off, s15
	s_add_i32 s15, s14, 0x50
	scratch_load_dwordx4 v[202:205], off, s15
	v_add_f64 v[10:11], v[10:11], v[26:27]
	s_add_i32 s15, s14, 0x60
	s_waitcnt vmcnt(1) lgkmcnt(0)
	v_mul_f64 v[26:27], v[216:217], v[4:5]
	v_mul_f64 v[4:5], v[214:215], v[4:5]
	v_fmac_f64_e32 v[4:5], v[216:217], v[2:3]
	v_fma_f64 v[26:27], v[214:215], v[2:3], -v[26:27]
	v_add_f64 v[24:25], v[24:25], v[4:5]
	ds_read_b128 v[2:5], v28 offset:1104
	v_add_f64 v[10:11], v[10:11], v[26:27]
	s_waitcnt vmcnt(0) lgkmcnt(0)
	v_mul_f64 v[26:27], v[4:5], v[204:205]
	v_fma_f64 v[26:27], v[2:3], v[202:203], -v[26:27]
	v_mul_f64 v[2:3], v[2:3], v[204:205]
	v_fmac_f64_e32 v[2:3], v[4:5], v[202:203]
	scratch_load_dwordx4 v[202:205], off, s15
	v_add_f64 v[24:25], v[24:25], v[2:3]
	ds_read_b128 v[2:5], v28 offset:1120
	v_add_f64 v[10:11], v[10:11], v[26:27]
	s_add_i32 s15, s14, 0x70
	s_addk_i32 s14, 0x80
	s_waitcnt vmcnt(0) lgkmcnt(0)
	v_mul_f64 v[26:27], v[4:5], v[204:205]
	v_fma_f64 v[26:27], v[2:3], v[202:203], -v[26:27]
	v_mul_f64 v[2:3], v[2:3], v[204:205]
	v_fmac_f64_e32 v[2:3], v[4:5], v[202:203]
	scratch_load_dwordx4 v[202:205], off, s15
	v_add_f64 v[24:25], v[24:25], v[2:3]
	ds_read_b128 v[2:5], v28 offset:1136
	v_add_f64 v[10:11], v[10:11], v[26:27]
	s_waitcnt vmcnt(0) lgkmcnt(0)
	v_mul_f64 v[26:27], v[4:5], v[204:205]
	v_fma_f64 v[26:27], v[2:3], v[202:203], -v[26:27]
	v_mul_f64 v[2:3], v[2:3], v[204:205]
	v_fmac_f64_e32 v[2:3], v[4:5], v[202:203]
	scratch_load_dwordx4 v[202:205], off, s14
	v_add_f64 v[24:25], v[24:25], v[2:3]
	ds_read_b128 v[2:5], v28 offset:1152
	v_add_f64 v[10:11], v[10:11], v[26:27]
	s_add_i32 s14, s13, 8
	v_cmp_eq_u32_e32 vcc, s14, v7
	s_add_i32 s13, s13, 9
	s_or_b64 s[10:11], vcc, s[10:11]
	s_waitcnt vmcnt(0) lgkmcnt(0)
	v_mul_f64 v[26:27], v[4:5], v[204:205]
	v_mul_f64 v[28:29], v[2:3], v[204:205]
	v_fma_f64 v[26:27], v[2:3], v[202:203], -v[26:27]
	v_fmac_f64_e32 v[28:29], v[4:5], v[202:203]
	v_add_f64 v[2:3], v[10:11], v[26:27]
	v_add_f64 v[4:5], v[24:25], v[28:29]
	v_mov_b32_e32 v202, s13
	s_mov_b32 s13, s14
	s_andn2_b64 exec, exec, s[10:11]
	s_cbranch_execnz .LBB127_865
; %bb.866:
	s_or_b64 exec, exec, s[10:11]
.LBB127_867:
	s_or_b64 exec, exec, s[0:1]
	v_and_b32_e32 v6, 7, v6
	v_cmp_ne_u32_e32 vcc, 0, v6
	s_and_saveexec_b64 s[0:1], vcc
	s_cbranch_execz .LBB127_871
; %bb.868:
	v_lshlrev_b32_e32 v10, 4, v202
	v_add_u32_e32 v7, 0x400, v10
	v_add_u32_e32 v201, 0, v10
	s_mov_b64 s[10:11], 0
.LBB127_869:                            ; =>This Inner Loop Header: Depth=1
	scratch_load_dwordx4 v[202:205], v201, off
	ds_read_b128 v[206:209], v7
	v_add_u32_e32 v6, -1, v6
	v_cmp_eq_u32_e32 vcc, 0, v6
	v_add_u32_e32 v7, 16, v7
	v_add_u32_e32 v201, 16, v201
	s_or_b64 s[10:11], vcc, s[10:11]
	s_waitcnt vmcnt(0) lgkmcnt(0)
	v_mul_f64 v[10:11], v[208:209], v[204:205]
	v_mul_f64 v[24:25], v[206:207], v[204:205]
	v_fma_f64 v[10:11], v[206:207], v[202:203], -v[10:11]
	v_fmac_f64_e32 v[24:25], v[208:209], v[202:203]
	v_add_f64 v[2:3], v[2:3], v[10:11]
	v_add_f64 v[4:5], v[4:5], v[24:25]
	s_andn2_b64 exec, exec, s[10:11]
	s_cbranch_execnz .LBB127_869
; %bb.870:
	s_or_b64 exec, exec, s[10:11]
.LBB127_871:
	s_or_b64 exec, exec, s[0:1]
.LBB127_872:
	s_or_b64 exec, exec, s[8:9]
	v_mov_b32_e32 v6, 0
	ds_read_b128 v[202:205], v6
	v_mov_b32_e32 v6, 0
	v_or_b32_e32 v201, 8, v6
	s_mov_b64 s[10:11], exec
	s_waitcnt lgkmcnt(0)
	v_mul_f64 v[10:11], v[4:5], v[204:205]
	v_mul_f64 v[6:7], v[2:3], v[204:205]
	v_fma_f64 v[2:3], v[2:3], v[202:203], -v[10:11]
	v_fmac_f64_e32 v[6:7], v[4:5], v[202:203]
	scratch_store_dwordx2 off, v[2:3], off
.LBB127_873:
	s_or_b64 exec, exec, s[4:5]
	s_and_b64 vcc, exec, s[2:3]
	s_cbranch_vccnz .LBB127_875
	s_branch .LBB127_1386
.LBB127_874:
	s_mov_b64 s[10:11], 0
                                        ; implicit-def: $vgpr6_vgpr7
                                        ; implicit-def: $vgpr201
	s_cbranch_execz .LBB127_1386
.LBB127_875:
	scratch_load_dwordx4 v[2:5], v200, off
	v_cndmask_b32_e64 v6, 0, 1, s[6:7]
	v_cmp_eq_u32_e64 s[2:3], 0, v0
	v_cmp_ne_u32_e64 s[0:1], 1, v6
	s_waitcnt vmcnt(0)
	ds_write_b128 v9, v[2:5]
	s_waitcnt lgkmcnt(0)
	; wave barrier
	s_waitcnt lgkmcnt(0)
	s_and_saveexec_b64 s[4:5], s[2:3]
	s_cbranch_execz .LBB127_879
; %bb.876:
	ds_read_b128 v[2:5], v9
	s_and_b64 vcc, exec, s[0:1]
	s_cbranch_vccnz .LBB127_878
; %bb.877:
	scratch_load_dwordx4 v[202:205], v8, off
	s_waitcnt vmcnt(0) lgkmcnt(0)
	v_mul_f64 v[10:11], v[2:3], v[204:205]
	v_mul_f64 v[6:7], v[4:5], v[204:205]
	v_fmac_f64_e32 v[10:11], v[4:5], v[202:203]
	v_fma_f64 v[2:3], v[2:3], v[202:203], -v[6:7]
	v_mov_b64_e32 v[4:5], v[10:11]
.LBB127_878:
	v_mov_b32_e32 v6, 0
	ds_read_b128 v[202:205], v6 offset:16
	s_waitcnt lgkmcnt(0)
	v_mul_f64 v[6:7], v[4:5], v[204:205]
	v_mul_f64 v[206:207], v[2:3], v[204:205]
	v_fma_f64 v[204:205], v[2:3], v[202:203], -v[6:7]
	v_fmac_f64_e32 v[206:207], v[4:5], v[202:203]
	scratch_store_dwordx4 off, v[204:207], off offset:16
.LBB127_879:
	s_or_b64 exec, exec, s[4:5]
	scratch_load_dwordx4 v[2:5], v199, off
	v_cmp_gt_u32_e32 vcc, 2, v0
	s_waitcnt vmcnt(0)
	ds_write_b128 v9, v[2:5]
	s_waitcnt lgkmcnt(0)
	; wave barrier
	s_waitcnt lgkmcnt(0)
	s_and_saveexec_b64 s[4:5], vcc
	s_cbranch_execz .LBB127_885
; %bb.880:
	ds_read_b128 v[2:5], v9
	s_and_b64 vcc, exec, s[0:1]
	s_cbranch_vccnz .LBB127_882
; %bb.881:
	scratch_load_dwordx4 v[202:205], v8, off
	s_waitcnt vmcnt(0) lgkmcnt(0)
	v_mul_f64 v[10:11], v[2:3], v[204:205]
	v_mul_f64 v[6:7], v[4:5], v[204:205]
	v_fmac_f64_e32 v[10:11], v[4:5], v[202:203]
	v_fma_f64 v[2:3], v[2:3], v[202:203], -v[6:7]
	v_mov_b64_e32 v[4:5], v[10:11]
.LBB127_882:
	s_and_saveexec_b64 s[6:7], s[2:3]
	s_cbranch_execz .LBB127_884
; %bb.883:
	scratch_load_dwordx4 v[202:205], v8, off offset:16
	ds_read_b128 v[206:209], v9 offset:16
	s_waitcnt vmcnt(0) lgkmcnt(0)
	v_mul_f64 v[6:7], v[208:209], v[204:205]
	v_mul_f64 v[10:11], v[206:207], v[204:205]
	v_fma_f64 v[6:7], v[206:207], v[202:203], -v[6:7]
	v_fmac_f64_e32 v[10:11], v[208:209], v[202:203]
	v_add_f64 v[2:3], v[2:3], v[6:7]
	v_add_f64 v[4:5], v[4:5], v[10:11]
.LBB127_884:
	s_or_b64 exec, exec, s[6:7]
	v_mov_b32_e32 v6, 0
	ds_read_b128 v[202:205], v6 offset:32
	s_waitcnt lgkmcnt(0)
	v_mul_f64 v[6:7], v[4:5], v[204:205]
	v_mul_f64 v[206:207], v[2:3], v[204:205]
	v_fma_f64 v[204:205], v[2:3], v[202:203], -v[6:7]
	v_fmac_f64_e32 v[206:207], v[4:5], v[202:203]
	scratch_store_dwordx4 off, v[204:207], off offset:32
.LBB127_885:
	s_or_b64 exec, exec, s[4:5]
	scratch_load_dwordx4 v[2:5], v198, off
	v_cmp_gt_u32_e64 s[4:5], 3, v0
	s_waitcnt vmcnt(0)
	ds_write_b128 v9, v[2:5]
	s_waitcnt lgkmcnt(0)
	; wave barrier
	s_waitcnt lgkmcnt(0)
	s_and_saveexec_b64 s[6:7], s[4:5]
	s_cbranch_execz .LBB127_893
; %bb.886:
	ds_read_b128 v[2:5], v9
	s_and_b64 vcc, exec, s[0:1]
	s_cbranch_vccnz .LBB127_888
; %bb.887:
	scratch_load_dwordx4 v[202:205], v8, off
	s_waitcnt vmcnt(0) lgkmcnt(0)
	v_mul_f64 v[10:11], v[2:3], v[204:205]
	v_mul_f64 v[6:7], v[4:5], v[204:205]
	v_fmac_f64_e32 v[10:11], v[4:5], v[202:203]
	v_fma_f64 v[2:3], v[2:3], v[202:203], -v[6:7]
	v_mov_b64_e32 v[4:5], v[10:11]
.LBB127_888:
	v_cmp_ne_u32_e32 vcc, 2, v0
	s_and_saveexec_b64 s[8:9], vcc
	s_cbranch_execz .LBB127_892
; %bb.889:
	scratch_load_dwordx4 v[202:205], v8, off offset:16
	ds_read_b128 v[206:209], v9 offset:16
	s_waitcnt vmcnt(0) lgkmcnt(0)
	v_mul_f64 v[6:7], v[208:209], v[204:205]
	v_mul_f64 v[10:11], v[206:207], v[204:205]
	v_fma_f64 v[6:7], v[206:207], v[202:203], -v[6:7]
	v_fmac_f64_e32 v[10:11], v[208:209], v[202:203]
	v_add_f64 v[2:3], v[2:3], v[6:7]
	v_add_f64 v[4:5], v[4:5], v[10:11]
	s_and_saveexec_b64 s[12:13], s[2:3]
	s_cbranch_execz .LBB127_891
; %bb.890:
	scratch_load_dwordx4 v[202:205], off, off offset:32
	v_mov_b32_e32 v6, 0
	ds_read_b128 v[206:209], v6 offset:1056
	s_waitcnt vmcnt(0) lgkmcnt(0)
	v_mul_f64 v[6:7], v[206:207], v[204:205]
	v_mul_f64 v[10:11], v[208:209], v[204:205]
	v_fmac_f64_e32 v[6:7], v[208:209], v[202:203]
	v_fma_f64 v[10:11], v[206:207], v[202:203], -v[10:11]
	v_add_f64 v[4:5], v[4:5], v[6:7]
	v_add_f64 v[2:3], v[2:3], v[10:11]
.LBB127_891:
	s_or_b64 exec, exec, s[12:13]
.LBB127_892:
	s_or_b64 exec, exec, s[8:9]
	v_mov_b32_e32 v6, 0
	ds_read_b128 v[202:205], v6 offset:48
	s_waitcnt lgkmcnt(0)
	v_mul_f64 v[6:7], v[4:5], v[204:205]
	v_mul_f64 v[206:207], v[2:3], v[204:205]
	v_fma_f64 v[204:205], v[2:3], v[202:203], -v[6:7]
	v_fmac_f64_e32 v[206:207], v[4:5], v[202:203]
	scratch_store_dwordx4 off, v[204:207], off offset:48
.LBB127_893:
	s_or_b64 exec, exec, s[6:7]
	scratch_load_dwordx4 v[2:5], v197, off
	v_cmp_gt_u32_e32 vcc, 4, v0
	s_waitcnt vmcnt(0)
	ds_write_b128 v9, v[2:5]
	s_waitcnt lgkmcnt(0)
	; wave barrier
	s_waitcnt lgkmcnt(0)
	s_and_saveexec_b64 s[6:7], vcc
	s_cbranch_execz .LBB127_901
; %bb.894:
	ds_read_b128 v[2:5], v9
	s_and_b64 vcc, exec, s[0:1]
	s_cbranch_vccnz .LBB127_896
; %bb.895:
	scratch_load_dwordx4 v[202:205], v8, off
	s_waitcnt vmcnt(0) lgkmcnt(0)
	v_mul_f64 v[10:11], v[2:3], v[204:205]
	v_mul_f64 v[6:7], v[4:5], v[204:205]
	v_fmac_f64_e32 v[10:11], v[4:5], v[202:203]
	v_fma_f64 v[2:3], v[2:3], v[202:203], -v[6:7]
	v_mov_b64_e32 v[4:5], v[10:11]
.LBB127_896:
	v_cmp_ne_u32_e32 vcc, 3, v0
	s_and_saveexec_b64 s[8:9], vcc
	s_cbranch_execz .LBB127_900
; %bb.897:
	v_mov_b32_e32 v7, 0
	v_add_u32_e32 v6, 0x410, v112
	v_add3_u32 v7, v112, v7, 24
	s_mov_b64 s[12:13], 0
	v_mov_b32_e32 v201, v0
.LBB127_898:                            ; =>This Inner Loop Header: Depth=1
	v_add_u32_e32 v10, -8, v7
	scratch_load_dwordx4 v[202:205], v10, off
	ds_read_b128 v[206:209], v6
	v_add_u32_e32 v201, 1, v201
	v_cmp_lt_u32_e32 vcc, 2, v201
	v_add_u32_e32 v6, 16, v6
	v_add_u32_e32 v7, 16, v7
	s_or_b64 s[12:13], vcc, s[12:13]
	s_waitcnt vmcnt(0) lgkmcnt(0)
	v_mul_f64 v[10:11], v[208:209], v[204:205]
	v_mul_f64 v[24:25], v[206:207], v[204:205]
	v_fma_f64 v[10:11], v[206:207], v[202:203], -v[10:11]
	v_fmac_f64_e32 v[24:25], v[208:209], v[202:203]
	v_add_f64 v[2:3], v[2:3], v[10:11]
	v_add_f64 v[4:5], v[4:5], v[24:25]
	s_andn2_b64 exec, exec, s[12:13]
	s_cbranch_execnz .LBB127_898
; %bb.899:
	s_or_b64 exec, exec, s[12:13]
.LBB127_900:
	s_or_b64 exec, exec, s[8:9]
	v_mov_b32_e32 v6, 0
	ds_read_b128 v[202:205], v6 offset:64
	s_waitcnt lgkmcnt(0)
	v_mul_f64 v[6:7], v[4:5], v[204:205]
	v_mul_f64 v[206:207], v[2:3], v[204:205]
	v_fma_f64 v[204:205], v[2:3], v[202:203], -v[6:7]
	v_fmac_f64_e32 v[206:207], v[4:5], v[202:203]
	scratch_store_dwordx4 off, v[204:207], off offset:64
.LBB127_901:
	s_or_b64 exec, exec, s[6:7]
	scratch_load_dwordx4 v[2:5], v196, off
	v_cmp_gt_u32_e64 s[6:7], 5, v0
	s_waitcnt vmcnt(0)
	ds_write_b128 v9, v[2:5]
	s_waitcnt lgkmcnt(0)
	; wave barrier
	s_waitcnt lgkmcnt(0)
	s_and_saveexec_b64 s[8:9], s[6:7]
	s_cbranch_execz .LBB127_909
; %bb.902:
	ds_read_b128 v[2:5], v9
	s_and_b64 vcc, exec, s[0:1]
	s_cbranch_vccnz .LBB127_904
; %bb.903:
	scratch_load_dwordx4 v[202:205], v8, off
	s_waitcnt vmcnt(0) lgkmcnt(0)
	v_mul_f64 v[10:11], v[2:3], v[204:205]
	v_mul_f64 v[6:7], v[4:5], v[204:205]
	v_fmac_f64_e32 v[10:11], v[4:5], v[202:203]
	v_fma_f64 v[2:3], v[2:3], v[202:203], -v[6:7]
	v_mov_b64_e32 v[4:5], v[10:11]
.LBB127_904:
	v_cmp_ne_u32_e32 vcc, 4, v0
	s_and_saveexec_b64 s[12:13], vcc
	s_cbranch_execz .LBB127_908
; %bb.905:
	v_mov_b32_e32 v7, 0
	v_add_u32_e32 v6, 0x410, v112
	v_add3_u32 v7, v112, v7, 24
	s_mov_b64 s[14:15], 0
	v_mov_b32_e32 v201, v0
.LBB127_906:                            ; =>This Inner Loop Header: Depth=1
	v_add_u32_e32 v10, -8, v7
	scratch_load_dwordx4 v[202:205], v10, off
	ds_read_b128 v[206:209], v6
	v_add_u32_e32 v201, 1, v201
	v_cmp_lt_u32_e32 vcc, 3, v201
	v_add_u32_e32 v6, 16, v6
	v_add_u32_e32 v7, 16, v7
	s_or_b64 s[14:15], vcc, s[14:15]
	s_waitcnt vmcnt(0) lgkmcnt(0)
	v_mul_f64 v[10:11], v[208:209], v[204:205]
	v_mul_f64 v[24:25], v[206:207], v[204:205]
	v_fma_f64 v[10:11], v[206:207], v[202:203], -v[10:11]
	v_fmac_f64_e32 v[24:25], v[208:209], v[202:203]
	v_add_f64 v[2:3], v[2:3], v[10:11]
	v_add_f64 v[4:5], v[4:5], v[24:25]
	s_andn2_b64 exec, exec, s[14:15]
	s_cbranch_execnz .LBB127_906
; %bb.907:
	s_or_b64 exec, exec, s[14:15]
.LBB127_908:
	s_or_b64 exec, exec, s[12:13]
	v_mov_b32_e32 v6, 0
	ds_read_b128 v[202:205], v6 offset:80
	s_waitcnt lgkmcnt(0)
	v_mul_f64 v[6:7], v[4:5], v[204:205]
	v_mul_f64 v[206:207], v[2:3], v[204:205]
	v_fma_f64 v[204:205], v[2:3], v[202:203], -v[6:7]
	v_fmac_f64_e32 v[206:207], v[4:5], v[202:203]
	scratch_store_dwordx4 off, v[204:207], off offset:80
.LBB127_909:
	s_or_b64 exec, exec, s[8:9]
	scratch_load_dwordx4 v[2:5], v195, off
	v_cmp_gt_u32_e32 vcc, 6, v0
	s_waitcnt vmcnt(0)
	ds_write_b128 v9, v[2:5]
	s_waitcnt lgkmcnt(0)
	; wave barrier
	s_waitcnt lgkmcnt(0)
	s_and_saveexec_b64 s[8:9], vcc
	s_cbranch_execz .LBB127_917
; %bb.910:
	ds_read_b128 v[2:5], v9
	s_and_b64 vcc, exec, s[0:1]
	s_cbranch_vccnz .LBB127_912
; %bb.911:
	scratch_load_dwordx4 v[202:205], v8, off
	s_waitcnt vmcnt(0) lgkmcnt(0)
	v_mul_f64 v[10:11], v[2:3], v[204:205]
	v_mul_f64 v[6:7], v[4:5], v[204:205]
	v_fmac_f64_e32 v[10:11], v[4:5], v[202:203]
	v_fma_f64 v[2:3], v[2:3], v[202:203], -v[6:7]
	v_mov_b64_e32 v[4:5], v[10:11]
.LBB127_912:
	v_cmp_ne_u32_e32 vcc, 5, v0
	s_and_saveexec_b64 s[12:13], vcc
	s_cbranch_execz .LBB127_916
; %bb.913:
	v_mov_b32_e32 v7, 0
	v_add_u32_e32 v6, 0x410, v112
	v_add3_u32 v7, v112, v7, 24
	s_mov_b64 s[14:15], 0
	v_mov_b32_e32 v201, v0
.LBB127_914:                            ; =>This Inner Loop Header: Depth=1
	v_add_u32_e32 v10, -8, v7
	scratch_load_dwordx4 v[202:205], v10, off
	ds_read_b128 v[206:209], v6
	v_add_u32_e32 v201, 1, v201
	v_cmp_lt_u32_e32 vcc, 4, v201
	v_add_u32_e32 v6, 16, v6
	v_add_u32_e32 v7, 16, v7
	s_or_b64 s[14:15], vcc, s[14:15]
	s_waitcnt vmcnt(0) lgkmcnt(0)
	v_mul_f64 v[10:11], v[208:209], v[204:205]
	v_mul_f64 v[24:25], v[206:207], v[204:205]
	v_fma_f64 v[10:11], v[206:207], v[202:203], -v[10:11]
	v_fmac_f64_e32 v[24:25], v[208:209], v[202:203]
	v_add_f64 v[2:3], v[2:3], v[10:11]
	v_add_f64 v[4:5], v[4:5], v[24:25]
	s_andn2_b64 exec, exec, s[14:15]
	s_cbranch_execnz .LBB127_914
; %bb.915:
	s_or_b64 exec, exec, s[14:15]
.LBB127_916:
	s_or_b64 exec, exec, s[12:13]
	v_mov_b32_e32 v6, 0
	ds_read_b128 v[202:205], v6 offset:96
	s_waitcnt lgkmcnt(0)
	v_mul_f64 v[6:7], v[4:5], v[204:205]
	v_mul_f64 v[206:207], v[2:3], v[204:205]
	v_fma_f64 v[204:205], v[2:3], v[202:203], -v[6:7]
	v_fmac_f64_e32 v[206:207], v[4:5], v[202:203]
	scratch_store_dwordx4 off, v[204:207], off offset:96
.LBB127_917:
	s_or_b64 exec, exec, s[8:9]
	scratch_load_dwordx4 v[2:5], v194, off
	v_cmp_gt_u32_e64 s[8:9], 7, v0
	s_waitcnt vmcnt(0)
	ds_write_b128 v9, v[2:5]
	s_waitcnt lgkmcnt(0)
	; wave barrier
	s_waitcnt lgkmcnt(0)
	s_and_saveexec_b64 s[12:13], s[8:9]
	s_cbranch_execz .LBB127_925
; %bb.918:
	ds_read_b128 v[2:5], v9
	s_and_b64 vcc, exec, s[0:1]
	s_cbranch_vccnz .LBB127_920
; %bb.919:
	scratch_load_dwordx4 v[202:205], v8, off
	s_waitcnt vmcnt(0) lgkmcnt(0)
	v_mul_f64 v[10:11], v[2:3], v[204:205]
	v_mul_f64 v[6:7], v[4:5], v[204:205]
	v_fmac_f64_e32 v[10:11], v[4:5], v[202:203]
	v_fma_f64 v[2:3], v[2:3], v[202:203], -v[6:7]
	v_mov_b64_e32 v[4:5], v[10:11]
.LBB127_920:
	v_cmp_ne_u32_e32 vcc, 6, v0
	s_and_saveexec_b64 s[14:15], vcc
	s_cbranch_execz .LBB127_924
; %bb.921:
	v_mov_b32_e32 v7, 0
	v_add_u32_e32 v6, 0x410, v112
	v_add3_u32 v7, v112, v7, 24
	s_mov_b64 s[16:17], 0
	v_mov_b32_e32 v201, v0
.LBB127_922:                            ; =>This Inner Loop Header: Depth=1
	v_add_u32_e32 v10, -8, v7
	scratch_load_dwordx4 v[202:205], v10, off
	ds_read_b128 v[206:209], v6
	v_add_u32_e32 v201, 1, v201
	v_cmp_lt_u32_e32 vcc, 5, v201
	v_add_u32_e32 v6, 16, v6
	v_add_u32_e32 v7, 16, v7
	s_or_b64 s[16:17], vcc, s[16:17]
	s_waitcnt vmcnt(0) lgkmcnt(0)
	v_mul_f64 v[10:11], v[208:209], v[204:205]
	v_mul_f64 v[24:25], v[206:207], v[204:205]
	v_fma_f64 v[10:11], v[206:207], v[202:203], -v[10:11]
	v_fmac_f64_e32 v[24:25], v[208:209], v[202:203]
	v_add_f64 v[2:3], v[2:3], v[10:11]
	v_add_f64 v[4:5], v[4:5], v[24:25]
	s_andn2_b64 exec, exec, s[16:17]
	s_cbranch_execnz .LBB127_922
; %bb.923:
	s_or_b64 exec, exec, s[16:17]
.LBB127_924:
	s_or_b64 exec, exec, s[14:15]
	v_mov_b32_e32 v6, 0
	ds_read_b128 v[202:205], v6 offset:112
	s_waitcnt lgkmcnt(0)
	v_mul_f64 v[6:7], v[4:5], v[204:205]
	v_mul_f64 v[206:207], v[2:3], v[204:205]
	v_fma_f64 v[204:205], v[2:3], v[202:203], -v[6:7]
	v_fmac_f64_e32 v[206:207], v[4:5], v[202:203]
	scratch_store_dwordx4 off, v[204:207], off offset:112
.LBB127_925:
	s_or_b64 exec, exec, s[12:13]
	scratch_load_dwordx4 v[2:5], v193, off
	v_cmp_gt_u32_e32 vcc, 8, v0
	s_waitcnt vmcnt(0)
	ds_write_b128 v9, v[2:5]
	s_waitcnt lgkmcnt(0)
	; wave barrier
	s_waitcnt lgkmcnt(0)
	s_and_saveexec_b64 s[12:13], vcc
	s_cbranch_execz .LBB127_933
; %bb.926:
	ds_read_b128 v[2:5], v9
	s_and_b64 vcc, exec, s[0:1]
	s_cbranch_vccnz .LBB127_928
; %bb.927:
	scratch_load_dwordx4 v[202:205], v8, off
	s_waitcnt vmcnt(0) lgkmcnt(0)
	v_mul_f64 v[10:11], v[2:3], v[204:205]
	v_mul_f64 v[6:7], v[4:5], v[204:205]
	v_fmac_f64_e32 v[10:11], v[4:5], v[202:203]
	v_fma_f64 v[2:3], v[2:3], v[202:203], -v[6:7]
	v_mov_b64_e32 v[4:5], v[10:11]
.LBB127_928:
	v_cmp_ne_u32_e32 vcc, 7, v0
	s_and_saveexec_b64 s[14:15], vcc
	s_cbranch_execz .LBB127_932
; %bb.929:
	v_mov_b32_e32 v7, 0
	v_add_u32_e32 v6, 0x410, v112
	v_add3_u32 v7, v112, v7, 24
	s_mov_b64 s[16:17], 0
	v_mov_b32_e32 v201, v0
.LBB127_930:                            ; =>This Inner Loop Header: Depth=1
	v_add_u32_e32 v10, -8, v7
	scratch_load_dwordx4 v[202:205], v10, off
	ds_read_b128 v[206:209], v6
	v_add_u32_e32 v201, 1, v201
	v_cmp_lt_u32_e32 vcc, 6, v201
	v_add_u32_e32 v6, 16, v6
	v_add_u32_e32 v7, 16, v7
	s_or_b64 s[16:17], vcc, s[16:17]
	s_waitcnt vmcnt(0) lgkmcnt(0)
	v_mul_f64 v[10:11], v[208:209], v[204:205]
	v_mul_f64 v[24:25], v[206:207], v[204:205]
	v_fma_f64 v[10:11], v[206:207], v[202:203], -v[10:11]
	v_fmac_f64_e32 v[24:25], v[208:209], v[202:203]
	v_add_f64 v[2:3], v[2:3], v[10:11]
	v_add_f64 v[4:5], v[4:5], v[24:25]
	s_andn2_b64 exec, exec, s[16:17]
	s_cbranch_execnz .LBB127_930
; %bb.931:
	s_or_b64 exec, exec, s[16:17]
.LBB127_932:
	s_or_b64 exec, exec, s[14:15]
	v_mov_b32_e32 v6, 0
	ds_read_b128 v[202:205], v6 offset:128
	s_waitcnt lgkmcnt(0)
	v_mul_f64 v[6:7], v[4:5], v[204:205]
	v_mul_f64 v[206:207], v[2:3], v[204:205]
	v_fma_f64 v[204:205], v[2:3], v[202:203], -v[6:7]
	v_fmac_f64_e32 v[206:207], v[4:5], v[202:203]
	scratch_store_dwordx4 off, v[204:207], off offset:128
.LBB127_933:
	s_or_b64 exec, exec, s[12:13]
	scratch_load_dwordx4 v[2:5], v192, off
	v_cmp_gt_u32_e32 vcc, 9, v0
	s_waitcnt vmcnt(0)
	ds_write_b128 v9, v[2:5]
	s_waitcnt lgkmcnt(0)
	; wave barrier
	s_waitcnt lgkmcnt(0)
	s_and_saveexec_b64 s[12:13], vcc
	s_cbranch_execz .LBB127_953
; %bb.934:
	ds_read_b128 v[2:5], v9
	s_and_b64 vcc, exec, s[0:1]
	s_cbranch_vccnz .LBB127_936
; %bb.935:
	scratch_load_dwordx4 v[202:205], v8, off
	s_waitcnt vmcnt(0) lgkmcnt(0)
	v_mul_f64 v[10:11], v[2:3], v[204:205]
	v_mul_f64 v[6:7], v[4:5], v[204:205]
	v_fmac_f64_e32 v[10:11], v[4:5], v[202:203]
	v_fma_f64 v[2:3], v[2:3], v[202:203], -v[6:7]
	v_mov_b64_e32 v[4:5], v[10:11]
.LBB127_936:
	v_cmp_ne_u32_e32 vcc, 8, v0
	s_and_saveexec_b64 s[14:15], vcc
	s_cbranch_execz .LBB127_952
; %bb.937:
	scratch_load_dwordx4 v[202:205], v8, off offset:16
	ds_read_b128 v[206:209], v9 offset:16
	s_waitcnt vmcnt(0) lgkmcnt(0)
	v_mul_f64 v[6:7], v[208:209], v[204:205]
	v_mul_f64 v[10:11], v[206:207], v[204:205]
	v_fma_f64 v[6:7], v[206:207], v[202:203], -v[6:7]
	v_fmac_f64_e32 v[10:11], v[208:209], v[202:203]
	v_add_f64 v[2:3], v[2:3], v[6:7]
	v_add_f64 v[4:5], v[4:5], v[10:11]
	s_and_saveexec_b64 s[16:17], s[8:9]
	s_cbranch_execz .LBB127_951
; %bb.938:
	scratch_load_dwordx4 v[202:205], v8, off offset:32
	ds_read_b128 v[206:209], v9 offset:32
	v_cmp_ne_u32_e32 vcc, 6, v0
	s_waitcnt vmcnt(0) lgkmcnt(0)
	v_mul_f64 v[6:7], v[208:209], v[204:205]
	v_mul_f64 v[10:11], v[206:207], v[204:205]
	v_fma_f64 v[6:7], v[206:207], v[202:203], -v[6:7]
	v_fmac_f64_e32 v[10:11], v[208:209], v[202:203]
	v_add_f64 v[2:3], v[2:3], v[6:7]
	v_add_f64 v[4:5], v[4:5], v[10:11]
	s_and_saveexec_b64 s[8:9], vcc
	s_cbranch_execz .LBB127_950
; %bb.939:
	scratch_load_dwordx4 v[202:205], v8, off offset:48
	ds_read_b128 v[206:209], v9 offset:48
	s_waitcnt vmcnt(0) lgkmcnt(0)
	v_mul_f64 v[6:7], v[208:209], v[204:205]
	v_mul_f64 v[10:11], v[206:207], v[204:205]
	v_fma_f64 v[6:7], v[206:207], v[202:203], -v[6:7]
	v_fmac_f64_e32 v[10:11], v[208:209], v[202:203]
	v_add_f64 v[2:3], v[2:3], v[6:7]
	v_add_f64 v[4:5], v[4:5], v[10:11]
	s_and_saveexec_b64 s[18:19], s[6:7]
	s_cbranch_execz .LBB127_949
; %bb.940:
	scratch_load_dwordx4 v[202:205], v8, off offset:64
	ds_read_b128 v[206:209], v9 offset:64
	v_cmp_ne_u32_e32 vcc, 4, v0
	s_waitcnt vmcnt(0) lgkmcnt(0)
	v_mul_f64 v[6:7], v[208:209], v[204:205]
	v_mul_f64 v[10:11], v[206:207], v[204:205]
	v_fma_f64 v[6:7], v[206:207], v[202:203], -v[6:7]
	v_fmac_f64_e32 v[10:11], v[208:209], v[202:203]
	v_add_f64 v[2:3], v[2:3], v[6:7]
	v_add_f64 v[4:5], v[4:5], v[10:11]
	s_and_saveexec_b64 s[6:7], vcc
	s_cbranch_execz .LBB127_948
; %bb.941:
	scratch_load_dwordx4 v[202:205], v8, off offset:80
	ds_read_b128 v[206:209], v9 offset:80
	s_waitcnt vmcnt(0) lgkmcnt(0)
	v_mul_f64 v[6:7], v[208:209], v[204:205]
	v_mul_f64 v[10:11], v[206:207], v[204:205]
	v_fma_f64 v[6:7], v[206:207], v[202:203], -v[6:7]
	v_fmac_f64_e32 v[10:11], v[208:209], v[202:203]
	v_add_f64 v[2:3], v[2:3], v[6:7]
	v_add_f64 v[4:5], v[4:5], v[10:11]
	s_and_saveexec_b64 s[20:21], s[4:5]
	s_cbranch_execz .LBB127_947
; %bb.942:
	scratch_load_dwordx4 v[202:205], v8, off offset:96
	ds_read_b128 v[206:209], v9 offset:96
	v_cmp_ne_u32_e32 vcc, 2, v0
	s_waitcnt vmcnt(0) lgkmcnt(0)
	v_mul_f64 v[6:7], v[208:209], v[204:205]
	v_mul_f64 v[10:11], v[206:207], v[204:205]
	v_fma_f64 v[6:7], v[206:207], v[202:203], -v[6:7]
	v_fmac_f64_e32 v[10:11], v[208:209], v[202:203]
	v_add_f64 v[2:3], v[2:3], v[6:7]
	v_add_f64 v[4:5], v[4:5], v[10:11]
	s_and_saveexec_b64 s[4:5], vcc
	s_cbranch_execz .LBB127_946
; %bb.943:
	scratch_load_dwordx4 v[202:205], v8, off offset:112
	ds_read_b128 v[206:209], v9 offset:112
	s_waitcnt vmcnt(0) lgkmcnt(0)
	v_mul_f64 v[6:7], v[208:209], v[204:205]
	v_mul_f64 v[10:11], v[206:207], v[204:205]
	v_fma_f64 v[6:7], v[206:207], v[202:203], -v[6:7]
	v_fmac_f64_e32 v[10:11], v[208:209], v[202:203]
	v_add_f64 v[2:3], v[2:3], v[6:7]
	v_add_f64 v[4:5], v[4:5], v[10:11]
	s_and_saveexec_b64 s[22:23], s[2:3]
	s_cbranch_execz .LBB127_945
; %bb.944:
	scratch_load_dwordx4 v[202:205], v8, off offset:128
	ds_read_b128 v[206:209], v9 offset:128
	s_waitcnt vmcnt(0) lgkmcnt(0)
	v_mul_f64 v[6:7], v[208:209], v[204:205]
	v_mul_f64 v[10:11], v[206:207], v[204:205]
	v_fma_f64 v[6:7], v[206:207], v[202:203], -v[6:7]
	v_fmac_f64_e32 v[10:11], v[208:209], v[202:203]
	v_add_f64 v[2:3], v[2:3], v[6:7]
	v_add_f64 v[4:5], v[4:5], v[10:11]
.LBB127_945:
	s_or_b64 exec, exec, s[22:23]
.LBB127_946:
	s_or_b64 exec, exec, s[4:5]
.LBB127_947:
	s_or_b64 exec, exec, s[20:21]
.LBB127_948:
	s_or_b64 exec, exec, s[6:7]
.LBB127_949:
	s_or_b64 exec, exec, s[18:19]
.LBB127_950:
	s_or_b64 exec, exec, s[8:9]
.LBB127_951:
	s_or_b64 exec, exec, s[16:17]
.LBB127_952:
	s_or_b64 exec, exec, s[14:15]
	v_mov_b32_e32 v6, 0
	ds_read_b128 v[202:205], v6 offset:144
	s_waitcnt lgkmcnt(0)
	v_mul_f64 v[6:7], v[4:5], v[204:205]
	v_mul_f64 v[206:207], v[2:3], v[204:205]
	v_fma_f64 v[204:205], v[2:3], v[202:203], -v[6:7]
	v_fmac_f64_e32 v[206:207], v[4:5], v[202:203]
	scratch_store_dwordx4 off, v[204:207], off offset:144
.LBB127_953:
	s_or_b64 exec, exec, s[12:13]
	scratch_load_dwordx4 v[2:5], v191, off
	v_cmp_gt_u32_e32 vcc, 10, v0
	s_waitcnt vmcnt(0)
	ds_write_b128 v9, v[2:5]
	s_waitcnt lgkmcnt(0)
	; wave barrier
	s_waitcnt lgkmcnt(0)
	s_and_saveexec_b64 s[2:3], vcc
	s_cbranch_execz .LBB127_961
; %bb.954:
	ds_read_b128 v[2:5], v9
	s_and_b64 vcc, exec, s[0:1]
	s_cbranch_vccnz .LBB127_956
; %bb.955:
	scratch_load_dwordx4 v[202:205], v8, off
	s_waitcnt vmcnt(0) lgkmcnt(0)
	v_mul_f64 v[10:11], v[2:3], v[204:205]
	v_mul_f64 v[6:7], v[4:5], v[204:205]
	v_fmac_f64_e32 v[10:11], v[4:5], v[202:203]
	v_fma_f64 v[2:3], v[2:3], v[202:203], -v[6:7]
	v_mov_b64_e32 v[4:5], v[10:11]
.LBB127_956:
	v_cmp_ne_u32_e32 vcc, 9, v0
	s_and_saveexec_b64 s[4:5], vcc
	s_cbranch_execz .LBB127_960
; %bb.957:
	v_mov_b32_e32 v7, 0
	v_add_u32_e32 v6, 0x410, v112
	v_add3_u32 v7, v112, v7, 24
	s_mov_b64 s[6:7], 0
	v_mov_b32_e32 v201, v0
.LBB127_958:                            ; =>This Inner Loop Header: Depth=1
	v_add_u32_e32 v10, -8, v7
	scratch_load_dwordx4 v[202:205], v10, off
	ds_read_b128 v[206:209], v6
	v_add_u32_e32 v201, 1, v201
	v_cmp_lt_u32_e32 vcc, 8, v201
	v_add_u32_e32 v6, 16, v6
	v_add_u32_e32 v7, 16, v7
	s_or_b64 s[6:7], vcc, s[6:7]
	s_waitcnt vmcnt(0) lgkmcnt(0)
	v_mul_f64 v[10:11], v[208:209], v[204:205]
	v_mul_f64 v[24:25], v[206:207], v[204:205]
	v_fma_f64 v[10:11], v[206:207], v[202:203], -v[10:11]
	v_fmac_f64_e32 v[24:25], v[208:209], v[202:203]
	v_add_f64 v[2:3], v[2:3], v[10:11]
	v_add_f64 v[4:5], v[4:5], v[24:25]
	s_andn2_b64 exec, exec, s[6:7]
	s_cbranch_execnz .LBB127_958
; %bb.959:
	s_or_b64 exec, exec, s[6:7]
.LBB127_960:
	s_or_b64 exec, exec, s[4:5]
	v_mov_b32_e32 v6, 0
	ds_read_b128 v[202:205], v6 offset:160
	s_waitcnt lgkmcnt(0)
	v_mul_f64 v[6:7], v[4:5], v[204:205]
	v_mul_f64 v[206:207], v[2:3], v[204:205]
	v_fma_f64 v[204:205], v[2:3], v[202:203], -v[6:7]
	v_fmac_f64_e32 v[206:207], v[4:5], v[202:203]
	scratch_store_dwordx4 off, v[204:207], off offset:160
.LBB127_961:
	s_or_b64 exec, exec, s[2:3]
	scratch_load_dwordx4 v[2:5], v190, off
	v_cmp_gt_u32_e32 vcc, 11, v0
	s_waitcnt vmcnt(0)
	ds_write_b128 v9, v[2:5]
	s_waitcnt lgkmcnt(0)
	; wave barrier
	s_waitcnt lgkmcnt(0)
	s_and_saveexec_b64 s[2:3], vcc
	s_cbranch_execz .LBB127_969
; %bb.962:
	ds_read_b128 v[2:5], v9
	s_and_b64 vcc, exec, s[0:1]
	s_cbranch_vccnz .LBB127_964
; %bb.963:
	scratch_load_dwordx4 v[202:205], v8, off
	s_waitcnt vmcnt(0) lgkmcnt(0)
	v_mul_f64 v[10:11], v[2:3], v[204:205]
	v_mul_f64 v[6:7], v[4:5], v[204:205]
	v_fmac_f64_e32 v[10:11], v[4:5], v[202:203]
	v_fma_f64 v[2:3], v[2:3], v[202:203], -v[6:7]
	v_mov_b64_e32 v[4:5], v[10:11]
.LBB127_964:
	v_cmp_ne_u32_e32 vcc, 10, v0
	s_and_saveexec_b64 s[4:5], vcc
	s_cbranch_execz .LBB127_968
; %bb.965:
	v_mov_b32_e32 v7, 0
	v_add_u32_e32 v6, 0x410, v112
	v_add3_u32 v7, v112, v7, 24
	s_mov_b64 s[6:7], 0
	v_mov_b32_e32 v201, v0
.LBB127_966:                            ; =>This Inner Loop Header: Depth=1
	v_add_u32_e32 v10, -8, v7
	scratch_load_dwordx4 v[202:205], v10, off
	ds_read_b128 v[206:209], v6
	v_add_u32_e32 v201, 1, v201
	v_cmp_lt_u32_e32 vcc, 9, v201
	v_add_u32_e32 v6, 16, v6
	v_add_u32_e32 v7, 16, v7
	s_or_b64 s[6:7], vcc, s[6:7]
	s_waitcnt vmcnt(0) lgkmcnt(0)
	v_mul_f64 v[10:11], v[208:209], v[204:205]
	v_mul_f64 v[24:25], v[206:207], v[204:205]
	v_fma_f64 v[10:11], v[206:207], v[202:203], -v[10:11]
	v_fmac_f64_e32 v[24:25], v[208:209], v[202:203]
	v_add_f64 v[2:3], v[2:3], v[10:11]
	v_add_f64 v[4:5], v[4:5], v[24:25]
	s_andn2_b64 exec, exec, s[6:7]
	s_cbranch_execnz .LBB127_966
; %bb.967:
	s_or_b64 exec, exec, s[6:7]
.LBB127_968:
	s_or_b64 exec, exec, s[4:5]
	v_mov_b32_e32 v6, 0
	ds_read_b128 v[202:205], v6 offset:176
	s_waitcnt lgkmcnt(0)
	v_mul_f64 v[6:7], v[4:5], v[204:205]
	v_mul_f64 v[206:207], v[2:3], v[204:205]
	v_fma_f64 v[204:205], v[2:3], v[202:203], -v[6:7]
	v_fmac_f64_e32 v[206:207], v[4:5], v[202:203]
	scratch_store_dwordx4 off, v[204:207], off offset:176
.LBB127_969:
	;; [unrolled: 63-line block ×6, first 2 shown]
	s_or_b64 exec, exec, s[2:3]
	scratch_load_dwordx4 v[2:5], v185, off
	v_cmp_gt_u32_e32 vcc, 16, v0
	s_waitcnt vmcnt(0)
	ds_write_b128 v9, v[2:5]
	s_waitcnt lgkmcnt(0)
	; wave barrier
	s_waitcnt lgkmcnt(0)
	s_and_saveexec_b64 s[2:3], vcc
	s_cbranch_execz .LBB127_1009
; %bb.1002:
	ds_read_b128 v[2:5], v9
	s_and_b64 vcc, exec, s[0:1]
	s_cbranch_vccnz .LBB127_1004
; %bb.1003:
	scratch_load_dwordx4 v[202:205], v8, off
	s_waitcnt vmcnt(0) lgkmcnt(0)
	v_mul_f64 v[10:11], v[2:3], v[204:205]
	v_mul_f64 v[6:7], v[4:5], v[204:205]
	v_fmac_f64_e32 v[10:11], v[4:5], v[202:203]
	v_fma_f64 v[2:3], v[2:3], v[202:203], -v[6:7]
	v_mov_b64_e32 v[4:5], v[10:11]
.LBB127_1004:
	v_cmp_ne_u32_e32 vcc, 15, v0
	s_and_saveexec_b64 s[4:5], vcc
	s_cbranch_execz .LBB127_1008
; %bb.1005:
	v_mov_b32_e32 v7, 0
	v_add_u32_e32 v6, 0x410, v112
	v_add3_u32 v7, v112, v7, 24
	s_mov_b64 s[6:7], 0
	v_mov_b32_e32 v201, v0
.LBB127_1006:                           ; =>This Inner Loop Header: Depth=1
	v_add_u32_e32 v10, -8, v7
	scratch_load_dwordx4 v[202:205], v10, off
	ds_read_b128 v[206:209], v6
	v_add_u32_e32 v201, 1, v201
	v_cmp_lt_u32_e32 vcc, 14, v201
	v_add_u32_e32 v6, 16, v6
	v_add_u32_e32 v7, 16, v7
	s_or_b64 s[6:7], vcc, s[6:7]
	s_waitcnt vmcnt(0) lgkmcnt(0)
	v_mul_f64 v[10:11], v[208:209], v[204:205]
	v_mul_f64 v[24:25], v[206:207], v[204:205]
	v_fma_f64 v[10:11], v[206:207], v[202:203], -v[10:11]
	v_fmac_f64_e32 v[24:25], v[208:209], v[202:203]
	v_add_f64 v[2:3], v[2:3], v[10:11]
	v_add_f64 v[4:5], v[4:5], v[24:25]
	s_andn2_b64 exec, exec, s[6:7]
	s_cbranch_execnz .LBB127_1006
; %bb.1007:
	s_or_b64 exec, exec, s[6:7]
.LBB127_1008:
	s_or_b64 exec, exec, s[4:5]
	v_mov_b32_e32 v6, 0
	ds_read_b128 v[202:205], v6 offset:256
	s_waitcnt lgkmcnt(0)
	v_mul_f64 v[6:7], v[4:5], v[204:205]
	v_mul_f64 v[206:207], v[2:3], v[204:205]
	v_fma_f64 v[204:205], v[2:3], v[202:203], -v[6:7]
	v_fmac_f64_e32 v[206:207], v[4:5], v[202:203]
	scratch_store_dwordx4 off, v[204:207], off offset:256
.LBB127_1009:
	s_or_b64 exec, exec, s[2:3]
	scratch_load_dwordx4 v[2:5], v184, off
	v_cmp_gt_u32_e32 vcc, 17, v0
	s_waitcnt vmcnt(0)
	ds_write_b128 v9, v[2:5]
	s_waitcnt lgkmcnt(0)
	; wave barrier
	s_waitcnt lgkmcnt(0)
	s_and_saveexec_b64 s[2:3], vcc
	s_cbranch_execz .LBB127_1017
; %bb.1010:
	ds_read_b128 v[2:5], v9
	s_and_b64 vcc, exec, s[0:1]
	s_cbranch_vccnz .LBB127_1012
; %bb.1011:
	scratch_load_dwordx4 v[202:205], v8, off
	s_waitcnt vmcnt(0) lgkmcnt(0)
	v_mul_f64 v[10:11], v[2:3], v[204:205]
	v_mul_f64 v[6:7], v[4:5], v[204:205]
	v_fmac_f64_e32 v[10:11], v[4:5], v[202:203]
	v_fma_f64 v[2:3], v[2:3], v[202:203], -v[6:7]
	v_mov_b64_e32 v[4:5], v[10:11]
.LBB127_1012:
	v_cmp_ne_u32_e32 vcc, 16, v0
	s_and_saveexec_b64 s[4:5], vcc
	s_cbranch_execz .LBB127_1016
; %bb.1013:
	v_mov_b32_e32 v7, 0
	v_add_u32_e32 v6, 0x410, v112
	v_add3_u32 v7, v112, v7, 24
	s_mov_b64 s[6:7], 0
	v_mov_b32_e32 v201, v0
.LBB127_1014:                           ; =>This Inner Loop Header: Depth=1
	v_add_u32_e32 v10, -8, v7
	scratch_load_dwordx4 v[202:205], v10, off
	ds_read_b128 v[206:209], v6
	v_add_u32_e32 v201, 1, v201
	v_cmp_lt_u32_e32 vcc, 15, v201
	v_add_u32_e32 v6, 16, v6
	v_add_u32_e32 v7, 16, v7
	s_or_b64 s[6:7], vcc, s[6:7]
	s_waitcnt vmcnt(0) lgkmcnt(0)
	v_mul_f64 v[10:11], v[208:209], v[204:205]
	v_mul_f64 v[24:25], v[206:207], v[204:205]
	v_fma_f64 v[10:11], v[206:207], v[202:203], -v[10:11]
	v_fmac_f64_e32 v[24:25], v[208:209], v[202:203]
	v_add_f64 v[2:3], v[2:3], v[10:11]
	v_add_f64 v[4:5], v[4:5], v[24:25]
	s_andn2_b64 exec, exec, s[6:7]
	s_cbranch_execnz .LBB127_1014
; %bb.1015:
	s_or_b64 exec, exec, s[6:7]
.LBB127_1016:
	s_or_b64 exec, exec, s[4:5]
	v_mov_b32_e32 v6, 0
	ds_read_b128 v[202:205], v6 offset:272
	s_waitcnt lgkmcnt(0)
	v_mul_f64 v[6:7], v[4:5], v[204:205]
	v_mul_f64 v[206:207], v[2:3], v[204:205]
	v_fma_f64 v[204:205], v[2:3], v[202:203], -v[6:7]
	v_fmac_f64_e32 v[206:207], v[4:5], v[202:203]
	scratch_store_dwordx4 off, v[204:207], off offset:272
.LBB127_1017:
	;; [unrolled: 63-line block ×46, first 2 shown]
	s_or_b64 exec, exec, s[2:3]
	scratch_load_dwordx4 v[2:5], v50, off
	v_cmp_gt_u32_e64 s[2:3], 62, v0
	s_waitcnt vmcnt(0)
	ds_write_b128 v9, v[2:5]
	s_waitcnt lgkmcnt(0)
	; wave barrier
	s_waitcnt lgkmcnt(0)
	s_and_saveexec_b64 s[4:5], s[2:3]
	s_cbranch_execz .LBB127_1377
; %bb.1370:
	ds_read_b128 v[2:5], v9
	s_and_b64 vcc, exec, s[0:1]
	s_cbranch_vccnz .LBB127_1372
; %bb.1371:
	scratch_load_dwordx4 v[202:205], v8, off
	s_waitcnt vmcnt(0) lgkmcnt(0)
	v_mul_f64 v[10:11], v[2:3], v[204:205]
	v_mul_f64 v[6:7], v[4:5], v[204:205]
	v_fmac_f64_e32 v[10:11], v[4:5], v[202:203]
	v_fma_f64 v[2:3], v[2:3], v[202:203], -v[6:7]
	v_mov_b64_e32 v[4:5], v[10:11]
.LBB127_1372:
	v_cmp_ne_u32_e32 vcc, 61, v0
	s_and_saveexec_b64 s[6:7], vcc
	s_cbranch_execz .LBB127_1376
; %bb.1373:
	v_mov_b32_e32 v7, 0
	v_add_u32_e32 v6, 0x410, v112
	v_add3_u32 v7, v112, v7, 24
	s_mov_b64 s[8:9], 0
	v_mov_b32_e32 v201, v0
.LBB127_1374:                           ; =>This Inner Loop Header: Depth=1
	v_add_u32_e32 v10, -8, v7
	scratch_load_dwordx4 v[202:205], v10, off
	ds_read_b128 v[206:209], v6
	v_add_u32_e32 v201, 1, v201
	v_cmp_lt_u32_e32 vcc, 60, v201
	v_add_u32_e32 v6, 16, v6
	v_add_u32_e32 v7, 16, v7
	s_or_b64 s[8:9], vcc, s[8:9]
	s_waitcnt vmcnt(0) lgkmcnt(0)
	v_mul_f64 v[10:11], v[208:209], v[204:205]
	v_mul_f64 v[24:25], v[206:207], v[204:205]
	v_fma_f64 v[10:11], v[206:207], v[202:203], -v[10:11]
	v_fmac_f64_e32 v[24:25], v[208:209], v[202:203]
	v_add_f64 v[2:3], v[2:3], v[10:11]
	v_add_f64 v[4:5], v[4:5], v[24:25]
	s_andn2_b64 exec, exec, s[8:9]
	s_cbranch_execnz .LBB127_1374
; %bb.1375:
	s_or_b64 exec, exec, s[8:9]
.LBB127_1376:
	s_or_b64 exec, exec, s[6:7]
	v_mov_b32_e32 v6, 0
	ds_read_b128 v[202:205], v6 offset:992
	s_waitcnt lgkmcnt(0)
	v_mul_f64 v[6:7], v[4:5], v[204:205]
	v_mul_f64 v[206:207], v[2:3], v[204:205]
	v_fma_f64 v[204:205], v[2:3], v[202:203], -v[6:7]
	v_fmac_f64_e32 v[206:207], v[4:5], v[202:203]
	scratch_store_dwordx4 off, v[204:207], off offset:992
.LBB127_1377:
	s_or_b64 exec, exec, s[4:5]
	scratch_load_dwordx4 v[2:5], v1, off
	v_cmp_ne_u32_e32 vcc, 63, v0
                                        ; implicit-def: $vgpr6_vgpr7
                                        ; implicit-def: $vgpr201
	s_waitcnt vmcnt(0)
	ds_write_b128 v9, v[2:5]
	s_waitcnt lgkmcnt(0)
	; wave barrier
	s_waitcnt lgkmcnt(0)
	s_and_saveexec_b64 s[4:5], vcc
	s_cbranch_execz .LBB127_1385
; %bb.1378:
	ds_read_b128 v[2:5], v9
	s_and_b64 vcc, exec, s[0:1]
	s_cbranch_vccnz .LBB127_1380
; %bb.1379:
	scratch_load_dwordx4 v[6:9], v8, off
	s_waitcnt vmcnt(0) lgkmcnt(0)
	v_mul_f64 v[10:11], v[4:5], v[8:9]
	v_mul_f64 v[8:9], v[2:3], v[8:9]
	v_fmac_f64_e32 v[8:9], v[4:5], v[6:7]
	v_fma_f64 v[2:3], v[2:3], v[6:7], -v[10:11]
	v_mov_b64_e32 v[4:5], v[8:9]
.LBB127_1380:
	s_and_saveexec_b64 s[0:1], s[2:3]
	s_cbranch_execz .LBB127_1384
; %bb.1381:
	v_mov_b32_e32 v7, 0
	v_add_u32_e32 v6, 0x410, v112
	v_add3_u32 v7, v112, v7, 24
	s_mov_b64 s[2:3], 0
.LBB127_1382:                           ; =>This Inner Loop Header: Depth=1
	v_add_u32_e32 v8, -8, v7
	scratch_load_dwordx4 v[202:205], v8, off
	ds_read_b128 v[206:209], v6
	v_add_u32_e32 v0, 1, v0
	v_cmp_lt_u32_e32 vcc, 61, v0
	v_add_u32_e32 v6, 16, v6
	v_add_u32_e32 v7, 16, v7
	s_or_b64 s[2:3], vcc, s[2:3]
	s_waitcnt vmcnt(0) lgkmcnt(0)
	v_mul_f64 v[8:9], v[208:209], v[204:205]
	v_mul_f64 v[10:11], v[206:207], v[204:205]
	v_fma_f64 v[8:9], v[206:207], v[202:203], -v[8:9]
	v_fmac_f64_e32 v[10:11], v[208:209], v[202:203]
	v_add_f64 v[2:3], v[2:3], v[8:9]
	v_add_f64 v[4:5], v[4:5], v[10:11]
	s_andn2_b64 exec, exec, s[2:3]
	s_cbranch_execnz .LBB127_1382
; %bb.1383:
	s_or_b64 exec, exec, s[2:3]
.LBB127_1384:
	s_or_b64 exec, exec, s[0:1]
	v_mov_b32_e32 v0, 0
	ds_read_b128 v[202:205], v0 offset:1008
	v_mov_b32_e32 v0, 0
	v_add_u32_e32 v201, 0x3f8, v0
	s_or_b64 s[10:11], s[10:11], exec
	s_waitcnt lgkmcnt(0)
	v_mul_f64 v[8:9], v[4:5], v[204:205]
	v_mul_f64 v[6:7], v[2:3], v[204:205]
	v_fma_f64 v[2:3], v[2:3], v[202:203], -v[8:9]
	v_fmac_f64_e32 v[6:7], v[4:5], v[202:203]
	scratch_store_dwordx2 off, v[2:3], off offset:1008
.LBB127_1385:
	s_or_b64 exec, exec, s[4:5]
.LBB127_1386:
	v_mov_b32_e32 v10, v149
	v_mov_b32_e32 v25, v148
	;; [unrolled: 1-line block ×5, first 2 shown]
	v_accvgpr_write_b32 a8, v144
	v_mov_b32_e32 v112, v143
	v_mov_b32_e32 v0, v142
	s_and_saveexec_b64 s[0:1], s[10:11]
	s_cbranch_execz .LBB127_1388
; %bb.1387:
	scratch_store_dwordx2 v201, v[6:7], off
.LBB127_1388:
	s_or_b64 exec, exec, s[0:1]
	scratch_load_dwordx4 v[2:5], off, off
	scratch_load_dwordx4 v[6:9], v200, off
	s_nop 0
	scratch_load_dwordx4 v[200:203], v199, off
	scratch_load_dwordx4 v[204:207], v198, off
	scratch_load_dwordx4 v[208:211], v197, off
	s_nop 0
	scratch_load_dwordx4 v[196:199], v196, off
	s_nop 0
	scratch_load_dwordx4 v[212:215], v195, off
	scratch_load_dwordx4 v[216:219], v194, off
	scratch_load_dwordx4 v[220:223], v193, off
	s_nop 0
	;; [unrolled: 6-line block ×4, first 2 shown]
	scratch_load_dwordx4 v[184:187], v184, off
	s_nop 0
	scratch_load_dwordx4 v[248:251], v183, off
	scratch_load_dwordx4 v[252:255], v182, off
	s_waitcnt vmcnt(19)
	global_store_dwordx4 v[22:23], v[2:5], off
	scratch_load_dwordx4 v[2:5], v181, off
	s_nop 0
	scratch_load_dwordx4 v[180:183], v180, off
	s_waitcnt vmcnt(21)
	global_store_dwordx4 v[20:21], v[6:9], off
	scratch_load_dwordx4 v[6:9], v179, off
	s_nop 0
	;; [unrolled: 5-line block ×19, first 2 shown]
	scratch_load_dwordx4 v[28:31], v28, off
	s_waitcnt vmcnt(57)
	global_store_dwordx4 v[36:37], v[252:255], off
	s_waitcnt vmcnt(56)
	global_store_dwordx4 v[34:35], v[2:5], off
	;; [unrolled: 2-line block ×3, first 2 shown]
	v_accvgpr_read_b32 v2, a8
	scratch_load_dwordx4 v[2:5], v2, off
	s_nop 0
	scratch_load_dwordx4 v[32:35], v112, off
	scratch_load_dwordx4 v[180:183], v0, off
	;; [unrolled: 1-line block ×4, first 2 shown]
	s_nop 0
	scratch_load_dwordx4 v[48:51], v1, off
	v_accvgpr_read_b32 v0, a2
	v_accvgpr_read_b32 v1, a3
	s_waitcnt vmcnt(61)
	global_store_dwordx4 v[0:1], v[6:9], off
	v_accvgpr_read_b32 v0, a4
	v_accvgpr_read_b32 v1, a5
	s_waitcnt vmcnt(61)
	global_store_dwordx4 v[0:1], v[20:23], off
	;; [unrolled: 4-line block ×3, first 2 shown]
	s_waitcnt vmcnt(60)
	global_store_dwordx4 v[18:19], v[176:179], off
	s_waitcnt vmcnt(59)
	global_store_dwordx4 v[54:55], v[14:17], off
	;; [unrolled: 2-line block ×38, first 2 shown]
	v_accvgpr_read_b32 v0, a0
	v_accvgpr_read_b32 v1, a1
	s_waitcnt vmcnt(41)
	global_store_dwordx4 v[0:1], v[48:51], off
.LBB127_1389:
	s_endpgm
	.section	.rodata,"a",@progbits
	.p2align	6, 0x0
	.amdhsa_kernel _ZN9rocsolver6v33100L18trti2_kernel_smallILi64E19rocblas_complex_numIdEPKPS3_EEv13rocblas_fill_17rocblas_diagonal_T1_iil
		.amdhsa_group_segment_fixed_size 2048
		.amdhsa_private_segment_fixed_size 1040
		.amdhsa_kernarg_size 32
		.amdhsa_user_sgpr_count 2
		.amdhsa_user_sgpr_dispatch_ptr 0
		.amdhsa_user_sgpr_queue_ptr 0
		.amdhsa_user_sgpr_kernarg_segment_ptr 1
		.amdhsa_user_sgpr_dispatch_id 0
		.amdhsa_user_sgpr_kernarg_preload_length 0
		.amdhsa_user_sgpr_kernarg_preload_offset 0
		.amdhsa_user_sgpr_private_segment_size 0
		.amdhsa_uses_dynamic_stack 0
		.amdhsa_enable_private_segment 1
		.amdhsa_system_sgpr_workgroup_id_x 1
		.amdhsa_system_sgpr_workgroup_id_y 0
		.amdhsa_system_sgpr_workgroup_id_z 0
		.amdhsa_system_sgpr_workgroup_info 0
		.amdhsa_system_vgpr_workitem_id 0
		.amdhsa_next_free_vgpr 265
		.amdhsa_next_free_sgpr 24
		.amdhsa_accum_offset 256
		.amdhsa_reserve_vcc 1
		.amdhsa_float_round_mode_32 0
		.amdhsa_float_round_mode_16_64 0
		.amdhsa_float_denorm_mode_32 3
		.amdhsa_float_denorm_mode_16_64 3
		.amdhsa_dx10_clamp 1
		.amdhsa_ieee_mode 1
		.amdhsa_fp16_overflow 0
		.amdhsa_tg_split 0
		.amdhsa_exception_fp_ieee_invalid_op 0
		.amdhsa_exception_fp_denorm_src 0
		.amdhsa_exception_fp_ieee_div_zero 0
		.amdhsa_exception_fp_ieee_overflow 0
		.amdhsa_exception_fp_ieee_underflow 0
		.amdhsa_exception_fp_ieee_inexact 0
		.amdhsa_exception_int_div_zero 0
	.end_amdhsa_kernel
	.section	.text._ZN9rocsolver6v33100L18trti2_kernel_smallILi64E19rocblas_complex_numIdEPKPS3_EEv13rocblas_fill_17rocblas_diagonal_T1_iil,"axG",@progbits,_ZN9rocsolver6v33100L18trti2_kernel_smallILi64E19rocblas_complex_numIdEPKPS3_EEv13rocblas_fill_17rocblas_diagonal_T1_iil,comdat
.Lfunc_end127:
	.size	_ZN9rocsolver6v33100L18trti2_kernel_smallILi64E19rocblas_complex_numIdEPKPS3_EEv13rocblas_fill_17rocblas_diagonal_T1_iil, .Lfunc_end127-_ZN9rocsolver6v33100L18trti2_kernel_smallILi64E19rocblas_complex_numIdEPKPS3_EEv13rocblas_fill_17rocblas_diagonal_T1_iil
                                        ; -- End function
	.section	.AMDGPU.csdata,"",@progbits
; Kernel info:
; codeLenInByte = 84336
; NumSgprs: 30
; NumVgprs: 256
; NumAgprs: 9
; TotalNumVgprs: 265
; ScratchSize: 1040
; MemoryBound: 0
; FloatMode: 240
; IeeeMode: 1
; LDSByteSize: 2048 bytes/workgroup (compile time only)
; SGPRBlocks: 3
; VGPRBlocks: 33
; NumSGPRsForWavesPerEU: 30
; NumVGPRsForWavesPerEU: 265
; AccumOffset: 256
; Occupancy: 1
; WaveLimiterHint : 1
; COMPUTE_PGM_RSRC2:SCRATCH_EN: 1
; COMPUTE_PGM_RSRC2:USER_SGPR: 2
; COMPUTE_PGM_RSRC2:TRAP_HANDLER: 0
; COMPUTE_PGM_RSRC2:TGID_X_EN: 1
; COMPUTE_PGM_RSRC2:TGID_Y_EN: 0
; COMPUTE_PGM_RSRC2:TGID_Z_EN: 0
; COMPUTE_PGM_RSRC2:TIDIG_COMP_CNT: 0
; COMPUTE_PGM_RSRC3_GFX90A:ACCUM_OFFSET: 63
; COMPUTE_PGM_RSRC3_GFX90A:TG_SPLIT: 0
	.text
	.p2alignl 6, 3212836864
	.fill 256, 4, 3212836864
	.type	__hip_cuid_9f2f4582361fcfeb,@object ; @__hip_cuid_9f2f4582361fcfeb
	.section	.bss,"aw",@nobits
	.globl	__hip_cuid_9f2f4582361fcfeb
__hip_cuid_9f2f4582361fcfeb:
	.byte	0                               ; 0x0
	.size	__hip_cuid_9f2f4582361fcfeb, 1

	.ident	"AMD clang version 19.0.0git (https://github.com/RadeonOpenCompute/llvm-project roc-6.4.0 25133 c7fe45cf4b819c5991fe208aaa96edf142730f1d)"
	.section	".note.GNU-stack","",@progbits
	.addrsig
	.addrsig_sym __hip_cuid_9f2f4582361fcfeb
	.amdgpu_metadata
---
amdhsa.kernels:
  - .agpr_count:     0
    .args:
      - .offset:         0
        .size:           4
        .value_kind:     by_value
      - .offset:         4
        .size:           4
        .value_kind:     by_value
      - .address_space:  global
        .offset:         8
        .size:           8
        .value_kind:     global_buffer
      - .offset:         16
        .size:           4
        .value_kind:     by_value
      - .offset:         20
        .size:           4
        .value_kind:     by_value
      - .offset:         24
        .size:           8
        .value_kind:     by_value
    .group_segment_fixed_size: 0
    .kernarg_segment_align: 8
    .kernarg_segment_size: 32
    .language:       OpenCL C
    .language_version:
      - 2
      - 0
    .max_flat_workgroup_size: 64
    .name:           _ZN9rocsolver6v33100L18trti2_kernel_smallILi1E19rocblas_complex_numIdEPS3_EEv13rocblas_fill_17rocblas_diagonal_T1_iil
    .private_segment_fixed_size: 0
    .sgpr_count:     19
    .sgpr_spill_count: 0
    .symbol:         _ZN9rocsolver6v33100L18trti2_kernel_smallILi1E19rocblas_complex_numIdEPS3_EEv13rocblas_fill_17rocblas_diagonal_T1_iil.kd
    .uniform_work_group_size: 1
    .uses_dynamic_stack: false
    .vgpr_count:     12
    .vgpr_spill_count: 0
    .wavefront_size: 64
  - .agpr_count:     0
    .args:
      - .offset:         0
        .size:           4
        .value_kind:     by_value
      - .offset:         4
        .size:           4
        .value_kind:     by_value
      - .address_space:  global
        .offset:         8
        .size:           8
        .value_kind:     global_buffer
      - .offset:         16
        .size:           4
        .value_kind:     by_value
      - .offset:         20
        .size:           4
        .value_kind:     by_value
      - .offset:         24
        .size:           8
        .value_kind:     by_value
    .group_segment_fixed_size: 64
    .kernarg_segment_align: 8
    .kernarg_segment_size: 32
    .language:       OpenCL C
    .language_version:
      - 2
      - 0
    .max_flat_workgroup_size: 64
    .name:           _ZN9rocsolver6v33100L18trti2_kernel_smallILi2E19rocblas_complex_numIdEPS3_EEv13rocblas_fill_17rocblas_diagonal_T1_iil
    .private_segment_fixed_size: 48
    .sgpr_count:     18
    .sgpr_spill_count: 0
    .symbol:         _ZN9rocsolver6v33100L18trti2_kernel_smallILi2E19rocblas_complex_numIdEPS3_EEv13rocblas_fill_17rocblas_diagonal_T1_iil.kd
    .uniform_work_group_size: 1
    .uses_dynamic_stack: false
    .vgpr_count:     22
    .vgpr_spill_count: 0
    .wavefront_size: 64
  - .agpr_count:     0
    .args:
      - .offset:         0
        .size:           4
        .value_kind:     by_value
      - .offset:         4
        .size:           4
        .value_kind:     by_value
      - .address_space:  global
        .offset:         8
        .size:           8
        .value_kind:     global_buffer
      - .offset:         16
        .size:           4
        .value_kind:     by_value
      - .offset:         20
        .size:           4
        .value_kind:     by_value
      - .offset:         24
        .size:           8
        .value_kind:     by_value
    .group_segment_fixed_size: 96
    .kernarg_segment_align: 8
    .kernarg_segment_size: 32
    .language:       OpenCL C
    .language_version:
      - 2
      - 0
    .max_flat_workgroup_size: 64
    .name:           _ZN9rocsolver6v33100L18trti2_kernel_smallILi3E19rocblas_complex_numIdEPS3_EEv13rocblas_fill_17rocblas_diagonal_T1_iil
    .private_segment_fixed_size: 64
    .sgpr_count:     18
    .sgpr_spill_count: 0
    .symbol:         _ZN9rocsolver6v33100L18trti2_kernel_smallILi3E19rocblas_complex_numIdEPS3_EEv13rocblas_fill_17rocblas_diagonal_T1_iil.kd
    .uniform_work_group_size: 1
    .uses_dynamic_stack: false
    .vgpr_count:     28
    .vgpr_spill_count: 0
    .wavefront_size: 64
  - .agpr_count:     0
    .args:
      - .offset:         0
        .size:           4
        .value_kind:     by_value
      - .offset:         4
        .size:           4
        .value_kind:     by_value
      - .address_space:  global
        .offset:         8
        .size:           8
        .value_kind:     global_buffer
      - .offset:         16
        .size:           4
        .value_kind:     by_value
      - .offset:         20
        .size:           4
        .value_kind:     by_value
      - .offset:         24
        .size:           8
        .value_kind:     by_value
    .group_segment_fixed_size: 128
    .kernarg_segment_align: 8
    .kernarg_segment_size: 32
    .language:       OpenCL C
    .language_version:
      - 2
      - 0
    .max_flat_workgroup_size: 64
    .name:           _ZN9rocsolver6v33100L18trti2_kernel_smallILi4E19rocblas_complex_numIdEPS3_EEv13rocblas_fill_17rocblas_diagonal_T1_iil
    .private_segment_fixed_size: 80
    .sgpr_count:     18
    .sgpr_spill_count: 0
    .symbol:         _ZN9rocsolver6v33100L18trti2_kernel_smallILi4E19rocblas_complex_numIdEPS3_EEv13rocblas_fill_17rocblas_diagonal_T1_iil.kd
    .uniform_work_group_size: 1
    .uses_dynamic_stack: false
    .vgpr_count:     32
    .vgpr_spill_count: 0
    .wavefront_size: 64
  - .agpr_count:     0
    .args:
      - .offset:         0
        .size:           4
        .value_kind:     by_value
      - .offset:         4
        .size:           4
        .value_kind:     by_value
      - .address_space:  global
        .offset:         8
        .size:           8
        .value_kind:     global_buffer
      - .offset:         16
        .size:           4
        .value_kind:     by_value
      - .offset:         20
        .size:           4
        .value_kind:     by_value
      - .offset:         24
        .size:           8
        .value_kind:     by_value
    .group_segment_fixed_size: 160
    .kernarg_segment_align: 8
    .kernarg_segment_size: 32
    .language:       OpenCL C
    .language_version:
      - 2
      - 0
    .max_flat_workgroup_size: 64
    .name:           _ZN9rocsolver6v33100L18trti2_kernel_smallILi5E19rocblas_complex_numIdEPS3_EEv13rocblas_fill_17rocblas_diagonal_T1_iil
    .private_segment_fixed_size: 96
    .sgpr_count:     20
    .sgpr_spill_count: 0
    .symbol:         _ZN9rocsolver6v33100L18trti2_kernel_smallILi5E19rocblas_complex_numIdEPS3_EEv13rocblas_fill_17rocblas_diagonal_T1_iil.kd
    .uniform_work_group_size: 1
    .uses_dynamic_stack: false
    .vgpr_count:     38
    .vgpr_spill_count: 0
    .wavefront_size: 64
  - .agpr_count:     0
    .args:
      - .offset:         0
        .size:           4
        .value_kind:     by_value
      - .offset:         4
        .size:           4
        .value_kind:     by_value
      - .address_space:  global
        .offset:         8
        .size:           8
        .value_kind:     global_buffer
      - .offset:         16
        .size:           4
        .value_kind:     by_value
      - .offset:         20
        .size:           4
        .value_kind:     by_value
      - .offset:         24
        .size:           8
        .value_kind:     by_value
    .group_segment_fixed_size: 192
    .kernarg_segment_align: 8
    .kernarg_segment_size: 32
    .language:       OpenCL C
    .language_version:
      - 2
      - 0
    .max_flat_workgroup_size: 64
    .name:           _ZN9rocsolver6v33100L18trti2_kernel_smallILi6E19rocblas_complex_numIdEPS3_EEv13rocblas_fill_17rocblas_diagonal_T1_iil
    .private_segment_fixed_size: 112
    .sgpr_count:     18
    .sgpr_spill_count: 0
    .symbol:         _ZN9rocsolver6v33100L18trti2_kernel_smallILi6E19rocblas_complex_numIdEPS3_EEv13rocblas_fill_17rocblas_diagonal_T1_iil.kd
    .uniform_work_group_size: 1
    .uses_dynamic_stack: false
    .vgpr_count:     44
    .vgpr_spill_count: 0
    .wavefront_size: 64
  - .agpr_count:     0
    .args:
      - .offset:         0
        .size:           4
        .value_kind:     by_value
      - .offset:         4
        .size:           4
        .value_kind:     by_value
      - .address_space:  global
        .offset:         8
        .size:           8
        .value_kind:     global_buffer
      - .offset:         16
        .size:           4
        .value_kind:     by_value
      - .offset:         20
        .size:           4
        .value_kind:     by_value
      - .offset:         24
        .size:           8
        .value_kind:     by_value
    .group_segment_fixed_size: 224
    .kernarg_segment_align: 8
    .kernarg_segment_size: 32
    .language:       OpenCL C
    .language_version:
      - 2
      - 0
    .max_flat_workgroup_size: 64
    .name:           _ZN9rocsolver6v33100L18trti2_kernel_smallILi7E19rocblas_complex_numIdEPS3_EEv13rocblas_fill_17rocblas_diagonal_T1_iil
    .private_segment_fixed_size: 128
    .sgpr_count:     18
    .sgpr_spill_count: 0
    .symbol:         _ZN9rocsolver6v33100L18trti2_kernel_smallILi7E19rocblas_complex_numIdEPS3_EEv13rocblas_fill_17rocblas_diagonal_T1_iil.kd
    .uniform_work_group_size: 1
    .uses_dynamic_stack: false
    .vgpr_count:     50
    .vgpr_spill_count: 0
    .wavefront_size: 64
  - .agpr_count:     0
    .args:
      - .offset:         0
        .size:           4
        .value_kind:     by_value
      - .offset:         4
        .size:           4
        .value_kind:     by_value
      - .address_space:  global
        .offset:         8
        .size:           8
        .value_kind:     global_buffer
      - .offset:         16
        .size:           4
        .value_kind:     by_value
      - .offset:         20
        .size:           4
        .value_kind:     by_value
      - .offset:         24
        .size:           8
        .value_kind:     by_value
    .group_segment_fixed_size: 256
    .kernarg_segment_align: 8
    .kernarg_segment_size: 32
    .language:       OpenCL C
    .language_version:
      - 2
      - 0
    .max_flat_workgroup_size: 64
    .name:           _ZN9rocsolver6v33100L18trti2_kernel_smallILi8E19rocblas_complex_numIdEPS3_EEv13rocblas_fill_17rocblas_diagonal_T1_iil
    .private_segment_fixed_size: 144
    .sgpr_count:     18
    .sgpr_spill_count: 0
    .symbol:         _ZN9rocsolver6v33100L18trti2_kernel_smallILi8E19rocblas_complex_numIdEPS3_EEv13rocblas_fill_17rocblas_diagonal_T1_iil.kd
    .uniform_work_group_size: 1
    .uses_dynamic_stack: false
    .vgpr_count:     58
    .vgpr_spill_count: 0
    .wavefront_size: 64
  - .agpr_count:     0
    .args:
      - .offset:         0
        .size:           4
        .value_kind:     by_value
      - .offset:         4
        .size:           4
        .value_kind:     by_value
      - .address_space:  global
        .offset:         8
        .size:           8
        .value_kind:     global_buffer
      - .offset:         16
        .size:           4
        .value_kind:     by_value
      - .offset:         20
        .size:           4
        .value_kind:     by_value
      - .offset:         24
        .size:           8
        .value_kind:     by_value
    .group_segment_fixed_size: 288
    .kernarg_segment_align: 8
    .kernarg_segment_size: 32
    .language:       OpenCL C
    .language_version:
      - 2
      - 0
    .max_flat_workgroup_size: 64
    .name:           _ZN9rocsolver6v33100L18trti2_kernel_smallILi9E19rocblas_complex_numIdEPS3_EEv13rocblas_fill_17rocblas_diagonal_T1_iil
    .private_segment_fixed_size: 160
    .sgpr_count:     18
    .sgpr_spill_count: 0
    .symbol:         _ZN9rocsolver6v33100L18trti2_kernel_smallILi9E19rocblas_complex_numIdEPS3_EEv13rocblas_fill_17rocblas_diagonal_T1_iil.kd
    .uniform_work_group_size: 1
    .uses_dynamic_stack: false
    .vgpr_count:     64
    .vgpr_spill_count: 0
    .wavefront_size: 64
  - .agpr_count:     0
    .args:
      - .offset:         0
        .size:           4
        .value_kind:     by_value
      - .offset:         4
        .size:           4
        .value_kind:     by_value
      - .address_space:  global
        .offset:         8
        .size:           8
        .value_kind:     global_buffer
      - .offset:         16
        .size:           4
        .value_kind:     by_value
      - .offset:         20
        .size:           4
        .value_kind:     by_value
      - .offset:         24
        .size:           8
        .value_kind:     by_value
    .group_segment_fixed_size: 320
    .kernarg_segment_align: 8
    .kernarg_segment_size: 32
    .language:       OpenCL C
    .language_version:
      - 2
      - 0
    .max_flat_workgroup_size: 64
    .name:           _ZN9rocsolver6v33100L18trti2_kernel_smallILi10E19rocblas_complex_numIdEPS3_EEv13rocblas_fill_17rocblas_diagonal_T1_iil
    .private_segment_fixed_size: 176
    .sgpr_count:     18
    .sgpr_spill_count: 0
    .symbol:         _ZN9rocsolver6v33100L18trti2_kernel_smallILi10E19rocblas_complex_numIdEPS3_EEv13rocblas_fill_17rocblas_diagonal_T1_iil.kd
    .uniform_work_group_size: 1
    .uses_dynamic_stack: false
    .vgpr_count:     64
    .vgpr_spill_count: 0
    .wavefront_size: 64
  - .agpr_count:     0
    .args:
      - .offset:         0
        .size:           4
        .value_kind:     by_value
      - .offset:         4
        .size:           4
        .value_kind:     by_value
      - .address_space:  global
        .offset:         8
        .size:           8
        .value_kind:     global_buffer
      - .offset:         16
        .size:           4
        .value_kind:     by_value
      - .offset:         20
        .size:           4
        .value_kind:     by_value
      - .offset:         24
        .size:           8
        .value_kind:     by_value
    .group_segment_fixed_size: 352
    .kernarg_segment_align: 8
    .kernarg_segment_size: 32
    .language:       OpenCL C
    .language_version:
      - 2
      - 0
    .max_flat_workgroup_size: 64
    .name:           _ZN9rocsolver6v33100L18trti2_kernel_smallILi11E19rocblas_complex_numIdEPS3_EEv13rocblas_fill_17rocblas_diagonal_T1_iil
    .private_segment_fixed_size: 192
    .sgpr_count:     18
    .sgpr_spill_count: 0
    .symbol:         _ZN9rocsolver6v33100L18trti2_kernel_smallILi11E19rocblas_complex_numIdEPS3_EEv13rocblas_fill_17rocblas_diagonal_T1_iil.kd
    .uniform_work_group_size: 1
    .uses_dynamic_stack: false
    .vgpr_count:     66
    .vgpr_spill_count: 0
    .wavefront_size: 64
  - .agpr_count:     0
    .args:
      - .offset:         0
        .size:           4
        .value_kind:     by_value
      - .offset:         4
        .size:           4
        .value_kind:     by_value
      - .address_space:  global
        .offset:         8
        .size:           8
        .value_kind:     global_buffer
      - .offset:         16
        .size:           4
        .value_kind:     by_value
      - .offset:         20
        .size:           4
        .value_kind:     by_value
      - .offset:         24
        .size:           8
        .value_kind:     by_value
    .group_segment_fixed_size: 384
    .kernarg_segment_align: 8
    .kernarg_segment_size: 32
    .language:       OpenCL C
    .language_version:
      - 2
      - 0
    .max_flat_workgroup_size: 64
    .name:           _ZN9rocsolver6v33100L18trti2_kernel_smallILi12E19rocblas_complex_numIdEPS3_EEv13rocblas_fill_17rocblas_diagonal_T1_iil
    .private_segment_fixed_size: 208
    .sgpr_count:     18
    .sgpr_spill_count: 0
    .symbol:         _ZN9rocsolver6v33100L18trti2_kernel_smallILi12E19rocblas_complex_numIdEPS3_EEv13rocblas_fill_17rocblas_diagonal_T1_iil.kd
    .uniform_work_group_size: 1
    .uses_dynamic_stack: false
    .vgpr_count:     66
    .vgpr_spill_count: 0
    .wavefront_size: 64
  - .agpr_count:     0
    .args:
      - .offset:         0
        .size:           4
        .value_kind:     by_value
      - .offset:         4
        .size:           4
        .value_kind:     by_value
      - .address_space:  global
        .offset:         8
        .size:           8
        .value_kind:     global_buffer
      - .offset:         16
        .size:           4
        .value_kind:     by_value
      - .offset:         20
        .size:           4
        .value_kind:     by_value
      - .offset:         24
        .size:           8
        .value_kind:     by_value
    .group_segment_fixed_size: 416
    .kernarg_segment_align: 8
    .kernarg_segment_size: 32
    .language:       OpenCL C
    .language_version:
      - 2
      - 0
    .max_flat_workgroup_size: 64
    .name:           _ZN9rocsolver6v33100L18trti2_kernel_smallILi13E19rocblas_complex_numIdEPS3_EEv13rocblas_fill_17rocblas_diagonal_T1_iil
    .private_segment_fixed_size: 224
    .sgpr_count:     18
    .sgpr_spill_count: 0
    .symbol:         _ZN9rocsolver6v33100L18trti2_kernel_smallILi13E19rocblas_complex_numIdEPS3_EEv13rocblas_fill_17rocblas_diagonal_T1_iil.kd
    .uniform_work_group_size: 1
    .uses_dynamic_stack: false
    .vgpr_count:     68
    .vgpr_spill_count: 0
    .wavefront_size: 64
  - .agpr_count:     0
    .args:
      - .offset:         0
        .size:           4
        .value_kind:     by_value
      - .offset:         4
        .size:           4
        .value_kind:     by_value
      - .address_space:  global
        .offset:         8
        .size:           8
        .value_kind:     global_buffer
      - .offset:         16
        .size:           4
        .value_kind:     by_value
      - .offset:         20
        .size:           4
        .value_kind:     by_value
      - .offset:         24
        .size:           8
        .value_kind:     by_value
    .group_segment_fixed_size: 448
    .kernarg_segment_align: 8
    .kernarg_segment_size: 32
    .language:       OpenCL C
    .language_version:
      - 2
      - 0
    .max_flat_workgroup_size: 64
    .name:           _ZN9rocsolver6v33100L18trti2_kernel_smallILi14E19rocblas_complex_numIdEPS3_EEv13rocblas_fill_17rocblas_diagonal_T1_iil
    .private_segment_fixed_size: 240
    .sgpr_count:     18
    .sgpr_spill_count: 0
    .symbol:         _ZN9rocsolver6v33100L18trti2_kernel_smallILi14E19rocblas_complex_numIdEPS3_EEv13rocblas_fill_17rocblas_diagonal_T1_iil.kd
    .uniform_work_group_size: 1
    .uses_dynamic_stack: false
    .vgpr_count:     72
    .vgpr_spill_count: 0
    .wavefront_size: 64
  - .agpr_count:     0
    .args:
      - .offset:         0
        .size:           4
        .value_kind:     by_value
      - .offset:         4
        .size:           4
        .value_kind:     by_value
      - .address_space:  global
        .offset:         8
        .size:           8
        .value_kind:     global_buffer
      - .offset:         16
        .size:           4
        .value_kind:     by_value
      - .offset:         20
        .size:           4
        .value_kind:     by_value
      - .offset:         24
        .size:           8
        .value_kind:     by_value
    .group_segment_fixed_size: 480
    .kernarg_segment_align: 8
    .kernarg_segment_size: 32
    .language:       OpenCL C
    .language_version:
      - 2
      - 0
    .max_flat_workgroup_size: 64
    .name:           _ZN9rocsolver6v33100L18trti2_kernel_smallILi15E19rocblas_complex_numIdEPS3_EEv13rocblas_fill_17rocblas_diagonal_T1_iil
    .private_segment_fixed_size: 256
    .sgpr_count:     18
    .sgpr_spill_count: 0
    .symbol:         _ZN9rocsolver6v33100L18trti2_kernel_smallILi15E19rocblas_complex_numIdEPS3_EEv13rocblas_fill_17rocblas_diagonal_T1_iil.kd
    .uniform_work_group_size: 1
    .uses_dynamic_stack: false
    .vgpr_count:     74
    .vgpr_spill_count: 0
    .wavefront_size: 64
  - .agpr_count:     0
    .args:
      - .offset:         0
        .size:           4
        .value_kind:     by_value
      - .offset:         4
        .size:           4
        .value_kind:     by_value
      - .address_space:  global
        .offset:         8
        .size:           8
        .value_kind:     global_buffer
      - .offset:         16
        .size:           4
        .value_kind:     by_value
      - .offset:         20
        .size:           4
        .value_kind:     by_value
      - .offset:         24
        .size:           8
        .value_kind:     by_value
    .group_segment_fixed_size: 512
    .kernarg_segment_align: 8
    .kernarg_segment_size: 32
    .language:       OpenCL C
    .language_version:
      - 2
      - 0
    .max_flat_workgroup_size: 64
    .name:           _ZN9rocsolver6v33100L18trti2_kernel_smallILi16E19rocblas_complex_numIdEPS3_EEv13rocblas_fill_17rocblas_diagonal_T1_iil
    .private_segment_fixed_size: 272
    .sgpr_count:     18
    .sgpr_spill_count: 0
    .symbol:         _ZN9rocsolver6v33100L18trti2_kernel_smallILi16E19rocblas_complex_numIdEPS3_EEv13rocblas_fill_17rocblas_diagonal_T1_iil.kd
    .uniform_work_group_size: 1
    .uses_dynamic_stack: false
    .vgpr_count:     78
    .vgpr_spill_count: 0
    .wavefront_size: 64
  - .agpr_count:     0
    .args:
      - .offset:         0
        .size:           4
        .value_kind:     by_value
      - .offset:         4
        .size:           4
        .value_kind:     by_value
      - .address_space:  global
        .offset:         8
        .size:           8
        .value_kind:     global_buffer
      - .offset:         16
        .size:           4
        .value_kind:     by_value
      - .offset:         20
        .size:           4
        .value_kind:     by_value
      - .offset:         24
        .size:           8
        .value_kind:     by_value
    .group_segment_fixed_size: 544
    .kernarg_segment_align: 8
    .kernarg_segment_size: 32
    .language:       OpenCL C
    .language_version:
      - 2
      - 0
    .max_flat_workgroup_size: 64
    .name:           _ZN9rocsolver6v33100L18trti2_kernel_smallILi17E19rocblas_complex_numIdEPS3_EEv13rocblas_fill_17rocblas_diagonal_T1_iil
    .private_segment_fixed_size: 288
    .sgpr_count:     18
    .sgpr_spill_count: 0
    .symbol:         _ZN9rocsolver6v33100L18trti2_kernel_smallILi17E19rocblas_complex_numIdEPS3_EEv13rocblas_fill_17rocblas_diagonal_T1_iil.kd
    .uniform_work_group_size: 1
    .uses_dynamic_stack: false
    .vgpr_count:     80
    .vgpr_spill_count: 0
    .wavefront_size: 64
  - .agpr_count:     0
    .args:
      - .offset:         0
        .size:           4
        .value_kind:     by_value
      - .offset:         4
        .size:           4
        .value_kind:     by_value
      - .address_space:  global
        .offset:         8
        .size:           8
        .value_kind:     global_buffer
      - .offset:         16
        .size:           4
        .value_kind:     by_value
      - .offset:         20
        .size:           4
        .value_kind:     by_value
      - .offset:         24
        .size:           8
        .value_kind:     by_value
    .group_segment_fixed_size: 576
    .kernarg_segment_align: 8
    .kernarg_segment_size: 32
    .language:       OpenCL C
    .language_version:
      - 2
      - 0
    .max_flat_workgroup_size: 64
    .name:           _ZN9rocsolver6v33100L18trti2_kernel_smallILi18E19rocblas_complex_numIdEPS3_EEv13rocblas_fill_17rocblas_diagonal_T1_iil
    .private_segment_fixed_size: 304
    .sgpr_count:     18
    .sgpr_spill_count: 0
    .symbol:         _ZN9rocsolver6v33100L18trti2_kernel_smallILi18E19rocblas_complex_numIdEPS3_EEv13rocblas_fill_17rocblas_diagonal_T1_iil.kd
    .uniform_work_group_size: 1
    .uses_dynamic_stack: false
    .vgpr_count:     88
    .vgpr_spill_count: 0
    .wavefront_size: 64
  - .agpr_count:     0
    .args:
      - .offset:         0
        .size:           4
        .value_kind:     by_value
      - .offset:         4
        .size:           4
        .value_kind:     by_value
      - .address_space:  global
        .offset:         8
        .size:           8
        .value_kind:     global_buffer
      - .offset:         16
        .size:           4
        .value_kind:     by_value
      - .offset:         20
        .size:           4
        .value_kind:     by_value
      - .offset:         24
        .size:           8
        .value_kind:     by_value
    .group_segment_fixed_size: 608
    .kernarg_segment_align: 8
    .kernarg_segment_size: 32
    .language:       OpenCL C
    .language_version:
      - 2
      - 0
    .max_flat_workgroup_size: 64
    .name:           _ZN9rocsolver6v33100L18trti2_kernel_smallILi19E19rocblas_complex_numIdEPS3_EEv13rocblas_fill_17rocblas_diagonal_T1_iil
    .private_segment_fixed_size: 320
    .sgpr_count:     18
    .sgpr_spill_count: 0
    .symbol:         _ZN9rocsolver6v33100L18trti2_kernel_smallILi19E19rocblas_complex_numIdEPS3_EEv13rocblas_fill_17rocblas_diagonal_T1_iil.kd
    .uniform_work_group_size: 1
    .uses_dynamic_stack: false
    .vgpr_count:     82
    .vgpr_spill_count: 0
    .wavefront_size: 64
  - .agpr_count:     0
    .args:
      - .offset:         0
        .size:           4
        .value_kind:     by_value
      - .offset:         4
        .size:           4
        .value_kind:     by_value
      - .address_space:  global
        .offset:         8
        .size:           8
        .value_kind:     global_buffer
      - .offset:         16
        .size:           4
        .value_kind:     by_value
      - .offset:         20
        .size:           4
        .value_kind:     by_value
      - .offset:         24
        .size:           8
        .value_kind:     by_value
    .group_segment_fixed_size: 640
    .kernarg_segment_align: 8
    .kernarg_segment_size: 32
    .language:       OpenCL C
    .language_version:
      - 2
      - 0
    .max_flat_workgroup_size: 64
    .name:           _ZN9rocsolver6v33100L18trti2_kernel_smallILi20E19rocblas_complex_numIdEPS3_EEv13rocblas_fill_17rocblas_diagonal_T1_iil
    .private_segment_fixed_size: 336
    .sgpr_count:     18
    .sgpr_spill_count: 0
    .symbol:         _ZN9rocsolver6v33100L18trti2_kernel_smallILi20E19rocblas_complex_numIdEPS3_EEv13rocblas_fill_17rocblas_diagonal_T1_iil.kd
    .uniform_work_group_size: 1
    .uses_dynamic_stack: false
    .vgpr_count:     98
    .vgpr_spill_count: 0
    .wavefront_size: 64
  - .agpr_count:     0
    .args:
      - .offset:         0
        .size:           4
        .value_kind:     by_value
      - .offset:         4
        .size:           4
        .value_kind:     by_value
      - .address_space:  global
        .offset:         8
        .size:           8
        .value_kind:     global_buffer
      - .offset:         16
        .size:           4
        .value_kind:     by_value
      - .offset:         20
        .size:           4
        .value_kind:     by_value
      - .offset:         24
        .size:           8
        .value_kind:     by_value
    .group_segment_fixed_size: 672
    .kernarg_segment_align: 8
    .kernarg_segment_size: 32
    .language:       OpenCL C
    .language_version:
      - 2
      - 0
    .max_flat_workgroup_size: 64
    .name:           _ZN9rocsolver6v33100L18trti2_kernel_smallILi21E19rocblas_complex_numIdEPS3_EEv13rocblas_fill_17rocblas_diagonal_T1_iil
    .private_segment_fixed_size: 352
    .sgpr_count:     18
    .sgpr_spill_count: 0
    .symbol:         _ZN9rocsolver6v33100L18trti2_kernel_smallILi21E19rocblas_complex_numIdEPS3_EEv13rocblas_fill_17rocblas_diagonal_T1_iil.kd
    .uniform_work_group_size: 1
    .uses_dynamic_stack: false
    .vgpr_count:     98
    .vgpr_spill_count: 0
    .wavefront_size: 64
  - .agpr_count:     0
    .args:
      - .offset:         0
        .size:           4
        .value_kind:     by_value
      - .offset:         4
        .size:           4
        .value_kind:     by_value
      - .address_space:  global
        .offset:         8
        .size:           8
        .value_kind:     global_buffer
      - .offset:         16
        .size:           4
        .value_kind:     by_value
      - .offset:         20
        .size:           4
        .value_kind:     by_value
      - .offset:         24
        .size:           8
        .value_kind:     by_value
    .group_segment_fixed_size: 704
    .kernarg_segment_align: 8
    .kernarg_segment_size: 32
    .language:       OpenCL C
    .language_version:
      - 2
      - 0
    .max_flat_workgroup_size: 64
    .name:           _ZN9rocsolver6v33100L18trti2_kernel_smallILi22E19rocblas_complex_numIdEPS3_EEv13rocblas_fill_17rocblas_diagonal_T1_iil
    .private_segment_fixed_size: 368
    .sgpr_count:     18
    .sgpr_spill_count: 0
    .symbol:         _ZN9rocsolver6v33100L18trti2_kernel_smallILi22E19rocblas_complex_numIdEPS3_EEv13rocblas_fill_17rocblas_diagonal_T1_iil.kd
    .uniform_work_group_size: 1
    .uses_dynamic_stack: false
    .vgpr_count:     104
    .vgpr_spill_count: 0
    .wavefront_size: 64
  - .agpr_count:     0
    .args:
      - .offset:         0
        .size:           4
        .value_kind:     by_value
      - .offset:         4
        .size:           4
        .value_kind:     by_value
      - .address_space:  global
        .offset:         8
        .size:           8
        .value_kind:     global_buffer
      - .offset:         16
        .size:           4
        .value_kind:     by_value
      - .offset:         20
        .size:           4
        .value_kind:     by_value
      - .offset:         24
        .size:           8
        .value_kind:     by_value
    .group_segment_fixed_size: 736
    .kernarg_segment_align: 8
    .kernarg_segment_size: 32
    .language:       OpenCL C
    .language_version:
      - 2
      - 0
    .max_flat_workgroup_size: 64
    .name:           _ZN9rocsolver6v33100L18trti2_kernel_smallILi23E19rocblas_complex_numIdEPS3_EEv13rocblas_fill_17rocblas_diagonal_T1_iil
    .private_segment_fixed_size: 384
    .sgpr_count:     18
    .sgpr_spill_count: 0
    .symbol:         _ZN9rocsolver6v33100L18trti2_kernel_smallILi23E19rocblas_complex_numIdEPS3_EEv13rocblas_fill_17rocblas_diagonal_T1_iil.kd
    .uniform_work_group_size: 1
    .uses_dynamic_stack: false
    .vgpr_count:     98
    .vgpr_spill_count: 0
    .wavefront_size: 64
  - .agpr_count:     0
    .args:
      - .offset:         0
        .size:           4
        .value_kind:     by_value
      - .offset:         4
        .size:           4
        .value_kind:     by_value
      - .address_space:  global
        .offset:         8
        .size:           8
        .value_kind:     global_buffer
      - .offset:         16
        .size:           4
        .value_kind:     by_value
      - .offset:         20
        .size:           4
        .value_kind:     by_value
      - .offset:         24
        .size:           8
        .value_kind:     by_value
    .group_segment_fixed_size: 768
    .kernarg_segment_align: 8
    .kernarg_segment_size: 32
    .language:       OpenCL C
    .language_version:
      - 2
      - 0
    .max_flat_workgroup_size: 64
    .name:           _ZN9rocsolver6v33100L18trti2_kernel_smallILi24E19rocblas_complex_numIdEPS3_EEv13rocblas_fill_17rocblas_diagonal_T1_iil
    .private_segment_fixed_size: 400
    .sgpr_count:     18
    .sgpr_spill_count: 0
    .symbol:         _ZN9rocsolver6v33100L18trti2_kernel_smallILi24E19rocblas_complex_numIdEPS3_EEv13rocblas_fill_17rocblas_diagonal_T1_iil.kd
    .uniform_work_group_size: 1
    .uses_dynamic_stack: false
    .vgpr_count:     102
    .vgpr_spill_count: 0
    .wavefront_size: 64
  - .agpr_count:     0
    .args:
      - .offset:         0
        .size:           4
        .value_kind:     by_value
      - .offset:         4
        .size:           4
        .value_kind:     by_value
      - .address_space:  global
        .offset:         8
        .size:           8
        .value_kind:     global_buffer
      - .offset:         16
        .size:           4
        .value_kind:     by_value
      - .offset:         20
        .size:           4
        .value_kind:     by_value
      - .offset:         24
        .size:           8
        .value_kind:     by_value
    .group_segment_fixed_size: 800
    .kernarg_segment_align: 8
    .kernarg_segment_size: 32
    .language:       OpenCL C
    .language_version:
      - 2
      - 0
    .max_flat_workgroup_size: 64
    .name:           _ZN9rocsolver6v33100L18trti2_kernel_smallILi25E19rocblas_complex_numIdEPS3_EEv13rocblas_fill_17rocblas_diagonal_T1_iil
    .private_segment_fixed_size: 416
    .sgpr_count:     18
    .sgpr_spill_count: 0
    .symbol:         _ZN9rocsolver6v33100L18trti2_kernel_smallILi25E19rocblas_complex_numIdEPS3_EEv13rocblas_fill_17rocblas_diagonal_T1_iil.kd
    .uniform_work_group_size: 1
    .uses_dynamic_stack: false
    .vgpr_count:     128
    .vgpr_spill_count: 0
    .wavefront_size: 64
  - .agpr_count:     0
    .args:
      - .offset:         0
        .size:           4
        .value_kind:     by_value
      - .offset:         4
        .size:           4
        .value_kind:     by_value
      - .address_space:  global
        .offset:         8
        .size:           8
        .value_kind:     global_buffer
      - .offset:         16
        .size:           4
        .value_kind:     by_value
      - .offset:         20
        .size:           4
        .value_kind:     by_value
      - .offset:         24
        .size:           8
        .value_kind:     by_value
    .group_segment_fixed_size: 832
    .kernarg_segment_align: 8
    .kernarg_segment_size: 32
    .language:       OpenCL C
    .language_version:
      - 2
      - 0
    .max_flat_workgroup_size: 64
    .name:           _ZN9rocsolver6v33100L18trti2_kernel_smallILi26E19rocblas_complex_numIdEPS3_EEv13rocblas_fill_17rocblas_diagonal_T1_iil
    .private_segment_fixed_size: 432
    .sgpr_count:     18
    .sgpr_spill_count: 0
    .symbol:         _ZN9rocsolver6v33100L18trti2_kernel_smallILi26E19rocblas_complex_numIdEPS3_EEv13rocblas_fill_17rocblas_diagonal_T1_iil.kd
    .uniform_work_group_size: 1
    .uses_dynamic_stack: false
    .vgpr_count:     132
    .vgpr_spill_count: 0
    .wavefront_size: 64
  - .agpr_count:     0
    .args:
      - .offset:         0
        .size:           4
        .value_kind:     by_value
      - .offset:         4
        .size:           4
        .value_kind:     by_value
      - .address_space:  global
        .offset:         8
        .size:           8
        .value_kind:     global_buffer
      - .offset:         16
        .size:           4
        .value_kind:     by_value
      - .offset:         20
        .size:           4
        .value_kind:     by_value
      - .offset:         24
        .size:           8
        .value_kind:     by_value
    .group_segment_fixed_size: 864
    .kernarg_segment_align: 8
    .kernarg_segment_size: 32
    .language:       OpenCL C
    .language_version:
      - 2
      - 0
    .max_flat_workgroup_size: 64
    .name:           _ZN9rocsolver6v33100L18trti2_kernel_smallILi27E19rocblas_complex_numIdEPS3_EEv13rocblas_fill_17rocblas_diagonal_T1_iil
    .private_segment_fixed_size: 448
    .sgpr_count:     18
    .sgpr_spill_count: 0
    .symbol:         _ZN9rocsolver6v33100L18trti2_kernel_smallILi27E19rocblas_complex_numIdEPS3_EEv13rocblas_fill_17rocblas_diagonal_T1_iil.kd
    .uniform_work_group_size: 1
    .uses_dynamic_stack: false
    .vgpr_count:     130
    .vgpr_spill_count: 0
    .wavefront_size: 64
  - .agpr_count:     0
    .args:
      - .offset:         0
        .size:           4
        .value_kind:     by_value
      - .offset:         4
        .size:           4
        .value_kind:     by_value
      - .address_space:  global
        .offset:         8
        .size:           8
        .value_kind:     global_buffer
      - .offset:         16
        .size:           4
        .value_kind:     by_value
      - .offset:         20
        .size:           4
        .value_kind:     by_value
      - .offset:         24
        .size:           8
        .value_kind:     by_value
    .group_segment_fixed_size: 896
    .kernarg_segment_align: 8
    .kernarg_segment_size: 32
    .language:       OpenCL C
    .language_version:
      - 2
      - 0
    .max_flat_workgroup_size: 64
    .name:           _ZN9rocsolver6v33100L18trti2_kernel_smallILi28E19rocblas_complex_numIdEPS3_EEv13rocblas_fill_17rocblas_diagonal_T1_iil
    .private_segment_fixed_size: 464
    .sgpr_count:     18
    .sgpr_spill_count: 0
    .symbol:         _ZN9rocsolver6v33100L18trti2_kernel_smallILi28E19rocblas_complex_numIdEPS3_EEv13rocblas_fill_17rocblas_diagonal_T1_iil.kd
    .uniform_work_group_size: 1
    .uses_dynamic_stack: false
    .vgpr_count:     130
    .vgpr_spill_count: 0
    .wavefront_size: 64
  - .agpr_count:     0
    .args:
      - .offset:         0
        .size:           4
        .value_kind:     by_value
      - .offset:         4
        .size:           4
        .value_kind:     by_value
      - .address_space:  global
        .offset:         8
        .size:           8
        .value_kind:     global_buffer
      - .offset:         16
        .size:           4
        .value_kind:     by_value
      - .offset:         20
        .size:           4
        .value_kind:     by_value
      - .offset:         24
        .size:           8
        .value_kind:     by_value
    .group_segment_fixed_size: 928
    .kernarg_segment_align: 8
    .kernarg_segment_size: 32
    .language:       OpenCL C
    .language_version:
      - 2
      - 0
    .max_flat_workgroup_size: 64
    .name:           _ZN9rocsolver6v33100L18trti2_kernel_smallILi29E19rocblas_complex_numIdEPS3_EEv13rocblas_fill_17rocblas_diagonal_T1_iil
    .private_segment_fixed_size: 480
    .sgpr_count:     18
    .sgpr_spill_count: 0
    .symbol:         _ZN9rocsolver6v33100L18trti2_kernel_smallILi29E19rocblas_complex_numIdEPS3_EEv13rocblas_fill_17rocblas_diagonal_T1_iil.kd
    .uniform_work_group_size: 1
    .uses_dynamic_stack: false
    .vgpr_count:     128
    .vgpr_spill_count: 0
    .wavefront_size: 64
  - .agpr_count:     0
    .args:
      - .offset:         0
        .size:           4
        .value_kind:     by_value
      - .offset:         4
        .size:           4
        .value_kind:     by_value
      - .address_space:  global
        .offset:         8
        .size:           8
        .value_kind:     global_buffer
      - .offset:         16
        .size:           4
        .value_kind:     by_value
      - .offset:         20
        .size:           4
        .value_kind:     by_value
      - .offset:         24
        .size:           8
        .value_kind:     by_value
    .group_segment_fixed_size: 960
    .kernarg_segment_align: 8
    .kernarg_segment_size: 32
    .language:       OpenCL C
    .language_version:
      - 2
      - 0
    .max_flat_workgroup_size: 64
    .name:           _ZN9rocsolver6v33100L18trti2_kernel_smallILi30E19rocblas_complex_numIdEPS3_EEv13rocblas_fill_17rocblas_diagonal_T1_iil
    .private_segment_fixed_size: 496
    .sgpr_count:     18
    .sgpr_spill_count: 0
    .symbol:         _ZN9rocsolver6v33100L18trti2_kernel_smallILi30E19rocblas_complex_numIdEPS3_EEv13rocblas_fill_17rocblas_diagonal_T1_iil.kd
    .uniform_work_group_size: 1
    .uses_dynamic_stack: false
    .vgpr_count:     128
    .vgpr_spill_count: 0
    .wavefront_size: 64
  - .agpr_count:     0
    .args:
      - .offset:         0
        .size:           4
        .value_kind:     by_value
      - .offset:         4
        .size:           4
        .value_kind:     by_value
      - .address_space:  global
        .offset:         8
        .size:           8
        .value_kind:     global_buffer
      - .offset:         16
        .size:           4
        .value_kind:     by_value
      - .offset:         20
        .size:           4
        .value_kind:     by_value
      - .offset:         24
        .size:           8
        .value_kind:     by_value
    .group_segment_fixed_size: 992
    .kernarg_segment_align: 8
    .kernarg_segment_size: 32
    .language:       OpenCL C
    .language_version:
      - 2
      - 0
    .max_flat_workgroup_size: 64
    .name:           _ZN9rocsolver6v33100L18trti2_kernel_smallILi31E19rocblas_complex_numIdEPS3_EEv13rocblas_fill_17rocblas_diagonal_T1_iil
    .private_segment_fixed_size: 512
    .sgpr_count:     18
    .sgpr_spill_count: 0
    .symbol:         _ZN9rocsolver6v33100L18trti2_kernel_smallILi31E19rocblas_complex_numIdEPS3_EEv13rocblas_fill_17rocblas_diagonal_T1_iil.kd
    .uniform_work_group_size: 1
    .uses_dynamic_stack: false
    .vgpr_count:     130
    .vgpr_spill_count: 0
    .wavefront_size: 64
  - .agpr_count:     0
    .args:
      - .offset:         0
        .size:           4
        .value_kind:     by_value
      - .offset:         4
        .size:           4
        .value_kind:     by_value
      - .address_space:  global
        .offset:         8
        .size:           8
        .value_kind:     global_buffer
      - .offset:         16
        .size:           4
        .value_kind:     by_value
      - .offset:         20
        .size:           4
        .value_kind:     by_value
      - .offset:         24
        .size:           8
        .value_kind:     by_value
    .group_segment_fixed_size: 1024
    .kernarg_segment_align: 8
    .kernarg_segment_size: 32
    .language:       OpenCL C
    .language_version:
      - 2
      - 0
    .max_flat_workgroup_size: 64
    .name:           _ZN9rocsolver6v33100L18trti2_kernel_smallILi32E19rocblas_complex_numIdEPS3_EEv13rocblas_fill_17rocblas_diagonal_T1_iil
    .private_segment_fixed_size: 528
    .sgpr_count:     18
    .sgpr_spill_count: 0
    .symbol:         _ZN9rocsolver6v33100L18trti2_kernel_smallILi32E19rocblas_complex_numIdEPS3_EEv13rocblas_fill_17rocblas_diagonal_T1_iil.kd
    .uniform_work_group_size: 1
    .uses_dynamic_stack: false
    .vgpr_count:     130
    .vgpr_spill_count: 0
    .wavefront_size: 64
  - .agpr_count:     0
    .args:
      - .offset:         0
        .size:           4
        .value_kind:     by_value
      - .offset:         4
        .size:           4
        .value_kind:     by_value
      - .address_space:  global
        .offset:         8
        .size:           8
        .value_kind:     global_buffer
      - .offset:         16
        .size:           4
        .value_kind:     by_value
      - .offset:         20
        .size:           4
        .value_kind:     by_value
      - .offset:         24
        .size:           8
        .value_kind:     by_value
    .group_segment_fixed_size: 1056
    .kernarg_segment_align: 8
    .kernarg_segment_size: 32
    .language:       OpenCL C
    .language_version:
      - 2
      - 0
    .max_flat_workgroup_size: 64
    .name:           _ZN9rocsolver6v33100L18trti2_kernel_smallILi33E19rocblas_complex_numIdEPS3_EEv13rocblas_fill_17rocblas_diagonal_T1_iil
    .private_segment_fixed_size: 544
    .sgpr_count:     18
    .sgpr_spill_count: 0
    .symbol:         _ZN9rocsolver6v33100L18trti2_kernel_smallILi33E19rocblas_complex_numIdEPS3_EEv13rocblas_fill_17rocblas_diagonal_T1_iil.kd
    .uniform_work_group_size: 1
    .uses_dynamic_stack: false
    .vgpr_count:     138
    .vgpr_spill_count: 0
    .wavefront_size: 64
  - .agpr_count:     0
    .args:
      - .offset:         0
        .size:           4
        .value_kind:     by_value
      - .offset:         4
        .size:           4
        .value_kind:     by_value
      - .address_space:  global
        .offset:         8
        .size:           8
        .value_kind:     global_buffer
      - .offset:         16
        .size:           4
        .value_kind:     by_value
      - .offset:         20
        .size:           4
        .value_kind:     by_value
      - .offset:         24
        .size:           8
        .value_kind:     by_value
    .group_segment_fixed_size: 1088
    .kernarg_segment_align: 8
    .kernarg_segment_size: 32
    .language:       OpenCL C
    .language_version:
      - 2
      - 0
    .max_flat_workgroup_size: 64
    .name:           _ZN9rocsolver6v33100L18trti2_kernel_smallILi34E19rocblas_complex_numIdEPS3_EEv13rocblas_fill_17rocblas_diagonal_T1_iil
    .private_segment_fixed_size: 560
    .sgpr_count:     18
    .sgpr_spill_count: 0
    .symbol:         _ZN9rocsolver6v33100L18trti2_kernel_smallILi34E19rocblas_complex_numIdEPS3_EEv13rocblas_fill_17rocblas_diagonal_T1_iil.kd
    .uniform_work_group_size: 1
    .uses_dynamic_stack: false
    .vgpr_count:     134
    .vgpr_spill_count: 0
    .wavefront_size: 64
  - .agpr_count:     0
    .args:
      - .offset:         0
        .size:           4
        .value_kind:     by_value
      - .offset:         4
        .size:           4
        .value_kind:     by_value
      - .address_space:  global
        .offset:         8
        .size:           8
        .value_kind:     global_buffer
      - .offset:         16
        .size:           4
        .value_kind:     by_value
      - .offset:         20
        .size:           4
        .value_kind:     by_value
      - .offset:         24
        .size:           8
        .value_kind:     by_value
    .group_segment_fixed_size: 1120
    .kernarg_segment_align: 8
    .kernarg_segment_size: 32
    .language:       OpenCL C
    .language_version:
      - 2
      - 0
    .max_flat_workgroup_size: 64
    .name:           _ZN9rocsolver6v33100L18trti2_kernel_smallILi35E19rocblas_complex_numIdEPS3_EEv13rocblas_fill_17rocblas_diagonal_T1_iil
    .private_segment_fixed_size: 576
    .sgpr_count:     18
    .sgpr_spill_count: 0
    .symbol:         _ZN9rocsolver6v33100L18trti2_kernel_smallILi35E19rocblas_complex_numIdEPS3_EEv13rocblas_fill_17rocblas_diagonal_T1_iil.kd
    .uniform_work_group_size: 1
    .uses_dynamic_stack: false
    .vgpr_count:     136
    .vgpr_spill_count: 0
    .wavefront_size: 64
  - .agpr_count:     0
    .args:
      - .offset:         0
        .size:           4
        .value_kind:     by_value
      - .offset:         4
        .size:           4
        .value_kind:     by_value
      - .address_space:  global
        .offset:         8
        .size:           8
        .value_kind:     global_buffer
      - .offset:         16
        .size:           4
        .value_kind:     by_value
      - .offset:         20
        .size:           4
        .value_kind:     by_value
      - .offset:         24
        .size:           8
        .value_kind:     by_value
    .group_segment_fixed_size: 1152
    .kernarg_segment_align: 8
    .kernarg_segment_size: 32
    .language:       OpenCL C
    .language_version:
      - 2
      - 0
    .max_flat_workgroup_size: 64
    .name:           _ZN9rocsolver6v33100L18trti2_kernel_smallILi36E19rocblas_complex_numIdEPS3_EEv13rocblas_fill_17rocblas_diagonal_T1_iil
    .private_segment_fixed_size: 592
    .sgpr_count:     18
    .sgpr_spill_count: 0
    .symbol:         _ZN9rocsolver6v33100L18trti2_kernel_smallILi36E19rocblas_complex_numIdEPS3_EEv13rocblas_fill_17rocblas_diagonal_T1_iil.kd
    .uniform_work_group_size: 1
    .uses_dynamic_stack: false
    .vgpr_count:     172
    .vgpr_spill_count: 0
    .wavefront_size: 64
  - .agpr_count:     0
    .args:
      - .offset:         0
        .size:           4
        .value_kind:     by_value
      - .offset:         4
        .size:           4
        .value_kind:     by_value
      - .address_space:  global
        .offset:         8
        .size:           8
        .value_kind:     global_buffer
      - .offset:         16
        .size:           4
        .value_kind:     by_value
      - .offset:         20
        .size:           4
        .value_kind:     by_value
      - .offset:         24
        .size:           8
        .value_kind:     by_value
    .group_segment_fixed_size: 1184
    .kernarg_segment_align: 8
    .kernarg_segment_size: 32
    .language:       OpenCL C
    .language_version:
      - 2
      - 0
    .max_flat_workgroup_size: 64
    .name:           _ZN9rocsolver6v33100L18trti2_kernel_smallILi37E19rocblas_complex_numIdEPS3_EEv13rocblas_fill_17rocblas_diagonal_T1_iil
    .private_segment_fixed_size: 608
    .sgpr_count:     18
    .sgpr_spill_count: 0
    .symbol:         _ZN9rocsolver6v33100L18trti2_kernel_smallILi37E19rocblas_complex_numIdEPS3_EEv13rocblas_fill_17rocblas_diagonal_T1_iil.kd
    .uniform_work_group_size: 1
    .uses_dynamic_stack: false
    .vgpr_count:     170
    .vgpr_spill_count: 0
    .wavefront_size: 64
  - .agpr_count:     0
    .args:
      - .offset:         0
        .size:           4
        .value_kind:     by_value
      - .offset:         4
        .size:           4
        .value_kind:     by_value
      - .address_space:  global
        .offset:         8
        .size:           8
        .value_kind:     global_buffer
      - .offset:         16
        .size:           4
        .value_kind:     by_value
      - .offset:         20
        .size:           4
        .value_kind:     by_value
      - .offset:         24
        .size:           8
        .value_kind:     by_value
    .group_segment_fixed_size: 1216
    .kernarg_segment_align: 8
    .kernarg_segment_size: 32
    .language:       OpenCL C
    .language_version:
      - 2
      - 0
    .max_flat_workgroup_size: 64
    .name:           _ZN9rocsolver6v33100L18trti2_kernel_smallILi38E19rocblas_complex_numIdEPS3_EEv13rocblas_fill_17rocblas_diagonal_T1_iil
    .private_segment_fixed_size: 624
    .sgpr_count:     18
    .sgpr_spill_count: 0
    .symbol:         _ZN9rocsolver6v33100L18trti2_kernel_smallILi38E19rocblas_complex_numIdEPS3_EEv13rocblas_fill_17rocblas_diagonal_T1_iil.kd
    .uniform_work_group_size: 1
    .uses_dynamic_stack: false
    .vgpr_count:     174
    .vgpr_spill_count: 0
    .wavefront_size: 64
  - .agpr_count:     0
    .args:
      - .offset:         0
        .size:           4
        .value_kind:     by_value
      - .offset:         4
        .size:           4
        .value_kind:     by_value
      - .address_space:  global
        .offset:         8
        .size:           8
        .value_kind:     global_buffer
      - .offset:         16
        .size:           4
        .value_kind:     by_value
      - .offset:         20
        .size:           4
        .value_kind:     by_value
      - .offset:         24
        .size:           8
        .value_kind:     by_value
    .group_segment_fixed_size: 1248
    .kernarg_segment_align: 8
    .kernarg_segment_size: 32
    .language:       OpenCL C
    .language_version:
      - 2
      - 0
    .max_flat_workgroup_size: 64
    .name:           _ZN9rocsolver6v33100L18trti2_kernel_smallILi39E19rocblas_complex_numIdEPS3_EEv13rocblas_fill_17rocblas_diagonal_T1_iil
    .private_segment_fixed_size: 640
    .sgpr_count:     18
    .sgpr_spill_count: 0
    .symbol:         _ZN9rocsolver6v33100L18trti2_kernel_smallILi39E19rocblas_complex_numIdEPS3_EEv13rocblas_fill_17rocblas_diagonal_T1_iil.kd
    .uniform_work_group_size: 1
    .uses_dynamic_stack: false
    .vgpr_count:     172
    .vgpr_spill_count: 0
    .wavefront_size: 64
  - .agpr_count:     0
    .args:
      - .offset:         0
        .size:           4
        .value_kind:     by_value
      - .offset:         4
        .size:           4
        .value_kind:     by_value
      - .address_space:  global
        .offset:         8
        .size:           8
        .value_kind:     global_buffer
      - .offset:         16
        .size:           4
        .value_kind:     by_value
      - .offset:         20
        .size:           4
        .value_kind:     by_value
      - .offset:         24
        .size:           8
        .value_kind:     by_value
    .group_segment_fixed_size: 1280
    .kernarg_segment_align: 8
    .kernarg_segment_size: 32
    .language:       OpenCL C
    .language_version:
      - 2
      - 0
    .max_flat_workgroup_size: 64
    .name:           _ZN9rocsolver6v33100L18trti2_kernel_smallILi40E19rocblas_complex_numIdEPS3_EEv13rocblas_fill_17rocblas_diagonal_T1_iil
    .private_segment_fixed_size: 656
    .sgpr_count:     18
    .sgpr_spill_count: 0
    .symbol:         _ZN9rocsolver6v33100L18trti2_kernel_smallILi40E19rocblas_complex_numIdEPS3_EEv13rocblas_fill_17rocblas_diagonal_T1_iil.kd
    .uniform_work_group_size: 1
    .uses_dynamic_stack: false
    .vgpr_count:     170
    .vgpr_spill_count: 0
    .wavefront_size: 64
  - .agpr_count:     0
    .args:
      - .offset:         0
        .size:           4
        .value_kind:     by_value
      - .offset:         4
        .size:           4
        .value_kind:     by_value
      - .address_space:  global
        .offset:         8
        .size:           8
        .value_kind:     global_buffer
      - .offset:         16
        .size:           4
        .value_kind:     by_value
      - .offset:         20
        .size:           4
        .value_kind:     by_value
      - .offset:         24
        .size:           8
        .value_kind:     by_value
    .group_segment_fixed_size: 1312
    .kernarg_segment_align: 8
    .kernarg_segment_size: 32
    .language:       OpenCL C
    .language_version:
      - 2
      - 0
    .max_flat_workgroup_size: 64
    .name:           _ZN9rocsolver6v33100L18trti2_kernel_smallILi41E19rocblas_complex_numIdEPS3_EEv13rocblas_fill_17rocblas_diagonal_T1_iil
    .private_segment_fixed_size: 672
    .sgpr_count:     18
    .sgpr_spill_count: 0
    .symbol:         _ZN9rocsolver6v33100L18trti2_kernel_smallILi41E19rocblas_complex_numIdEPS3_EEv13rocblas_fill_17rocblas_diagonal_T1_iil.kd
    .uniform_work_group_size: 1
    .uses_dynamic_stack: false
    .vgpr_count:     172
    .vgpr_spill_count: 0
    .wavefront_size: 64
  - .agpr_count:     0
    .args:
      - .offset:         0
        .size:           4
        .value_kind:     by_value
      - .offset:         4
        .size:           4
        .value_kind:     by_value
      - .address_space:  global
        .offset:         8
        .size:           8
        .value_kind:     global_buffer
      - .offset:         16
        .size:           4
        .value_kind:     by_value
      - .offset:         20
        .size:           4
        .value_kind:     by_value
      - .offset:         24
        .size:           8
        .value_kind:     by_value
    .group_segment_fixed_size: 1344
    .kernarg_segment_align: 8
    .kernarg_segment_size: 32
    .language:       OpenCL C
    .language_version:
      - 2
      - 0
    .max_flat_workgroup_size: 64
    .name:           _ZN9rocsolver6v33100L18trti2_kernel_smallILi42E19rocblas_complex_numIdEPS3_EEv13rocblas_fill_17rocblas_diagonal_T1_iil
    .private_segment_fixed_size: 688
    .sgpr_count:     18
    .sgpr_spill_count: 0
    .symbol:         _ZN9rocsolver6v33100L18trti2_kernel_smallILi42E19rocblas_complex_numIdEPS3_EEv13rocblas_fill_17rocblas_diagonal_T1_iil.kd
    .uniform_work_group_size: 1
    .uses_dynamic_stack: false
    .vgpr_count:     174
    .vgpr_spill_count: 0
    .wavefront_size: 64
  - .agpr_count:     0
    .args:
      - .offset:         0
        .size:           4
        .value_kind:     by_value
      - .offset:         4
        .size:           4
        .value_kind:     by_value
      - .address_space:  global
        .offset:         8
        .size:           8
        .value_kind:     global_buffer
      - .offset:         16
        .size:           4
        .value_kind:     by_value
      - .offset:         20
        .size:           4
        .value_kind:     by_value
      - .offset:         24
        .size:           8
        .value_kind:     by_value
    .group_segment_fixed_size: 1376
    .kernarg_segment_align: 8
    .kernarg_segment_size: 32
    .language:       OpenCL C
    .language_version:
      - 2
      - 0
    .max_flat_workgroup_size: 64
    .name:           _ZN9rocsolver6v33100L18trti2_kernel_smallILi43E19rocblas_complex_numIdEPS3_EEv13rocblas_fill_17rocblas_diagonal_T1_iil
    .private_segment_fixed_size: 704
    .sgpr_count:     18
    .sgpr_spill_count: 0
    .symbol:         _ZN9rocsolver6v33100L18trti2_kernel_smallILi43E19rocblas_complex_numIdEPS3_EEv13rocblas_fill_17rocblas_diagonal_T1_iil.kd
    .uniform_work_group_size: 1
    .uses_dynamic_stack: false
    .vgpr_count:     168
    .vgpr_spill_count: 0
    .wavefront_size: 64
  - .agpr_count:     0
    .args:
      - .offset:         0
        .size:           4
        .value_kind:     by_value
      - .offset:         4
        .size:           4
        .value_kind:     by_value
      - .address_space:  global
        .offset:         8
        .size:           8
        .value_kind:     global_buffer
      - .offset:         16
        .size:           4
        .value_kind:     by_value
      - .offset:         20
        .size:           4
        .value_kind:     by_value
      - .offset:         24
        .size:           8
        .value_kind:     by_value
    .group_segment_fixed_size: 1408
    .kernarg_segment_align: 8
    .kernarg_segment_size: 32
    .language:       OpenCL C
    .language_version:
      - 2
      - 0
    .max_flat_workgroup_size: 64
    .name:           _ZN9rocsolver6v33100L18trti2_kernel_smallILi44E19rocblas_complex_numIdEPS3_EEv13rocblas_fill_17rocblas_diagonal_T1_iil
    .private_segment_fixed_size: 720
    .sgpr_count:     18
    .sgpr_spill_count: 0
    .symbol:         _ZN9rocsolver6v33100L18trti2_kernel_smallILi44E19rocblas_complex_numIdEPS3_EEv13rocblas_fill_17rocblas_diagonal_T1_iil.kd
    .uniform_work_group_size: 1
    .uses_dynamic_stack: false
    .vgpr_count:     184
    .vgpr_spill_count: 0
    .wavefront_size: 64
  - .agpr_count:     0
    .args:
      - .offset:         0
        .size:           4
        .value_kind:     by_value
      - .offset:         4
        .size:           4
        .value_kind:     by_value
      - .address_space:  global
        .offset:         8
        .size:           8
        .value_kind:     global_buffer
      - .offset:         16
        .size:           4
        .value_kind:     by_value
      - .offset:         20
        .size:           4
        .value_kind:     by_value
      - .offset:         24
        .size:           8
        .value_kind:     by_value
    .group_segment_fixed_size: 1440
    .kernarg_segment_align: 8
    .kernarg_segment_size: 32
    .language:       OpenCL C
    .language_version:
      - 2
      - 0
    .max_flat_workgroup_size: 64
    .name:           _ZN9rocsolver6v33100L18trti2_kernel_smallILi45E19rocblas_complex_numIdEPS3_EEv13rocblas_fill_17rocblas_diagonal_T1_iil
    .private_segment_fixed_size: 736
    .sgpr_count:     18
    .sgpr_spill_count: 0
    .symbol:         _ZN9rocsolver6v33100L18trti2_kernel_smallILi45E19rocblas_complex_numIdEPS3_EEv13rocblas_fill_17rocblas_diagonal_T1_iil.kd
    .uniform_work_group_size: 1
    .uses_dynamic_stack: false
    .vgpr_count:     170
    .vgpr_spill_count: 0
    .wavefront_size: 64
  - .agpr_count:     0
    .args:
      - .offset:         0
        .size:           4
        .value_kind:     by_value
      - .offset:         4
        .size:           4
        .value_kind:     by_value
      - .address_space:  global
        .offset:         8
        .size:           8
        .value_kind:     global_buffer
      - .offset:         16
        .size:           4
        .value_kind:     by_value
      - .offset:         20
        .size:           4
        .value_kind:     by_value
      - .offset:         24
        .size:           8
        .value_kind:     by_value
    .group_segment_fixed_size: 1472
    .kernarg_segment_align: 8
    .kernarg_segment_size: 32
    .language:       OpenCL C
    .language_version:
      - 2
      - 0
    .max_flat_workgroup_size: 64
    .name:           _ZN9rocsolver6v33100L18trti2_kernel_smallILi46E19rocblas_complex_numIdEPS3_EEv13rocblas_fill_17rocblas_diagonal_T1_iil
    .private_segment_fixed_size: 752
    .sgpr_count:     18
    .sgpr_spill_count: 0
    .symbol:         _ZN9rocsolver6v33100L18trti2_kernel_smallILi46E19rocblas_complex_numIdEPS3_EEv13rocblas_fill_17rocblas_diagonal_T1_iil.kd
    .uniform_work_group_size: 1
    .uses_dynamic_stack: false
    .vgpr_count:     178
    .vgpr_spill_count: 0
    .wavefront_size: 64
  - .agpr_count:     0
    .args:
      - .offset:         0
        .size:           4
        .value_kind:     by_value
      - .offset:         4
        .size:           4
        .value_kind:     by_value
      - .address_space:  global
        .offset:         8
        .size:           8
        .value_kind:     global_buffer
      - .offset:         16
        .size:           4
        .value_kind:     by_value
      - .offset:         20
        .size:           4
        .value_kind:     by_value
      - .offset:         24
        .size:           8
        .value_kind:     by_value
    .group_segment_fixed_size: 1504
    .kernarg_segment_align: 8
    .kernarg_segment_size: 32
    .language:       OpenCL C
    .language_version:
      - 2
      - 0
    .max_flat_workgroup_size: 64
    .name:           _ZN9rocsolver6v33100L18trti2_kernel_smallILi47E19rocblas_complex_numIdEPS3_EEv13rocblas_fill_17rocblas_diagonal_T1_iil
    .private_segment_fixed_size: 768
    .sgpr_count:     18
    .sgpr_spill_count: 0
    .symbol:         _ZN9rocsolver6v33100L18trti2_kernel_smallILi47E19rocblas_complex_numIdEPS3_EEv13rocblas_fill_17rocblas_diagonal_T1_iil.kd
    .uniform_work_group_size: 1
    .uses_dynamic_stack: false
    .vgpr_count:     172
    .vgpr_spill_count: 0
    .wavefront_size: 64
  - .agpr_count:     0
    .args:
      - .offset:         0
        .size:           4
        .value_kind:     by_value
      - .offset:         4
        .size:           4
        .value_kind:     by_value
      - .address_space:  global
        .offset:         8
        .size:           8
        .value_kind:     global_buffer
      - .offset:         16
        .size:           4
        .value_kind:     by_value
      - .offset:         20
        .size:           4
        .value_kind:     by_value
      - .offset:         24
        .size:           8
        .value_kind:     by_value
    .group_segment_fixed_size: 1536
    .kernarg_segment_align: 8
    .kernarg_segment_size: 32
    .language:       OpenCL C
    .language_version:
      - 2
      - 0
    .max_flat_workgroup_size: 64
    .name:           _ZN9rocsolver6v33100L18trti2_kernel_smallILi48E19rocblas_complex_numIdEPS3_EEv13rocblas_fill_17rocblas_diagonal_T1_iil
    .private_segment_fixed_size: 784
    .sgpr_count:     18
    .sgpr_spill_count: 0
    .symbol:         _ZN9rocsolver6v33100L18trti2_kernel_smallILi48E19rocblas_complex_numIdEPS3_EEv13rocblas_fill_17rocblas_diagonal_T1_iil.kd
    .uniform_work_group_size: 1
    .uses_dynamic_stack: false
    .vgpr_count:     176
    .vgpr_spill_count: 0
    .wavefront_size: 64
  - .agpr_count:     0
    .args:
      - .offset:         0
        .size:           4
        .value_kind:     by_value
      - .offset:         4
        .size:           4
        .value_kind:     by_value
      - .address_space:  global
        .offset:         8
        .size:           8
        .value_kind:     global_buffer
      - .offset:         16
        .size:           4
        .value_kind:     by_value
      - .offset:         20
        .size:           4
        .value_kind:     by_value
      - .offset:         24
        .size:           8
        .value_kind:     by_value
    .group_segment_fixed_size: 1568
    .kernarg_segment_align: 8
    .kernarg_segment_size: 32
    .language:       OpenCL C
    .language_version:
      - 2
      - 0
    .max_flat_workgroup_size: 64
    .name:           _ZN9rocsolver6v33100L18trti2_kernel_smallILi49E19rocblas_complex_numIdEPS3_EEv13rocblas_fill_17rocblas_diagonal_T1_iil
    .private_segment_fixed_size: 800
    .sgpr_count:     18
    .sgpr_spill_count: 0
    .symbol:         _ZN9rocsolver6v33100L18trti2_kernel_smallILi49E19rocblas_complex_numIdEPS3_EEv13rocblas_fill_17rocblas_diagonal_T1_iil.kd
    .uniform_work_group_size: 1
    .uses_dynamic_stack: false
    .vgpr_count:     256
    .vgpr_spill_count: 0
    .wavefront_size: 64
  - .agpr_count:     4
    .args:
      - .offset:         0
        .size:           4
        .value_kind:     by_value
      - .offset:         4
        .size:           4
        .value_kind:     by_value
      - .address_space:  global
        .offset:         8
        .size:           8
        .value_kind:     global_buffer
      - .offset:         16
        .size:           4
        .value_kind:     by_value
      - .offset:         20
        .size:           4
        .value_kind:     by_value
      - .offset:         24
        .size:           8
        .value_kind:     by_value
    .group_segment_fixed_size: 1600
    .kernarg_segment_align: 8
    .kernarg_segment_size: 32
    .language:       OpenCL C
    .language_version:
      - 2
      - 0
    .max_flat_workgroup_size: 64
    .name:           _ZN9rocsolver6v33100L18trti2_kernel_smallILi50E19rocblas_complex_numIdEPS3_EEv13rocblas_fill_17rocblas_diagonal_T1_iil
    .private_segment_fixed_size: 816
    .sgpr_count:     18
    .sgpr_spill_count: 0
    .symbol:         _ZN9rocsolver6v33100L18trti2_kernel_smallILi50E19rocblas_complex_numIdEPS3_EEv13rocblas_fill_17rocblas_diagonal_T1_iil.kd
    .uniform_work_group_size: 1
    .uses_dynamic_stack: false
    .vgpr_count:     260
    .vgpr_spill_count: 0
    .wavefront_size: 64
  - .agpr_count:     2
    .args:
      - .offset:         0
        .size:           4
        .value_kind:     by_value
      - .offset:         4
        .size:           4
        .value_kind:     by_value
      - .address_space:  global
        .offset:         8
        .size:           8
        .value_kind:     global_buffer
      - .offset:         16
        .size:           4
        .value_kind:     by_value
      - .offset:         20
        .size:           4
        .value_kind:     by_value
      - .offset:         24
        .size:           8
        .value_kind:     by_value
    .group_segment_fixed_size: 1632
    .kernarg_segment_align: 8
    .kernarg_segment_size: 32
    .language:       OpenCL C
    .language_version:
      - 2
      - 0
    .max_flat_workgroup_size: 64
    .name:           _ZN9rocsolver6v33100L18trti2_kernel_smallILi51E19rocblas_complex_numIdEPS3_EEv13rocblas_fill_17rocblas_diagonal_T1_iil
    .private_segment_fixed_size: 832
    .sgpr_count:     18
    .sgpr_spill_count: 0
    .symbol:         _ZN9rocsolver6v33100L18trti2_kernel_smallILi51E19rocblas_complex_numIdEPS3_EEv13rocblas_fill_17rocblas_diagonal_T1_iil.kd
    .uniform_work_group_size: 1
    .uses_dynamic_stack: false
    .vgpr_count:     258
    .vgpr_spill_count: 0
    .wavefront_size: 64
  - .agpr_count:     2
    .args:
      - .offset:         0
        .size:           4
        .value_kind:     by_value
      - .offset:         4
        .size:           4
        .value_kind:     by_value
      - .address_space:  global
        .offset:         8
        .size:           8
        .value_kind:     global_buffer
      - .offset:         16
        .size:           4
        .value_kind:     by_value
      - .offset:         20
        .size:           4
        .value_kind:     by_value
      - .offset:         24
        .size:           8
        .value_kind:     by_value
    .group_segment_fixed_size: 1664
    .kernarg_segment_align: 8
    .kernarg_segment_size: 32
    .language:       OpenCL C
    .language_version:
      - 2
      - 0
    .max_flat_workgroup_size: 64
    .name:           _ZN9rocsolver6v33100L18trti2_kernel_smallILi52E19rocblas_complex_numIdEPS3_EEv13rocblas_fill_17rocblas_diagonal_T1_iil
    .private_segment_fixed_size: 848
    .sgpr_count:     18
    .sgpr_spill_count: 0
    .symbol:         _ZN9rocsolver6v33100L18trti2_kernel_smallILi52E19rocblas_complex_numIdEPS3_EEv13rocblas_fill_17rocblas_diagonal_T1_iil.kd
    .uniform_work_group_size: 1
    .uses_dynamic_stack: false
    .vgpr_count:     258
    .vgpr_spill_count: 0
    .wavefront_size: 64
  - .agpr_count:     0
    .args:
      - .offset:         0
        .size:           4
        .value_kind:     by_value
      - .offset:         4
        .size:           4
        .value_kind:     by_value
      - .address_space:  global
        .offset:         8
        .size:           8
        .value_kind:     global_buffer
      - .offset:         16
        .size:           4
        .value_kind:     by_value
      - .offset:         20
        .size:           4
        .value_kind:     by_value
      - .offset:         24
        .size:           8
        .value_kind:     by_value
    .group_segment_fixed_size: 1696
    .kernarg_segment_align: 8
    .kernarg_segment_size: 32
    .language:       OpenCL C
    .language_version:
      - 2
      - 0
    .max_flat_workgroup_size: 64
    .name:           _ZN9rocsolver6v33100L18trti2_kernel_smallILi53E19rocblas_complex_numIdEPS3_EEv13rocblas_fill_17rocblas_diagonal_T1_iil
    .private_segment_fixed_size: 864
    .sgpr_count:     18
    .sgpr_spill_count: 0
    .symbol:         _ZN9rocsolver6v33100L18trti2_kernel_smallILi53E19rocblas_complex_numIdEPS3_EEv13rocblas_fill_17rocblas_diagonal_T1_iil.kd
    .uniform_work_group_size: 1
    .uses_dynamic_stack: false
    .vgpr_count:     256
    .vgpr_spill_count: 0
    .wavefront_size: 64
  - .agpr_count:     8
    .args:
      - .offset:         0
        .size:           4
        .value_kind:     by_value
      - .offset:         4
        .size:           4
        .value_kind:     by_value
      - .address_space:  global
        .offset:         8
        .size:           8
        .value_kind:     global_buffer
      - .offset:         16
        .size:           4
        .value_kind:     by_value
      - .offset:         20
        .size:           4
        .value_kind:     by_value
      - .offset:         24
        .size:           8
        .value_kind:     by_value
    .group_segment_fixed_size: 1728
    .kernarg_segment_align: 8
    .kernarg_segment_size: 32
    .language:       OpenCL C
    .language_version:
      - 2
      - 0
    .max_flat_workgroup_size: 64
    .name:           _ZN9rocsolver6v33100L18trti2_kernel_smallILi54E19rocblas_complex_numIdEPS3_EEv13rocblas_fill_17rocblas_diagonal_T1_iil
    .private_segment_fixed_size: 880
    .sgpr_count:     18
    .sgpr_spill_count: 0
    .symbol:         _ZN9rocsolver6v33100L18trti2_kernel_smallILi54E19rocblas_complex_numIdEPS3_EEv13rocblas_fill_17rocblas_diagonal_T1_iil.kd
    .uniform_work_group_size: 1
    .uses_dynamic_stack: false
    .vgpr_count:     264
    .vgpr_spill_count: 0
    .wavefront_size: 64
  - .agpr_count:     2
    .args:
      - .offset:         0
        .size:           4
        .value_kind:     by_value
      - .offset:         4
        .size:           4
        .value_kind:     by_value
      - .address_space:  global
        .offset:         8
        .size:           8
        .value_kind:     global_buffer
      - .offset:         16
        .size:           4
        .value_kind:     by_value
      - .offset:         20
        .size:           4
        .value_kind:     by_value
      - .offset:         24
        .size:           8
        .value_kind:     by_value
    .group_segment_fixed_size: 1760
    .kernarg_segment_align: 8
    .kernarg_segment_size: 32
    .language:       OpenCL C
    .language_version:
      - 2
      - 0
    .max_flat_workgroup_size: 64
    .name:           _ZN9rocsolver6v33100L18trti2_kernel_smallILi55E19rocblas_complex_numIdEPS3_EEv13rocblas_fill_17rocblas_diagonal_T1_iil
    .private_segment_fixed_size: 896
    .sgpr_count:     18
    .sgpr_spill_count: 0
    .symbol:         _ZN9rocsolver6v33100L18trti2_kernel_smallILi55E19rocblas_complex_numIdEPS3_EEv13rocblas_fill_17rocblas_diagonal_T1_iil.kd
    .uniform_work_group_size: 1
    .uses_dynamic_stack: false
    .vgpr_count:     258
    .vgpr_spill_count: 0
    .wavefront_size: 64
  - .agpr_count:     7
    .args:
      - .offset:         0
        .size:           4
        .value_kind:     by_value
      - .offset:         4
        .size:           4
        .value_kind:     by_value
      - .address_space:  global
        .offset:         8
        .size:           8
        .value_kind:     global_buffer
      - .offset:         16
        .size:           4
        .value_kind:     by_value
      - .offset:         20
        .size:           4
        .value_kind:     by_value
      - .offset:         24
        .size:           8
        .value_kind:     by_value
    .group_segment_fixed_size: 1792
    .kernarg_segment_align: 8
    .kernarg_segment_size: 32
    .language:       OpenCL C
    .language_version:
      - 2
      - 0
    .max_flat_workgroup_size: 64
    .name:           _ZN9rocsolver6v33100L18trti2_kernel_smallILi56E19rocblas_complex_numIdEPS3_EEv13rocblas_fill_17rocblas_diagonal_T1_iil
    .private_segment_fixed_size: 912
    .sgpr_count:     18
    .sgpr_spill_count: 0
    .symbol:         _ZN9rocsolver6v33100L18trti2_kernel_smallILi56E19rocblas_complex_numIdEPS3_EEv13rocblas_fill_17rocblas_diagonal_T1_iil.kd
    .uniform_work_group_size: 1
    .uses_dynamic_stack: false
    .vgpr_count:     263
    .vgpr_spill_count: 0
    .wavefront_size: 64
  - .agpr_count:     2
    .args:
      - .offset:         0
        .size:           4
        .value_kind:     by_value
      - .offset:         4
        .size:           4
        .value_kind:     by_value
      - .address_space:  global
        .offset:         8
        .size:           8
        .value_kind:     global_buffer
      - .offset:         16
        .size:           4
        .value_kind:     by_value
      - .offset:         20
        .size:           4
        .value_kind:     by_value
      - .offset:         24
        .size:           8
        .value_kind:     by_value
    .group_segment_fixed_size: 1824
    .kernarg_segment_align: 8
    .kernarg_segment_size: 32
    .language:       OpenCL C
    .language_version:
      - 2
      - 0
    .max_flat_workgroup_size: 64
    .name:           _ZN9rocsolver6v33100L18trti2_kernel_smallILi57E19rocblas_complex_numIdEPS3_EEv13rocblas_fill_17rocblas_diagonal_T1_iil
    .private_segment_fixed_size: 928
    .sgpr_count:     18
    .sgpr_spill_count: 0
    .symbol:         _ZN9rocsolver6v33100L18trti2_kernel_smallILi57E19rocblas_complex_numIdEPS3_EEv13rocblas_fill_17rocblas_diagonal_T1_iil.kd
    .uniform_work_group_size: 1
    .uses_dynamic_stack: false
    .vgpr_count:     258
    .vgpr_spill_count: 0
    .wavefront_size: 64
  - .agpr_count:     10
    .args:
      - .offset:         0
        .size:           4
        .value_kind:     by_value
      - .offset:         4
        .size:           4
        .value_kind:     by_value
      - .address_space:  global
        .offset:         8
        .size:           8
        .value_kind:     global_buffer
      - .offset:         16
        .size:           4
        .value_kind:     by_value
      - .offset:         20
        .size:           4
        .value_kind:     by_value
      - .offset:         24
        .size:           8
        .value_kind:     by_value
    .group_segment_fixed_size: 1856
    .kernarg_segment_align: 8
    .kernarg_segment_size: 32
    .language:       OpenCL C
    .language_version:
      - 2
      - 0
    .max_flat_workgroup_size: 64
    .name:           _ZN9rocsolver6v33100L18trti2_kernel_smallILi58E19rocblas_complex_numIdEPS3_EEv13rocblas_fill_17rocblas_diagonal_T1_iil
    .private_segment_fixed_size: 944
    .sgpr_count:     18
    .sgpr_spill_count: 0
    .symbol:         _ZN9rocsolver6v33100L18trti2_kernel_smallILi58E19rocblas_complex_numIdEPS3_EEv13rocblas_fill_17rocblas_diagonal_T1_iil.kd
    .uniform_work_group_size: 1
    .uses_dynamic_stack: false
    .vgpr_count:     266
    .vgpr_spill_count: 0
    .wavefront_size: 64
  - .agpr_count:     2
    .args:
      - .offset:         0
        .size:           4
        .value_kind:     by_value
      - .offset:         4
        .size:           4
        .value_kind:     by_value
      - .address_space:  global
        .offset:         8
        .size:           8
        .value_kind:     global_buffer
      - .offset:         16
        .size:           4
        .value_kind:     by_value
      - .offset:         20
        .size:           4
        .value_kind:     by_value
      - .offset:         24
        .size:           8
        .value_kind:     by_value
    .group_segment_fixed_size: 1888
    .kernarg_segment_align: 8
    .kernarg_segment_size: 32
    .language:       OpenCL C
    .language_version:
      - 2
      - 0
    .max_flat_workgroup_size: 64
    .name:           _ZN9rocsolver6v33100L18trti2_kernel_smallILi59E19rocblas_complex_numIdEPS3_EEv13rocblas_fill_17rocblas_diagonal_T1_iil
    .private_segment_fixed_size: 960
    .sgpr_count:     18
    .sgpr_spill_count: 0
    .symbol:         _ZN9rocsolver6v33100L18trti2_kernel_smallILi59E19rocblas_complex_numIdEPS3_EEv13rocblas_fill_17rocblas_diagonal_T1_iil.kd
    .uniform_work_group_size: 1
    .uses_dynamic_stack: false
    .vgpr_count:     258
    .vgpr_spill_count: 0
    .wavefront_size: 64
  - .agpr_count:     6
    .args:
      - .offset:         0
        .size:           4
        .value_kind:     by_value
      - .offset:         4
        .size:           4
        .value_kind:     by_value
      - .address_space:  global
        .offset:         8
        .size:           8
        .value_kind:     global_buffer
      - .offset:         16
        .size:           4
        .value_kind:     by_value
      - .offset:         20
        .size:           4
        .value_kind:     by_value
      - .offset:         24
        .size:           8
        .value_kind:     by_value
    .group_segment_fixed_size: 1920
    .kernarg_segment_align: 8
    .kernarg_segment_size: 32
    .language:       OpenCL C
    .language_version:
      - 2
      - 0
    .max_flat_workgroup_size: 64
    .name:           _ZN9rocsolver6v33100L18trti2_kernel_smallILi60E19rocblas_complex_numIdEPS3_EEv13rocblas_fill_17rocblas_diagonal_T1_iil
    .private_segment_fixed_size: 976
    .sgpr_count:     18
    .sgpr_spill_count: 0
    .symbol:         _ZN9rocsolver6v33100L18trti2_kernel_smallILi60E19rocblas_complex_numIdEPS3_EEv13rocblas_fill_17rocblas_diagonal_T1_iil.kd
    .uniform_work_group_size: 1
    .uses_dynamic_stack: false
    .vgpr_count:     262
    .vgpr_spill_count: 0
    .wavefront_size: 64
  - .agpr_count:     2
    .args:
      - .offset:         0
        .size:           4
        .value_kind:     by_value
      - .offset:         4
        .size:           4
        .value_kind:     by_value
      - .address_space:  global
        .offset:         8
        .size:           8
        .value_kind:     global_buffer
      - .offset:         16
        .size:           4
        .value_kind:     by_value
      - .offset:         20
        .size:           4
        .value_kind:     by_value
      - .offset:         24
        .size:           8
        .value_kind:     by_value
    .group_segment_fixed_size: 1952
    .kernarg_segment_align: 8
    .kernarg_segment_size: 32
    .language:       OpenCL C
    .language_version:
      - 2
      - 0
    .max_flat_workgroup_size: 64
    .name:           _ZN9rocsolver6v33100L18trti2_kernel_smallILi61E19rocblas_complex_numIdEPS3_EEv13rocblas_fill_17rocblas_diagonal_T1_iil
    .private_segment_fixed_size: 992
    .sgpr_count:     30
    .sgpr_spill_count: 0
    .symbol:         _ZN9rocsolver6v33100L18trti2_kernel_smallILi61E19rocblas_complex_numIdEPS3_EEv13rocblas_fill_17rocblas_diagonal_T1_iil.kd
    .uniform_work_group_size: 1
    .uses_dynamic_stack: false
    .vgpr_count:     258
    .vgpr_spill_count: 0
    .wavefront_size: 64
  - .agpr_count:     7
    .args:
      - .offset:         0
        .size:           4
        .value_kind:     by_value
      - .offset:         4
        .size:           4
        .value_kind:     by_value
      - .address_space:  global
        .offset:         8
        .size:           8
        .value_kind:     global_buffer
      - .offset:         16
        .size:           4
        .value_kind:     by_value
      - .offset:         20
        .size:           4
        .value_kind:     by_value
      - .offset:         24
        .size:           8
        .value_kind:     by_value
    .group_segment_fixed_size: 1984
    .kernarg_segment_align: 8
    .kernarg_segment_size: 32
    .language:       OpenCL C
    .language_version:
      - 2
      - 0
    .max_flat_workgroup_size: 64
    .name:           _ZN9rocsolver6v33100L18trti2_kernel_smallILi62E19rocblas_complex_numIdEPS3_EEv13rocblas_fill_17rocblas_diagonal_T1_iil
    .private_segment_fixed_size: 1008
    .sgpr_count:     30
    .sgpr_spill_count: 0
    .symbol:         _ZN9rocsolver6v33100L18trti2_kernel_smallILi62E19rocblas_complex_numIdEPS3_EEv13rocblas_fill_17rocblas_diagonal_T1_iil.kd
    .uniform_work_group_size: 1
    .uses_dynamic_stack: false
    .vgpr_count:     263
    .vgpr_spill_count: 0
    .wavefront_size: 64
  - .agpr_count:     2
    .args:
      - .offset:         0
        .size:           4
        .value_kind:     by_value
      - .offset:         4
        .size:           4
        .value_kind:     by_value
      - .address_space:  global
        .offset:         8
        .size:           8
        .value_kind:     global_buffer
      - .offset:         16
        .size:           4
        .value_kind:     by_value
      - .offset:         20
        .size:           4
        .value_kind:     by_value
      - .offset:         24
        .size:           8
        .value_kind:     by_value
    .group_segment_fixed_size: 2016
    .kernarg_segment_align: 8
    .kernarg_segment_size: 32
    .language:       OpenCL C
    .language_version:
      - 2
      - 0
    .max_flat_workgroup_size: 64
    .name:           _ZN9rocsolver6v33100L18trti2_kernel_smallILi63E19rocblas_complex_numIdEPS3_EEv13rocblas_fill_17rocblas_diagonal_T1_iil
    .private_segment_fixed_size: 1024
    .sgpr_count:     30
    .sgpr_spill_count: 0
    .symbol:         _ZN9rocsolver6v33100L18trti2_kernel_smallILi63E19rocblas_complex_numIdEPS3_EEv13rocblas_fill_17rocblas_diagonal_T1_iil.kd
    .uniform_work_group_size: 1
    .uses_dynamic_stack: false
    .vgpr_count:     258
    .vgpr_spill_count: 0
    .wavefront_size: 64
  - .agpr_count:     8
    .args:
      - .offset:         0
        .size:           4
        .value_kind:     by_value
      - .offset:         4
        .size:           4
        .value_kind:     by_value
      - .address_space:  global
        .offset:         8
        .size:           8
        .value_kind:     global_buffer
      - .offset:         16
        .size:           4
        .value_kind:     by_value
      - .offset:         20
        .size:           4
        .value_kind:     by_value
      - .offset:         24
        .size:           8
        .value_kind:     by_value
    .group_segment_fixed_size: 2048
    .kernarg_segment_align: 8
    .kernarg_segment_size: 32
    .language:       OpenCL C
    .language_version:
      - 2
      - 0
    .max_flat_workgroup_size: 64
    .name:           _ZN9rocsolver6v33100L18trti2_kernel_smallILi64E19rocblas_complex_numIdEPS3_EEv13rocblas_fill_17rocblas_diagonal_T1_iil
    .private_segment_fixed_size: 1040
    .sgpr_count:     30
    .sgpr_spill_count: 0
    .symbol:         _ZN9rocsolver6v33100L18trti2_kernel_smallILi64E19rocblas_complex_numIdEPS3_EEv13rocblas_fill_17rocblas_diagonal_T1_iil.kd
    .uniform_work_group_size: 1
    .uses_dynamic_stack: false
    .vgpr_count:     264
    .vgpr_spill_count: 0
    .wavefront_size: 64
  - .agpr_count:     0
    .args:
      - .offset:         0
        .size:           4
        .value_kind:     by_value
      - .offset:         4
        .size:           4
        .value_kind:     by_value
      - .address_space:  global
        .offset:         8
        .size:           8
        .value_kind:     global_buffer
      - .offset:         16
        .size:           4
        .value_kind:     by_value
      - .offset:         20
        .size:           4
        .value_kind:     by_value
      - .offset:         24
        .size:           8
        .value_kind:     by_value
    .group_segment_fixed_size: 0
    .kernarg_segment_align: 8
    .kernarg_segment_size: 32
    .language:       OpenCL C
    .language_version:
      - 2
      - 0
    .max_flat_workgroup_size: 64
    .name:           _ZN9rocsolver6v33100L18trti2_kernel_smallILi1E19rocblas_complex_numIdEPKPS3_EEv13rocblas_fill_17rocblas_diagonal_T1_iil
    .private_segment_fixed_size: 0
    .sgpr_count:     19
    .sgpr_spill_count: 0
    .symbol:         _ZN9rocsolver6v33100L18trti2_kernel_smallILi1E19rocblas_complex_numIdEPKPS3_EEv13rocblas_fill_17rocblas_diagonal_T1_iil.kd
    .uniform_work_group_size: 1
    .uses_dynamic_stack: false
    .vgpr_count:     12
    .vgpr_spill_count: 0
    .wavefront_size: 64
  - .agpr_count:     0
    .args:
      - .offset:         0
        .size:           4
        .value_kind:     by_value
      - .offset:         4
        .size:           4
        .value_kind:     by_value
      - .address_space:  global
        .offset:         8
        .size:           8
        .value_kind:     global_buffer
      - .offset:         16
        .size:           4
        .value_kind:     by_value
      - .offset:         20
        .size:           4
        .value_kind:     by_value
      - .offset:         24
        .size:           8
        .value_kind:     by_value
    .group_segment_fixed_size: 64
    .kernarg_segment_align: 8
    .kernarg_segment_size: 32
    .language:       OpenCL C
    .language_version:
      - 2
      - 0
    .max_flat_workgroup_size: 64
    .name:           _ZN9rocsolver6v33100L18trti2_kernel_smallILi2E19rocblas_complex_numIdEPKPS3_EEv13rocblas_fill_17rocblas_diagonal_T1_iil
    .private_segment_fixed_size: 48
    .sgpr_count:     16
    .sgpr_spill_count: 0
    .symbol:         _ZN9rocsolver6v33100L18trti2_kernel_smallILi2E19rocblas_complex_numIdEPKPS3_EEv13rocblas_fill_17rocblas_diagonal_T1_iil.kd
    .uniform_work_group_size: 1
    .uses_dynamic_stack: false
    .vgpr_count:     22
    .vgpr_spill_count: 0
    .wavefront_size: 64
  - .agpr_count:     0
    .args:
      - .offset:         0
        .size:           4
        .value_kind:     by_value
      - .offset:         4
        .size:           4
        .value_kind:     by_value
      - .address_space:  global
        .offset:         8
        .size:           8
        .value_kind:     global_buffer
      - .offset:         16
        .size:           4
        .value_kind:     by_value
      - .offset:         20
        .size:           4
        .value_kind:     by_value
      - .offset:         24
        .size:           8
        .value_kind:     by_value
    .group_segment_fixed_size: 96
    .kernarg_segment_align: 8
    .kernarg_segment_size: 32
    .language:       OpenCL C
    .language_version:
      - 2
      - 0
    .max_flat_workgroup_size: 64
    .name:           _ZN9rocsolver6v33100L18trti2_kernel_smallILi3E19rocblas_complex_numIdEPKPS3_EEv13rocblas_fill_17rocblas_diagonal_T1_iil
    .private_segment_fixed_size: 64
    .sgpr_count:     16
    .sgpr_spill_count: 0
    .symbol:         _ZN9rocsolver6v33100L18trti2_kernel_smallILi3E19rocblas_complex_numIdEPKPS3_EEv13rocblas_fill_17rocblas_diagonal_T1_iil.kd
    .uniform_work_group_size: 1
    .uses_dynamic_stack: false
    .vgpr_count:     28
    .vgpr_spill_count: 0
    .wavefront_size: 64
  - .agpr_count:     0
    .args:
      - .offset:         0
        .size:           4
        .value_kind:     by_value
      - .offset:         4
        .size:           4
        .value_kind:     by_value
      - .address_space:  global
        .offset:         8
        .size:           8
        .value_kind:     global_buffer
      - .offset:         16
        .size:           4
        .value_kind:     by_value
      - .offset:         20
        .size:           4
        .value_kind:     by_value
      - .offset:         24
        .size:           8
        .value_kind:     by_value
    .group_segment_fixed_size: 128
    .kernarg_segment_align: 8
    .kernarg_segment_size: 32
    .language:       OpenCL C
    .language_version:
      - 2
      - 0
    .max_flat_workgroup_size: 64
    .name:           _ZN9rocsolver6v33100L18trti2_kernel_smallILi4E19rocblas_complex_numIdEPKPS3_EEv13rocblas_fill_17rocblas_diagonal_T1_iil
    .private_segment_fixed_size: 80
    .sgpr_count:     18
    .sgpr_spill_count: 0
    .symbol:         _ZN9rocsolver6v33100L18trti2_kernel_smallILi4E19rocblas_complex_numIdEPKPS3_EEv13rocblas_fill_17rocblas_diagonal_T1_iil.kd
    .uniform_work_group_size: 1
    .uses_dynamic_stack: false
    .vgpr_count:     32
    .vgpr_spill_count: 0
    .wavefront_size: 64
  - .agpr_count:     0
    .args:
      - .offset:         0
        .size:           4
        .value_kind:     by_value
      - .offset:         4
        .size:           4
        .value_kind:     by_value
      - .address_space:  global
        .offset:         8
        .size:           8
        .value_kind:     global_buffer
      - .offset:         16
        .size:           4
        .value_kind:     by_value
      - .offset:         20
        .size:           4
        .value_kind:     by_value
      - .offset:         24
        .size:           8
        .value_kind:     by_value
    .group_segment_fixed_size: 160
    .kernarg_segment_align: 8
    .kernarg_segment_size: 32
    .language:       OpenCL C
    .language_version:
      - 2
      - 0
    .max_flat_workgroup_size: 64
    .name:           _ZN9rocsolver6v33100L18trti2_kernel_smallILi5E19rocblas_complex_numIdEPKPS3_EEv13rocblas_fill_17rocblas_diagonal_T1_iil
    .private_segment_fixed_size: 96
    .sgpr_count:     20
    .sgpr_spill_count: 0
    .symbol:         _ZN9rocsolver6v33100L18trti2_kernel_smallILi5E19rocblas_complex_numIdEPKPS3_EEv13rocblas_fill_17rocblas_diagonal_T1_iil.kd
    .uniform_work_group_size: 1
    .uses_dynamic_stack: false
    .vgpr_count:     38
    .vgpr_spill_count: 0
    .wavefront_size: 64
  - .agpr_count:     0
    .args:
      - .offset:         0
        .size:           4
        .value_kind:     by_value
      - .offset:         4
        .size:           4
        .value_kind:     by_value
      - .address_space:  global
        .offset:         8
        .size:           8
        .value_kind:     global_buffer
      - .offset:         16
        .size:           4
        .value_kind:     by_value
      - .offset:         20
        .size:           4
        .value_kind:     by_value
      - .offset:         24
        .size:           8
        .value_kind:     by_value
    .group_segment_fixed_size: 192
    .kernarg_segment_align: 8
    .kernarg_segment_size: 32
    .language:       OpenCL C
    .language_version:
      - 2
      - 0
    .max_flat_workgroup_size: 64
    .name:           _ZN9rocsolver6v33100L18trti2_kernel_smallILi6E19rocblas_complex_numIdEPKPS3_EEv13rocblas_fill_17rocblas_diagonal_T1_iil
    .private_segment_fixed_size: 112
    .sgpr_count:     18
    .sgpr_spill_count: 0
    .symbol:         _ZN9rocsolver6v33100L18trti2_kernel_smallILi6E19rocblas_complex_numIdEPKPS3_EEv13rocblas_fill_17rocblas_diagonal_T1_iil.kd
    .uniform_work_group_size: 1
    .uses_dynamic_stack: false
    .vgpr_count:     44
    .vgpr_spill_count: 0
    .wavefront_size: 64
  - .agpr_count:     0
    .args:
      - .offset:         0
        .size:           4
        .value_kind:     by_value
      - .offset:         4
        .size:           4
        .value_kind:     by_value
      - .address_space:  global
        .offset:         8
        .size:           8
        .value_kind:     global_buffer
      - .offset:         16
        .size:           4
        .value_kind:     by_value
      - .offset:         20
        .size:           4
        .value_kind:     by_value
      - .offset:         24
        .size:           8
        .value_kind:     by_value
    .group_segment_fixed_size: 224
    .kernarg_segment_align: 8
    .kernarg_segment_size: 32
    .language:       OpenCL C
    .language_version:
      - 2
      - 0
    .max_flat_workgroup_size: 64
    .name:           _ZN9rocsolver6v33100L18trti2_kernel_smallILi7E19rocblas_complex_numIdEPKPS3_EEv13rocblas_fill_17rocblas_diagonal_T1_iil
    .private_segment_fixed_size: 128
    .sgpr_count:     18
    .sgpr_spill_count: 0
    .symbol:         _ZN9rocsolver6v33100L18trti2_kernel_smallILi7E19rocblas_complex_numIdEPKPS3_EEv13rocblas_fill_17rocblas_diagonal_T1_iil.kd
    .uniform_work_group_size: 1
    .uses_dynamic_stack: false
    .vgpr_count:     50
    .vgpr_spill_count: 0
    .wavefront_size: 64
  - .agpr_count:     0
    .args:
      - .offset:         0
        .size:           4
        .value_kind:     by_value
      - .offset:         4
        .size:           4
        .value_kind:     by_value
      - .address_space:  global
        .offset:         8
        .size:           8
        .value_kind:     global_buffer
      - .offset:         16
        .size:           4
        .value_kind:     by_value
      - .offset:         20
        .size:           4
        .value_kind:     by_value
      - .offset:         24
        .size:           8
        .value_kind:     by_value
    .group_segment_fixed_size: 256
    .kernarg_segment_align: 8
    .kernarg_segment_size: 32
    .language:       OpenCL C
    .language_version:
      - 2
      - 0
    .max_flat_workgroup_size: 64
    .name:           _ZN9rocsolver6v33100L18trti2_kernel_smallILi8E19rocblas_complex_numIdEPKPS3_EEv13rocblas_fill_17rocblas_diagonal_T1_iil
    .private_segment_fixed_size: 144
    .sgpr_count:     18
    .sgpr_spill_count: 0
    .symbol:         _ZN9rocsolver6v33100L18trti2_kernel_smallILi8E19rocblas_complex_numIdEPKPS3_EEv13rocblas_fill_17rocblas_diagonal_T1_iil.kd
    .uniform_work_group_size: 1
    .uses_dynamic_stack: false
    .vgpr_count:     58
    .vgpr_spill_count: 0
    .wavefront_size: 64
  - .agpr_count:     0
    .args:
      - .offset:         0
        .size:           4
        .value_kind:     by_value
      - .offset:         4
        .size:           4
        .value_kind:     by_value
      - .address_space:  global
        .offset:         8
        .size:           8
        .value_kind:     global_buffer
      - .offset:         16
        .size:           4
        .value_kind:     by_value
      - .offset:         20
        .size:           4
        .value_kind:     by_value
      - .offset:         24
        .size:           8
        .value_kind:     by_value
    .group_segment_fixed_size: 288
    .kernarg_segment_align: 8
    .kernarg_segment_size: 32
    .language:       OpenCL C
    .language_version:
      - 2
      - 0
    .max_flat_workgroup_size: 64
    .name:           _ZN9rocsolver6v33100L18trti2_kernel_smallILi9E19rocblas_complex_numIdEPKPS3_EEv13rocblas_fill_17rocblas_diagonal_T1_iil
    .private_segment_fixed_size: 160
    .sgpr_count:     18
    .sgpr_spill_count: 0
    .symbol:         _ZN9rocsolver6v33100L18trti2_kernel_smallILi9E19rocblas_complex_numIdEPKPS3_EEv13rocblas_fill_17rocblas_diagonal_T1_iil.kd
    .uniform_work_group_size: 1
    .uses_dynamic_stack: false
    .vgpr_count:     64
    .vgpr_spill_count: 0
    .wavefront_size: 64
  - .agpr_count:     0
    .args:
      - .offset:         0
        .size:           4
        .value_kind:     by_value
      - .offset:         4
        .size:           4
        .value_kind:     by_value
      - .address_space:  global
        .offset:         8
        .size:           8
        .value_kind:     global_buffer
      - .offset:         16
        .size:           4
        .value_kind:     by_value
      - .offset:         20
        .size:           4
        .value_kind:     by_value
      - .offset:         24
        .size:           8
        .value_kind:     by_value
    .group_segment_fixed_size: 320
    .kernarg_segment_align: 8
    .kernarg_segment_size: 32
    .language:       OpenCL C
    .language_version:
      - 2
      - 0
    .max_flat_workgroup_size: 64
    .name:           _ZN9rocsolver6v33100L18trti2_kernel_smallILi10E19rocblas_complex_numIdEPKPS3_EEv13rocblas_fill_17rocblas_diagonal_T1_iil
    .private_segment_fixed_size: 176
    .sgpr_count:     18
    .sgpr_spill_count: 0
    .symbol:         _ZN9rocsolver6v33100L18trti2_kernel_smallILi10E19rocblas_complex_numIdEPKPS3_EEv13rocblas_fill_17rocblas_diagonal_T1_iil.kd
    .uniform_work_group_size: 1
    .uses_dynamic_stack: false
    .vgpr_count:     72
    .vgpr_spill_count: 0
    .wavefront_size: 64
  - .agpr_count:     0
    .args:
      - .offset:         0
        .size:           4
        .value_kind:     by_value
      - .offset:         4
        .size:           4
        .value_kind:     by_value
      - .address_space:  global
        .offset:         8
        .size:           8
        .value_kind:     global_buffer
      - .offset:         16
        .size:           4
        .value_kind:     by_value
      - .offset:         20
        .size:           4
        .value_kind:     by_value
      - .offset:         24
        .size:           8
        .value_kind:     by_value
    .group_segment_fixed_size: 352
    .kernarg_segment_align: 8
    .kernarg_segment_size: 32
    .language:       OpenCL C
    .language_version:
      - 2
      - 0
    .max_flat_workgroup_size: 64
    .name:           _ZN9rocsolver6v33100L18trti2_kernel_smallILi11E19rocblas_complex_numIdEPKPS3_EEv13rocblas_fill_17rocblas_diagonal_T1_iil
    .private_segment_fixed_size: 192
    .sgpr_count:     18
    .sgpr_spill_count: 0
    .symbol:         _ZN9rocsolver6v33100L18trti2_kernel_smallILi11E19rocblas_complex_numIdEPKPS3_EEv13rocblas_fill_17rocblas_diagonal_T1_iil.kd
    .uniform_work_group_size: 1
    .uses_dynamic_stack: false
    .vgpr_count:     70
    .vgpr_spill_count: 0
    .wavefront_size: 64
  - .agpr_count:     0
    .args:
      - .offset:         0
        .size:           4
        .value_kind:     by_value
      - .offset:         4
        .size:           4
        .value_kind:     by_value
      - .address_space:  global
        .offset:         8
        .size:           8
        .value_kind:     global_buffer
      - .offset:         16
        .size:           4
        .value_kind:     by_value
      - .offset:         20
        .size:           4
        .value_kind:     by_value
      - .offset:         24
        .size:           8
        .value_kind:     by_value
    .group_segment_fixed_size: 384
    .kernarg_segment_align: 8
    .kernarg_segment_size: 32
    .language:       OpenCL C
    .language_version:
      - 2
      - 0
    .max_flat_workgroup_size: 64
    .name:           _ZN9rocsolver6v33100L18trti2_kernel_smallILi12E19rocblas_complex_numIdEPKPS3_EEv13rocblas_fill_17rocblas_diagonal_T1_iil
    .private_segment_fixed_size: 208
    .sgpr_count:     18
    .sgpr_spill_count: 0
    .symbol:         _ZN9rocsolver6v33100L18trti2_kernel_smallILi12E19rocblas_complex_numIdEPKPS3_EEv13rocblas_fill_17rocblas_diagonal_T1_iil.kd
    .uniform_work_group_size: 1
    .uses_dynamic_stack: false
    .vgpr_count:     70
    .vgpr_spill_count: 0
    .wavefront_size: 64
  - .agpr_count:     0
    .args:
      - .offset:         0
        .size:           4
        .value_kind:     by_value
      - .offset:         4
        .size:           4
        .value_kind:     by_value
      - .address_space:  global
        .offset:         8
        .size:           8
        .value_kind:     global_buffer
      - .offset:         16
        .size:           4
        .value_kind:     by_value
      - .offset:         20
        .size:           4
        .value_kind:     by_value
      - .offset:         24
        .size:           8
        .value_kind:     by_value
    .group_segment_fixed_size: 416
    .kernarg_segment_align: 8
    .kernarg_segment_size: 32
    .language:       OpenCL C
    .language_version:
      - 2
      - 0
    .max_flat_workgroup_size: 64
    .name:           _ZN9rocsolver6v33100L18trti2_kernel_smallILi13E19rocblas_complex_numIdEPKPS3_EEv13rocblas_fill_17rocblas_diagonal_T1_iil
    .private_segment_fixed_size: 224
    .sgpr_count:     18
    .sgpr_spill_count: 0
    .symbol:         _ZN9rocsolver6v33100L18trti2_kernel_smallILi13E19rocblas_complex_numIdEPKPS3_EEv13rocblas_fill_17rocblas_diagonal_T1_iil.kd
    .uniform_work_group_size: 1
    .uses_dynamic_stack: false
    .vgpr_count:     68
    .vgpr_spill_count: 0
    .wavefront_size: 64
  - .agpr_count:     0
    .args:
      - .offset:         0
        .size:           4
        .value_kind:     by_value
      - .offset:         4
        .size:           4
        .value_kind:     by_value
      - .address_space:  global
        .offset:         8
        .size:           8
        .value_kind:     global_buffer
      - .offset:         16
        .size:           4
        .value_kind:     by_value
      - .offset:         20
        .size:           4
        .value_kind:     by_value
      - .offset:         24
        .size:           8
        .value_kind:     by_value
    .group_segment_fixed_size: 448
    .kernarg_segment_align: 8
    .kernarg_segment_size: 32
    .language:       OpenCL C
    .language_version:
      - 2
      - 0
    .max_flat_workgroup_size: 64
    .name:           _ZN9rocsolver6v33100L18trti2_kernel_smallILi14E19rocblas_complex_numIdEPKPS3_EEv13rocblas_fill_17rocblas_diagonal_T1_iil
    .private_segment_fixed_size: 240
    .sgpr_count:     18
    .sgpr_spill_count: 0
    .symbol:         _ZN9rocsolver6v33100L18trti2_kernel_smallILi14E19rocblas_complex_numIdEPKPS3_EEv13rocblas_fill_17rocblas_diagonal_T1_iil.kd
    .uniform_work_group_size: 1
    .uses_dynamic_stack: false
    .vgpr_count:     72
    .vgpr_spill_count: 0
    .wavefront_size: 64
  - .agpr_count:     0
    .args:
      - .offset:         0
        .size:           4
        .value_kind:     by_value
      - .offset:         4
        .size:           4
        .value_kind:     by_value
      - .address_space:  global
        .offset:         8
        .size:           8
        .value_kind:     global_buffer
      - .offset:         16
        .size:           4
        .value_kind:     by_value
      - .offset:         20
        .size:           4
        .value_kind:     by_value
      - .offset:         24
        .size:           8
        .value_kind:     by_value
    .group_segment_fixed_size: 480
    .kernarg_segment_align: 8
    .kernarg_segment_size: 32
    .language:       OpenCL C
    .language_version:
      - 2
      - 0
    .max_flat_workgroup_size: 64
    .name:           _ZN9rocsolver6v33100L18trti2_kernel_smallILi15E19rocblas_complex_numIdEPKPS3_EEv13rocblas_fill_17rocblas_diagonal_T1_iil
    .private_segment_fixed_size: 256
    .sgpr_count:     18
    .sgpr_spill_count: 0
    .symbol:         _ZN9rocsolver6v33100L18trti2_kernel_smallILi15E19rocblas_complex_numIdEPKPS3_EEv13rocblas_fill_17rocblas_diagonal_T1_iil.kd
    .uniform_work_group_size: 1
    .uses_dynamic_stack: false
    .vgpr_count:     74
    .vgpr_spill_count: 0
    .wavefront_size: 64
  - .agpr_count:     0
    .args:
      - .offset:         0
        .size:           4
        .value_kind:     by_value
      - .offset:         4
        .size:           4
        .value_kind:     by_value
      - .address_space:  global
        .offset:         8
        .size:           8
        .value_kind:     global_buffer
      - .offset:         16
        .size:           4
        .value_kind:     by_value
      - .offset:         20
        .size:           4
        .value_kind:     by_value
      - .offset:         24
        .size:           8
        .value_kind:     by_value
    .group_segment_fixed_size: 512
    .kernarg_segment_align: 8
    .kernarg_segment_size: 32
    .language:       OpenCL C
    .language_version:
      - 2
      - 0
    .max_flat_workgroup_size: 64
    .name:           _ZN9rocsolver6v33100L18trti2_kernel_smallILi16E19rocblas_complex_numIdEPKPS3_EEv13rocblas_fill_17rocblas_diagonal_T1_iil
    .private_segment_fixed_size: 272
    .sgpr_count:     18
    .sgpr_spill_count: 0
    .symbol:         _ZN9rocsolver6v33100L18trti2_kernel_smallILi16E19rocblas_complex_numIdEPKPS3_EEv13rocblas_fill_17rocblas_diagonal_T1_iil.kd
    .uniform_work_group_size: 1
    .uses_dynamic_stack: false
    .vgpr_count:     78
    .vgpr_spill_count: 0
    .wavefront_size: 64
  - .agpr_count:     0
    .args:
      - .offset:         0
        .size:           4
        .value_kind:     by_value
      - .offset:         4
        .size:           4
        .value_kind:     by_value
      - .address_space:  global
        .offset:         8
        .size:           8
        .value_kind:     global_buffer
      - .offset:         16
        .size:           4
        .value_kind:     by_value
      - .offset:         20
        .size:           4
        .value_kind:     by_value
      - .offset:         24
        .size:           8
        .value_kind:     by_value
    .group_segment_fixed_size: 544
    .kernarg_segment_align: 8
    .kernarg_segment_size: 32
    .language:       OpenCL C
    .language_version:
      - 2
      - 0
    .max_flat_workgroup_size: 64
    .name:           _ZN9rocsolver6v33100L18trti2_kernel_smallILi17E19rocblas_complex_numIdEPKPS3_EEv13rocblas_fill_17rocblas_diagonal_T1_iil
    .private_segment_fixed_size: 288
    .sgpr_count:     18
    .sgpr_spill_count: 0
    .symbol:         _ZN9rocsolver6v33100L18trti2_kernel_smallILi17E19rocblas_complex_numIdEPKPS3_EEv13rocblas_fill_17rocblas_diagonal_T1_iil.kd
    .uniform_work_group_size: 1
    .uses_dynamic_stack: false
    .vgpr_count:     80
    .vgpr_spill_count: 0
    .wavefront_size: 64
  - .agpr_count:     0
    .args:
      - .offset:         0
        .size:           4
        .value_kind:     by_value
      - .offset:         4
        .size:           4
        .value_kind:     by_value
      - .address_space:  global
        .offset:         8
        .size:           8
        .value_kind:     global_buffer
      - .offset:         16
        .size:           4
        .value_kind:     by_value
      - .offset:         20
        .size:           4
        .value_kind:     by_value
      - .offset:         24
        .size:           8
        .value_kind:     by_value
    .group_segment_fixed_size: 576
    .kernarg_segment_align: 8
    .kernarg_segment_size: 32
    .language:       OpenCL C
    .language_version:
      - 2
      - 0
    .max_flat_workgroup_size: 64
    .name:           _ZN9rocsolver6v33100L18trti2_kernel_smallILi18E19rocblas_complex_numIdEPKPS3_EEv13rocblas_fill_17rocblas_diagonal_T1_iil
    .private_segment_fixed_size: 304
    .sgpr_count:     18
    .sgpr_spill_count: 0
    .symbol:         _ZN9rocsolver6v33100L18trti2_kernel_smallILi18E19rocblas_complex_numIdEPKPS3_EEv13rocblas_fill_17rocblas_diagonal_T1_iil.kd
    .uniform_work_group_size: 1
    .uses_dynamic_stack: false
    .vgpr_count:     84
    .vgpr_spill_count: 0
    .wavefront_size: 64
  - .agpr_count:     0
    .args:
      - .offset:         0
        .size:           4
        .value_kind:     by_value
      - .offset:         4
        .size:           4
        .value_kind:     by_value
      - .address_space:  global
        .offset:         8
        .size:           8
        .value_kind:     global_buffer
      - .offset:         16
        .size:           4
        .value_kind:     by_value
      - .offset:         20
        .size:           4
        .value_kind:     by_value
      - .offset:         24
        .size:           8
        .value_kind:     by_value
    .group_segment_fixed_size: 608
    .kernarg_segment_align: 8
    .kernarg_segment_size: 32
    .language:       OpenCL C
    .language_version:
      - 2
      - 0
    .max_flat_workgroup_size: 64
    .name:           _ZN9rocsolver6v33100L18trti2_kernel_smallILi19E19rocblas_complex_numIdEPKPS3_EEv13rocblas_fill_17rocblas_diagonal_T1_iil
    .private_segment_fixed_size: 320
    .sgpr_count:     18
    .sgpr_spill_count: 0
    .symbol:         _ZN9rocsolver6v33100L18trti2_kernel_smallILi19E19rocblas_complex_numIdEPKPS3_EEv13rocblas_fill_17rocblas_diagonal_T1_iil.kd
    .uniform_work_group_size: 1
    .uses_dynamic_stack: false
    .vgpr_count:     82
    .vgpr_spill_count: 0
    .wavefront_size: 64
  - .agpr_count:     0
    .args:
      - .offset:         0
        .size:           4
        .value_kind:     by_value
      - .offset:         4
        .size:           4
        .value_kind:     by_value
      - .address_space:  global
        .offset:         8
        .size:           8
        .value_kind:     global_buffer
      - .offset:         16
        .size:           4
        .value_kind:     by_value
      - .offset:         20
        .size:           4
        .value_kind:     by_value
      - .offset:         24
        .size:           8
        .value_kind:     by_value
    .group_segment_fixed_size: 640
    .kernarg_segment_align: 8
    .kernarg_segment_size: 32
    .language:       OpenCL C
    .language_version:
      - 2
      - 0
    .max_flat_workgroup_size: 64
    .name:           _ZN9rocsolver6v33100L18trti2_kernel_smallILi20E19rocblas_complex_numIdEPKPS3_EEv13rocblas_fill_17rocblas_diagonal_T1_iil
    .private_segment_fixed_size: 336
    .sgpr_count:     18
    .sgpr_spill_count: 0
    .symbol:         _ZN9rocsolver6v33100L18trti2_kernel_smallILi20E19rocblas_complex_numIdEPKPS3_EEv13rocblas_fill_17rocblas_diagonal_T1_iil.kd
    .uniform_work_group_size: 1
    .uses_dynamic_stack: false
    .vgpr_count:     102
    .vgpr_spill_count: 0
    .wavefront_size: 64
  - .agpr_count:     0
    .args:
      - .offset:         0
        .size:           4
        .value_kind:     by_value
      - .offset:         4
        .size:           4
        .value_kind:     by_value
      - .address_space:  global
        .offset:         8
        .size:           8
        .value_kind:     global_buffer
      - .offset:         16
        .size:           4
        .value_kind:     by_value
      - .offset:         20
        .size:           4
        .value_kind:     by_value
      - .offset:         24
        .size:           8
        .value_kind:     by_value
    .group_segment_fixed_size: 672
    .kernarg_segment_align: 8
    .kernarg_segment_size: 32
    .language:       OpenCL C
    .language_version:
      - 2
      - 0
    .max_flat_workgroup_size: 64
    .name:           _ZN9rocsolver6v33100L18trti2_kernel_smallILi21E19rocblas_complex_numIdEPKPS3_EEv13rocblas_fill_17rocblas_diagonal_T1_iil
    .private_segment_fixed_size: 352
    .sgpr_count:     18
    .sgpr_spill_count: 0
    .symbol:         _ZN9rocsolver6v33100L18trti2_kernel_smallILi21E19rocblas_complex_numIdEPKPS3_EEv13rocblas_fill_17rocblas_diagonal_T1_iil.kd
    .uniform_work_group_size: 1
    .uses_dynamic_stack: false
    .vgpr_count:     100
    .vgpr_spill_count: 0
    .wavefront_size: 64
  - .agpr_count:     0
    .args:
      - .offset:         0
        .size:           4
        .value_kind:     by_value
      - .offset:         4
        .size:           4
        .value_kind:     by_value
      - .address_space:  global
        .offset:         8
        .size:           8
        .value_kind:     global_buffer
      - .offset:         16
        .size:           4
        .value_kind:     by_value
      - .offset:         20
        .size:           4
        .value_kind:     by_value
      - .offset:         24
        .size:           8
        .value_kind:     by_value
    .group_segment_fixed_size: 704
    .kernarg_segment_align: 8
    .kernarg_segment_size: 32
    .language:       OpenCL C
    .language_version:
      - 2
      - 0
    .max_flat_workgroup_size: 64
    .name:           _ZN9rocsolver6v33100L18trti2_kernel_smallILi22E19rocblas_complex_numIdEPKPS3_EEv13rocblas_fill_17rocblas_diagonal_T1_iil
    .private_segment_fixed_size: 368
    .sgpr_count:     18
    .sgpr_spill_count: 0
    .symbol:         _ZN9rocsolver6v33100L18trti2_kernel_smallILi22E19rocblas_complex_numIdEPKPS3_EEv13rocblas_fill_17rocblas_diagonal_T1_iil.kd
    .uniform_work_group_size: 1
    .uses_dynamic_stack: false
    .vgpr_count:     104
    .vgpr_spill_count: 0
    .wavefront_size: 64
  - .agpr_count:     0
    .args:
      - .offset:         0
        .size:           4
        .value_kind:     by_value
      - .offset:         4
        .size:           4
        .value_kind:     by_value
      - .address_space:  global
        .offset:         8
        .size:           8
        .value_kind:     global_buffer
      - .offset:         16
        .size:           4
        .value_kind:     by_value
      - .offset:         20
        .size:           4
        .value_kind:     by_value
      - .offset:         24
        .size:           8
        .value_kind:     by_value
    .group_segment_fixed_size: 736
    .kernarg_segment_align: 8
    .kernarg_segment_size: 32
    .language:       OpenCL C
    .language_version:
      - 2
      - 0
    .max_flat_workgroup_size: 64
    .name:           _ZN9rocsolver6v33100L18trti2_kernel_smallILi23E19rocblas_complex_numIdEPKPS3_EEv13rocblas_fill_17rocblas_diagonal_T1_iil
    .private_segment_fixed_size: 384
    .sgpr_count:     18
    .sgpr_spill_count: 0
    .symbol:         _ZN9rocsolver6v33100L18trti2_kernel_smallILi23E19rocblas_complex_numIdEPKPS3_EEv13rocblas_fill_17rocblas_diagonal_T1_iil.kd
    .uniform_work_group_size: 1
    .uses_dynamic_stack: false
    .vgpr_count:     98
    .vgpr_spill_count: 0
    .wavefront_size: 64
  - .agpr_count:     0
    .args:
      - .offset:         0
        .size:           4
        .value_kind:     by_value
      - .offset:         4
        .size:           4
        .value_kind:     by_value
      - .address_space:  global
        .offset:         8
        .size:           8
        .value_kind:     global_buffer
      - .offset:         16
        .size:           4
        .value_kind:     by_value
      - .offset:         20
        .size:           4
        .value_kind:     by_value
      - .offset:         24
        .size:           8
        .value_kind:     by_value
    .group_segment_fixed_size: 768
    .kernarg_segment_align: 8
    .kernarg_segment_size: 32
    .language:       OpenCL C
    .language_version:
      - 2
      - 0
    .max_flat_workgroup_size: 64
    .name:           _ZN9rocsolver6v33100L18trti2_kernel_smallILi24E19rocblas_complex_numIdEPKPS3_EEv13rocblas_fill_17rocblas_diagonal_T1_iil
    .private_segment_fixed_size: 400
    .sgpr_count:     18
    .sgpr_spill_count: 0
    .symbol:         _ZN9rocsolver6v33100L18trti2_kernel_smallILi24E19rocblas_complex_numIdEPKPS3_EEv13rocblas_fill_17rocblas_diagonal_T1_iil.kd
    .uniform_work_group_size: 1
    .uses_dynamic_stack: false
    .vgpr_count:     104
    .vgpr_spill_count: 0
    .wavefront_size: 64
  - .agpr_count:     0
    .args:
      - .offset:         0
        .size:           4
        .value_kind:     by_value
      - .offset:         4
        .size:           4
        .value_kind:     by_value
      - .address_space:  global
        .offset:         8
        .size:           8
        .value_kind:     global_buffer
      - .offset:         16
        .size:           4
        .value_kind:     by_value
      - .offset:         20
        .size:           4
        .value_kind:     by_value
      - .offset:         24
        .size:           8
        .value_kind:     by_value
    .group_segment_fixed_size: 800
    .kernarg_segment_align: 8
    .kernarg_segment_size: 32
    .language:       OpenCL C
    .language_version:
      - 2
      - 0
    .max_flat_workgroup_size: 64
    .name:           _ZN9rocsolver6v33100L18trti2_kernel_smallILi25E19rocblas_complex_numIdEPKPS3_EEv13rocblas_fill_17rocblas_diagonal_T1_iil
    .private_segment_fixed_size: 416
    .sgpr_count:     18
    .sgpr_spill_count: 0
    .symbol:         _ZN9rocsolver6v33100L18trti2_kernel_smallILi25E19rocblas_complex_numIdEPKPS3_EEv13rocblas_fill_17rocblas_diagonal_T1_iil.kd
    .uniform_work_group_size: 1
    .uses_dynamic_stack: false
    .vgpr_count:     128
    .vgpr_spill_count: 0
    .wavefront_size: 64
  - .agpr_count:     0
    .args:
      - .offset:         0
        .size:           4
        .value_kind:     by_value
      - .offset:         4
        .size:           4
        .value_kind:     by_value
      - .address_space:  global
        .offset:         8
        .size:           8
        .value_kind:     global_buffer
      - .offset:         16
        .size:           4
        .value_kind:     by_value
      - .offset:         20
        .size:           4
        .value_kind:     by_value
      - .offset:         24
        .size:           8
        .value_kind:     by_value
    .group_segment_fixed_size: 832
    .kernarg_segment_align: 8
    .kernarg_segment_size: 32
    .language:       OpenCL C
    .language_version:
      - 2
      - 0
    .max_flat_workgroup_size: 64
    .name:           _ZN9rocsolver6v33100L18trti2_kernel_smallILi26E19rocblas_complex_numIdEPKPS3_EEv13rocblas_fill_17rocblas_diagonal_T1_iil
    .private_segment_fixed_size: 432
    .sgpr_count:     18
    .sgpr_spill_count: 0
    .symbol:         _ZN9rocsolver6v33100L18trti2_kernel_smallILi26E19rocblas_complex_numIdEPKPS3_EEv13rocblas_fill_17rocblas_diagonal_T1_iil.kd
    .uniform_work_group_size: 1
    .uses_dynamic_stack: false
    .vgpr_count:     132
    .vgpr_spill_count: 0
    .wavefront_size: 64
  - .agpr_count:     0
    .args:
      - .offset:         0
        .size:           4
        .value_kind:     by_value
      - .offset:         4
        .size:           4
        .value_kind:     by_value
      - .address_space:  global
        .offset:         8
        .size:           8
        .value_kind:     global_buffer
      - .offset:         16
        .size:           4
        .value_kind:     by_value
      - .offset:         20
        .size:           4
        .value_kind:     by_value
      - .offset:         24
        .size:           8
        .value_kind:     by_value
    .group_segment_fixed_size: 864
    .kernarg_segment_align: 8
    .kernarg_segment_size: 32
    .language:       OpenCL C
    .language_version:
      - 2
      - 0
    .max_flat_workgroup_size: 64
    .name:           _ZN9rocsolver6v33100L18trti2_kernel_smallILi27E19rocblas_complex_numIdEPKPS3_EEv13rocblas_fill_17rocblas_diagonal_T1_iil
    .private_segment_fixed_size: 448
    .sgpr_count:     18
    .sgpr_spill_count: 0
    .symbol:         _ZN9rocsolver6v33100L18trti2_kernel_smallILi27E19rocblas_complex_numIdEPKPS3_EEv13rocblas_fill_17rocblas_diagonal_T1_iil.kd
    .uniform_work_group_size: 1
    .uses_dynamic_stack: false
    .vgpr_count:     130
    .vgpr_spill_count: 0
    .wavefront_size: 64
  - .agpr_count:     0
    .args:
      - .offset:         0
        .size:           4
        .value_kind:     by_value
      - .offset:         4
        .size:           4
        .value_kind:     by_value
      - .address_space:  global
        .offset:         8
        .size:           8
        .value_kind:     global_buffer
      - .offset:         16
        .size:           4
        .value_kind:     by_value
      - .offset:         20
        .size:           4
        .value_kind:     by_value
      - .offset:         24
        .size:           8
        .value_kind:     by_value
    .group_segment_fixed_size: 896
    .kernarg_segment_align: 8
    .kernarg_segment_size: 32
    .language:       OpenCL C
    .language_version:
      - 2
      - 0
    .max_flat_workgroup_size: 64
    .name:           _ZN9rocsolver6v33100L18trti2_kernel_smallILi28E19rocblas_complex_numIdEPKPS3_EEv13rocblas_fill_17rocblas_diagonal_T1_iil
    .private_segment_fixed_size: 464
    .sgpr_count:     18
    .sgpr_spill_count: 0
    .symbol:         _ZN9rocsolver6v33100L18trti2_kernel_smallILi28E19rocblas_complex_numIdEPKPS3_EEv13rocblas_fill_17rocblas_diagonal_T1_iil.kd
    .uniform_work_group_size: 1
    .uses_dynamic_stack: false
    .vgpr_count:     138
    .vgpr_spill_count: 0
    .wavefront_size: 64
  - .agpr_count:     0
    .args:
      - .offset:         0
        .size:           4
        .value_kind:     by_value
      - .offset:         4
        .size:           4
        .value_kind:     by_value
      - .address_space:  global
        .offset:         8
        .size:           8
        .value_kind:     global_buffer
      - .offset:         16
        .size:           4
        .value_kind:     by_value
      - .offset:         20
        .size:           4
        .value_kind:     by_value
      - .offset:         24
        .size:           8
        .value_kind:     by_value
    .group_segment_fixed_size: 928
    .kernarg_segment_align: 8
    .kernarg_segment_size: 32
    .language:       OpenCL C
    .language_version:
      - 2
      - 0
    .max_flat_workgroup_size: 64
    .name:           _ZN9rocsolver6v33100L18trti2_kernel_smallILi29E19rocblas_complex_numIdEPKPS3_EEv13rocblas_fill_17rocblas_diagonal_T1_iil
    .private_segment_fixed_size: 480
    .sgpr_count:     18
    .sgpr_spill_count: 0
    .symbol:         _ZN9rocsolver6v33100L18trti2_kernel_smallILi29E19rocblas_complex_numIdEPKPS3_EEv13rocblas_fill_17rocblas_diagonal_T1_iil.kd
    .uniform_work_group_size: 1
    .uses_dynamic_stack: false
    .vgpr_count:     128
    .vgpr_spill_count: 0
    .wavefront_size: 64
  - .agpr_count:     0
    .args:
      - .offset:         0
        .size:           4
        .value_kind:     by_value
      - .offset:         4
        .size:           4
        .value_kind:     by_value
      - .address_space:  global
        .offset:         8
        .size:           8
        .value_kind:     global_buffer
      - .offset:         16
        .size:           4
        .value_kind:     by_value
      - .offset:         20
        .size:           4
        .value_kind:     by_value
      - .offset:         24
        .size:           8
        .value_kind:     by_value
    .group_segment_fixed_size: 960
    .kernarg_segment_align: 8
    .kernarg_segment_size: 32
    .language:       OpenCL C
    .language_version:
      - 2
      - 0
    .max_flat_workgroup_size: 64
    .name:           _ZN9rocsolver6v33100L18trti2_kernel_smallILi30E19rocblas_complex_numIdEPKPS3_EEv13rocblas_fill_17rocblas_diagonal_T1_iil
    .private_segment_fixed_size: 496
    .sgpr_count:     18
    .sgpr_spill_count: 0
    .symbol:         _ZN9rocsolver6v33100L18trti2_kernel_smallILi30E19rocblas_complex_numIdEPKPS3_EEv13rocblas_fill_17rocblas_diagonal_T1_iil.kd
    .uniform_work_group_size: 1
    .uses_dynamic_stack: false
    .vgpr_count:     132
    .vgpr_spill_count: 0
    .wavefront_size: 64
  - .agpr_count:     0
    .args:
      - .offset:         0
        .size:           4
        .value_kind:     by_value
      - .offset:         4
        .size:           4
        .value_kind:     by_value
      - .address_space:  global
        .offset:         8
        .size:           8
        .value_kind:     global_buffer
      - .offset:         16
        .size:           4
        .value_kind:     by_value
      - .offset:         20
        .size:           4
        .value_kind:     by_value
      - .offset:         24
        .size:           8
        .value_kind:     by_value
    .group_segment_fixed_size: 992
    .kernarg_segment_align: 8
    .kernarg_segment_size: 32
    .language:       OpenCL C
    .language_version:
      - 2
      - 0
    .max_flat_workgroup_size: 64
    .name:           _ZN9rocsolver6v33100L18trti2_kernel_smallILi31E19rocblas_complex_numIdEPKPS3_EEv13rocblas_fill_17rocblas_diagonal_T1_iil
    .private_segment_fixed_size: 512
    .sgpr_count:     18
    .sgpr_spill_count: 0
    .symbol:         _ZN9rocsolver6v33100L18trti2_kernel_smallILi31E19rocblas_complex_numIdEPKPS3_EEv13rocblas_fill_17rocblas_diagonal_T1_iil.kd
    .uniform_work_group_size: 1
    .uses_dynamic_stack: false
    .vgpr_count:     130
    .vgpr_spill_count: 0
    .wavefront_size: 64
  - .agpr_count:     0
    .args:
      - .offset:         0
        .size:           4
        .value_kind:     by_value
      - .offset:         4
        .size:           4
        .value_kind:     by_value
      - .address_space:  global
        .offset:         8
        .size:           8
        .value_kind:     global_buffer
      - .offset:         16
        .size:           4
        .value_kind:     by_value
      - .offset:         20
        .size:           4
        .value_kind:     by_value
      - .offset:         24
        .size:           8
        .value_kind:     by_value
    .group_segment_fixed_size: 1024
    .kernarg_segment_align: 8
    .kernarg_segment_size: 32
    .language:       OpenCL C
    .language_version:
      - 2
      - 0
    .max_flat_workgroup_size: 64
    .name:           _ZN9rocsolver6v33100L18trti2_kernel_smallILi32E19rocblas_complex_numIdEPKPS3_EEv13rocblas_fill_17rocblas_diagonal_T1_iil
    .private_segment_fixed_size: 528
    .sgpr_count:     18
    .sgpr_spill_count: 0
    .symbol:         _ZN9rocsolver6v33100L18trti2_kernel_smallILi32E19rocblas_complex_numIdEPKPS3_EEv13rocblas_fill_17rocblas_diagonal_T1_iil.kd
    .uniform_work_group_size: 1
    .uses_dynamic_stack: false
    .vgpr_count:     138
    .vgpr_spill_count: 0
    .wavefront_size: 64
  - .agpr_count:     0
    .args:
      - .offset:         0
        .size:           4
        .value_kind:     by_value
      - .offset:         4
        .size:           4
        .value_kind:     by_value
      - .address_space:  global
        .offset:         8
        .size:           8
        .value_kind:     global_buffer
      - .offset:         16
        .size:           4
        .value_kind:     by_value
      - .offset:         20
        .size:           4
        .value_kind:     by_value
      - .offset:         24
        .size:           8
        .value_kind:     by_value
    .group_segment_fixed_size: 1056
    .kernarg_segment_align: 8
    .kernarg_segment_size: 32
    .language:       OpenCL C
    .language_version:
      - 2
      - 0
    .max_flat_workgroup_size: 64
    .name:           _ZN9rocsolver6v33100L18trti2_kernel_smallILi33E19rocblas_complex_numIdEPKPS3_EEv13rocblas_fill_17rocblas_diagonal_T1_iil
    .private_segment_fixed_size: 544
    .sgpr_count:     18
    .sgpr_spill_count: 0
    .symbol:         _ZN9rocsolver6v33100L18trti2_kernel_smallILi33E19rocblas_complex_numIdEPKPS3_EEv13rocblas_fill_17rocblas_diagonal_T1_iil.kd
    .uniform_work_group_size: 1
    .uses_dynamic_stack: false
    .vgpr_count:     138
    .vgpr_spill_count: 0
    .wavefront_size: 64
  - .agpr_count:     0
    .args:
      - .offset:         0
        .size:           4
        .value_kind:     by_value
      - .offset:         4
        .size:           4
        .value_kind:     by_value
      - .address_space:  global
        .offset:         8
        .size:           8
        .value_kind:     global_buffer
      - .offset:         16
        .size:           4
        .value_kind:     by_value
      - .offset:         20
        .size:           4
        .value_kind:     by_value
      - .offset:         24
        .size:           8
        .value_kind:     by_value
    .group_segment_fixed_size: 1088
    .kernarg_segment_align: 8
    .kernarg_segment_size: 32
    .language:       OpenCL C
    .language_version:
      - 2
      - 0
    .max_flat_workgroup_size: 64
    .name:           _ZN9rocsolver6v33100L18trti2_kernel_smallILi34E19rocblas_complex_numIdEPKPS3_EEv13rocblas_fill_17rocblas_diagonal_T1_iil
    .private_segment_fixed_size: 560
    .sgpr_count:     18
    .sgpr_spill_count: 0
    .symbol:         _ZN9rocsolver6v33100L18trti2_kernel_smallILi34E19rocblas_complex_numIdEPKPS3_EEv13rocblas_fill_17rocblas_diagonal_T1_iil.kd
    .uniform_work_group_size: 1
    .uses_dynamic_stack: false
    .vgpr_count:     136
    .vgpr_spill_count: 0
    .wavefront_size: 64
  - .agpr_count:     0
    .args:
      - .offset:         0
        .size:           4
        .value_kind:     by_value
      - .offset:         4
        .size:           4
        .value_kind:     by_value
      - .address_space:  global
        .offset:         8
        .size:           8
        .value_kind:     global_buffer
      - .offset:         16
        .size:           4
        .value_kind:     by_value
      - .offset:         20
        .size:           4
        .value_kind:     by_value
      - .offset:         24
        .size:           8
        .value_kind:     by_value
    .group_segment_fixed_size: 1120
    .kernarg_segment_align: 8
    .kernarg_segment_size: 32
    .language:       OpenCL C
    .language_version:
      - 2
      - 0
    .max_flat_workgroup_size: 64
    .name:           _ZN9rocsolver6v33100L18trti2_kernel_smallILi35E19rocblas_complex_numIdEPKPS3_EEv13rocblas_fill_17rocblas_diagonal_T1_iil
    .private_segment_fixed_size: 576
    .sgpr_count:     18
    .sgpr_spill_count: 0
    .symbol:         _ZN9rocsolver6v33100L18trti2_kernel_smallILi35E19rocblas_complex_numIdEPKPS3_EEv13rocblas_fill_17rocblas_diagonal_T1_iil.kd
    .uniform_work_group_size: 1
    .uses_dynamic_stack: false
    .vgpr_count:     136
    .vgpr_spill_count: 0
    .wavefront_size: 64
  - .agpr_count:     0
    .args:
      - .offset:         0
        .size:           4
        .value_kind:     by_value
      - .offset:         4
        .size:           4
        .value_kind:     by_value
      - .address_space:  global
        .offset:         8
        .size:           8
        .value_kind:     global_buffer
      - .offset:         16
        .size:           4
        .value_kind:     by_value
      - .offset:         20
        .size:           4
        .value_kind:     by_value
      - .offset:         24
        .size:           8
        .value_kind:     by_value
    .group_segment_fixed_size: 1152
    .kernarg_segment_align: 8
    .kernarg_segment_size: 32
    .language:       OpenCL C
    .language_version:
      - 2
      - 0
    .max_flat_workgroup_size: 64
    .name:           _ZN9rocsolver6v33100L18trti2_kernel_smallILi36E19rocblas_complex_numIdEPKPS3_EEv13rocblas_fill_17rocblas_diagonal_T1_iil
    .private_segment_fixed_size: 592
    .sgpr_count:     18
    .sgpr_spill_count: 0
    .symbol:         _ZN9rocsolver6v33100L18trti2_kernel_smallILi36E19rocblas_complex_numIdEPKPS3_EEv13rocblas_fill_17rocblas_diagonal_T1_iil.kd
    .uniform_work_group_size: 1
    .uses_dynamic_stack: false
    .vgpr_count:     176
    .vgpr_spill_count: 0
    .wavefront_size: 64
  - .agpr_count:     0
    .args:
      - .offset:         0
        .size:           4
        .value_kind:     by_value
      - .offset:         4
        .size:           4
        .value_kind:     by_value
      - .address_space:  global
        .offset:         8
        .size:           8
        .value_kind:     global_buffer
      - .offset:         16
        .size:           4
        .value_kind:     by_value
      - .offset:         20
        .size:           4
        .value_kind:     by_value
      - .offset:         24
        .size:           8
        .value_kind:     by_value
    .group_segment_fixed_size: 1184
    .kernarg_segment_align: 8
    .kernarg_segment_size: 32
    .language:       OpenCL C
    .language_version:
      - 2
      - 0
    .max_flat_workgroup_size: 64
    .name:           _ZN9rocsolver6v33100L18trti2_kernel_smallILi37E19rocblas_complex_numIdEPKPS3_EEv13rocblas_fill_17rocblas_diagonal_T1_iil
    .private_segment_fixed_size: 608
    .sgpr_count:     18
    .sgpr_spill_count: 0
    .symbol:         _ZN9rocsolver6v33100L18trti2_kernel_smallILi37E19rocblas_complex_numIdEPKPS3_EEv13rocblas_fill_17rocblas_diagonal_T1_iil.kd
    .uniform_work_group_size: 1
    .uses_dynamic_stack: false
    .vgpr_count:     170
    .vgpr_spill_count: 0
    .wavefront_size: 64
  - .agpr_count:     0
    .args:
      - .offset:         0
        .size:           4
        .value_kind:     by_value
      - .offset:         4
        .size:           4
        .value_kind:     by_value
      - .address_space:  global
        .offset:         8
        .size:           8
        .value_kind:     global_buffer
      - .offset:         16
        .size:           4
        .value_kind:     by_value
      - .offset:         20
        .size:           4
        .value_kind:     by_value
      - .offset:         24
        .size:           8
        .value_kind:     by_value
    .group_segment_fixed_size: 1216
    .kernarg_segment_align: 8
    .kernarg_segment_size: 32
    .language:       OpenCL C
    .language_version:
      - 2
      - 0
    .max_flat_workgroup_size: 64
    .name:           _ZN9rocsolver6v33100L18trti2_kernel_smallILi38E19rocblas_complex_numIdEPKPS3_EEv13rocblas_fill_17rocblas_diagonal_T1_iil
    .private_segment_fixed_size: 624
    .sgpr_count:     18
    .sgpr_spill_count: 0
    .symbol:         _ZN9rocsolver6v33100L18trti2_kernel_smallILi38E19rocblas_complex_numIdEPKPS3_EEv13rocblas_fill_17rocblas_diagonal_T1_iil.kd
    .uniform_work_group_size: 1
    .uses_dynamic_stack: false
    .vgpr_count:     174
    .vgpr_spill_count: 0
    .wavefront_size: 64
  - .agpr_count:     0
    .args:
      - .offset:         0
        .size:           4
        .value_kind:     by_value
      - .offset:         4
        .size:           4
        .value_kind:     by_value
      - .address_space:  global
        .offset:         8
        .size:           8
        .value_kind:     global_buffer
      - .offset:         16
        .size:           4
        .value_kind:     by_value
      - .offset:         20
        .size:           4
        .value_kind:     by_value
      - .offset:         24
        .size:           8
        .value_kind:     by_value
    .group_segment_fixed_size: 1248
    .kernarg_segment_align: 8
    .kernarg_segment_size: 32
    .language:       OpenCL C
    .language_version:
      - 2
      - 0
    .max_flat_workgroup_size: 64
    .name:           _ZN9rocsolver6v33100L18trti2_kernel_smallILi39E19rocblas_complex_numIdEPKPS3_EEv13rocblas_fill_17rocblas_diagonal_T1_iil
    .private_segment_fixed_size: 640
    .sgpr_count:     18
    .sgpr_spill_count: 0
    .symbol:         _ZN9rocsolver6v33100L18trti2_kernel_smallILi39E19rocblas_complex_numIdEPKPS3_EEv13rocblas_fill_17rocblas_diagonal_T1_iil.kd
    .uniform_work_group_size: 1
    .uses_dynamic_stack: false
    .vgpr_count:     172
    .vgpr_spill_count: 0
    .wavefront_size: 64
  - .agpr_count:     0
    .args:
      - .offset:         0
        .size:           4
        .value_kind:     by_value
      - .offset:         4
        .size:           4
        .value_kind:     by_value
      - .address_space:  global
        .offset:         8
        .size:           8
        .value_kind:     global_buffer
      - .offset:         16
        .size:           4
        .value_kind:     by_value
      - .offset:         20
        .size:           4
        .value_kind:     by_value
      - .offset:         24
        .size:           8
        .value_kind:     by_value
    .group_segment_fixed_size: 1280
    .kernarg_segment_align: 8
    .kernarg_segment_size: 32
    .language:       OpenCL C
    .language_version:
      - 2
      - 0
    .max_flat_workgroup_size: 64
    .name:           _ZN9rocsolver6v33100L18trti2_kernel_smallILi40E19rocblas_complex_numIdEPKPS3_EEv13rocblas_fill_17rocblas_diagonal_T1_iil
    .private_segment_fixed_size: 656
    .sgpr_count:     18
    .sgpr_spill_count: 0
    .symbol:         _ZN9rocsolver6v33100L18trti2_kernel_smallILi40E19rocblas_complex_numIdEPKPS3_EEv13rocblas_fill_17rocblas_diagonal_T1_iil.kd
    .uniform_work_group_size: 1
    .uses_dynamic_stack: false
    .vgpr_count:     170
    .vgpr_spill_count: 0
    .wavefront_size: 64
  - .agpr_count:     0
    .args:
      - .offset:         0
        .size:           4
        .value_kind:     by_value
      - .offset:         4
        .size:           4
        .value_kind:     by_value
      - .address_space:  global
        .offset:         8
        .size:           8
        .value_kind:     global_buffer
      - .offset:         16
        .size:           4
        .value_kind:     by_value
      - .offset:         20
        .size:           4
        .value_kind:     by_value
      - .offset:         24
        .size:           8
        .value_kind:     by_value
    .group_segment_fixed_size: 1312
    .kernarg_segment_align: 8
    .kernarg_segment_size: 32
    .language:       OpenCL C
    .language_version:
      - 2
      - 0
    .max_flat_workgroup_size: 64
    .name:           _ZN9rocsolver6v33100L18trti2_kernel_smallILi41E19rocblas_complex_numIdEPKPS3_EEv13rocblas_fill_17rocblas_diagonal_T1_iil
    .private_segment_fixed_size: 672
    .sgpr_count:     18
    .sgpr_spill_count: 0
    .symbol:         _ZN9rocsolver6v33100L18trti2_kernel_smallILi41E19rocblas_complex_numIdEPKPS3_EEv13rocblas_fill_17rocblas_diagonal_T1_iil.kd
    .uniform_work_group_size: 1
    .uses_dynamic_stack: false
    .vgpr_count:     172
    .vgpr_spill_count: 0
    .wavefront_size: 64
  - .agpr_count:     0
    .args:
      - .offset:         0
        .size:           4
        .value_kind:     by_value
      - .offset:         4
        .size:           4
        .value_kind:     by_value
      - .address_space:  global
        .offset:         8
        .size:           8
        .value_kind:     global_buffer
      - .offset:         16
        .size:           4
        .value_kind:     by_value
      - .offset:         20
        .size:           4
        .value_kind:     by_value
      - .offset:         24
        .size:           8
        .value_kind:     by_value
    .group_segment_fixed_size: 1344
    .kernarg_segment_align: 8
    .kernarg_segment_size: 32
    .language:       OpenCL C
    .language_version:
      - 2
      - 0
    .max_flat_workgroup_size: 64
    .name:           _ZN9rocsolver6v33100L18trti2_kernel_smallILi42E19rocblas_complex_numIdEPKPS3_EEv13rocblas_fill_17rocblas_diagonal_T1_iil
    .private_segment_fixed_size: 688
    .sgpr_count:     18
    .sgpr_spill_count: 0
    .symbol:         _ZN9rocsolver6v33100L18trti2_kernel_smallILi42E19rocblas_complex_numIdEPKPS3_EEv13rocblas_fill_17rocblas_diagonal_T1_iil.kd
    .uniform_work_group_size: 1
    .uses_dynamic_stack: false
    .vgpr_count:     178
    .vgpr_spill_count: 0
    .wavefront_size: 64
  - .agpr_count:     0
    .args:
      - .offset:         0
        .size:           4
        .value_kind:     by_value
      - .offset:         4
        .size:           4
        .value_kind:     by_value
      - .address_space:  global
        .offset:         8
        .size:           8
        .value_kind:     global_buffer
      - .offset:         16
        .size:           4
        .value_kind:     by_value
      - .offset:         20
        .size:           4
        .value_kind:     by_value
      - .offset:         24
        .size:           8
        .value_kind:     by_value
    .group_segment_fixed_size: 1376
    .kernarg_segment_align: 8
    .kernarg_segment_size: 32
    .language:       OpenCL C
    .language_version:
      - 2
      - 0
    .max_flat_workgroup_size: 64
    .name:           _ZN9rocsolver6v33100L18trti2_kernel_smallILi43E19rocblas_complex_numIdEPKPS3_EEv13rocblas_fill_17rocblas_diagonal_T1_iil
    .private_segment_fixed_size: 704
    .sgpr_count:     18
    .sgpr_spill_count: 0
    .symbol:         _ZN9rocsolver6v33100L18trti2_kernel_smallILi43E19rocblas_complex_numIdEPKPS3_EEv13rocblas_fill_17rocblas_diagonal_T1_iil.kd
    .uniform_work_group_size: 1
    .uses_dynamic_stack: false
    .vgpr_count:     168
    .vgpr_spill_count: 0
    .wavefront_size: 64
  - .agpr_count:     0
    .args:
      - .offset:         0
        .size:           4
        .value_kind:     by_value
      - .offset:         4
        .size:           4
        .value_kind:     by_value
      - .address_space:  global
        .offset:         8
        .size:           8
        .value_kind:     global_buffer
      - .offset:         16
        .size:           4
        .value_kind:     by_value
      - .offset:         20
        .size:           4
        .value_kind:     by_value
      - .offset:         24
        .size:           8
        .value_kind:     by_value
    .group_segment_fixed_size: 1408
    .kernarg_segment_align: 8
    .kernarg_segment_size: 32
    .language:       OpenCL C
    .language_version:
      - 2
      - 0
    .max_flat_workgroup_size: 64
    .name:           _ZN9rocsolver6v33100L18trti2_kernel_smallILi44E19rocblas_complex_numIdEPKPS3_EEv13rocblas_fill_17rocblas_diagonal_T1_iil
    .private_segment_fixed_size: 720
    .sgpr_count:     18
    .sgpr_spill_count: 0
    .symbol:         _ZN9rocsolver6v33100L18trti2_kernel_smallILi44E19rocblas_complex_numIdEPKPS3_EEv13rocblas_fill_17rocblas_diagonal_T1_iil.kd
    .uniform_work_group_size: 1
    .uses_dynamic_stack: false
    .vgpr_count:     172
    .vgpr_spill_count: 0
    .wavefront_size: 64
  - .agpr_count:     0
    .args:
      - .offset:         0
        .size:           4
        .value_kind:     by_value
      - .offset:         4
        .size:           4
        .value_kind:     by_value
      - .address_space:  global
        .offset:         8
        .size:           8
        .value_kind:     global_buffer
      - .offset:         16
        .size:           4
        .value_kind:     by_value
      - .offset:         20
        .size:           4
        .value_kind:     by_value
      - .offset:         24
        .size:           8
        .value_kind:     by_value
    .group_segment_fixed_size: 1440
    .kernarg_segment_align: 8
    .kernarg_segment_size: 32
    .language:       OpenCL C
    .language_version:
      - 2
      - 0
    .max_flat_workgroup_size: 64
    .name:           _ZN9rocsolver6v33100L18trti2_kernel_smallILi45E19rocblas_complex_numIdEPKPS3_EEv13rocblas_fill_17rocblas_diagonal_T1_iil
    .private_segment_fixed_size: 736
    .sgpr_count:     18
    .sgpr_spill_count: 0
    .symbol:         _ZN9rocsolver6v33100L18trti2_kernel_smallILi45E19rocblas_complex_numIdEPKPS3_EEv13rocblas_fill_17rocblas_diagonal_T1_iil.kd
    .uniform_work_group_size: 1
    .uses_dynamic_stack: false
    .vgpr_count:     170
    .vgpr_spill_count: 0
    .wavefront_size: 64
  - .agpr_count:     0
    .args:
      - .offset:         0
        .size:           4
        .value_kind:     by_value
      - .offset:         4
        .size:           4
        .value_kind:     by_value
      - .address_space:  global
        .offset:         8
        .size:           8
        .value_kind:     global_buffer
      - .offset:         16
        .size:           4
        .value_kind:     by_value
      - .offset:         20
        .size:           4
        .value_kind:     by_value
      - .offset:         24
        .size:           8
        .value_kind:     by_value
    .group_segment_fixed_size: 1472
    .kernarg_segment_align: 8
    .kernarg_segment_size: 32
    .language:       OpenCL C
    .language_version:
      - 2
      - 0
    .max_flat_workgroup_size: 64
    .name:           _ZN9rocsolver6v33100L18trti2_kernel_smallILi46E19rocblas_complex_numIdEPKPS3_EEv13rocblas_fill_17rocblas_diagonal_T1_iil
    .private_segment_fixed_size: 752
    .sgpr_count:     18
    .sgpr_spill_count: 0
    .symbol:         _ZN9rocsolver6v33100L18trti2_kernel_smallILi46E19rocblas_complex_numIdEPKPS3_EEv13rocblas_fill_17rocblas_diagonal_T1_iil.kd
    .uniform_work_group_size: 1
    .uses_dynamic_stack: false
    .vgpr_count:     178
    .vgpr_spill_count: 0
    .wavefront_size: 64
  - .agpr_count:     0
    .args:
      - .offset:         0
        .size:           4
        .value_kind:     by_value
      - .offset:         4
        .size:           4
        .value_kind:     by_value
      - .address_space:  global
        .offset:         8
        .size:           8
        .value_kind:     global_buffer
      - .offset:         16
        .size:           4
        .value_kind:     by_value
      - .offset:         20
        .size:           4
        .value_kind:     by_value
      - .offset:         24
        .size:           8
        .value_kind:     by_value
    .group_segment_fixed_size: 1504
    .kernarg_segment_align: 8
    .kernarg_segment_size: 32
    .language:       OpenCL C
    .language_version:
      - 2
      - 0
    .max_flat_workgroup_size: 64
    .name:           _ZN9rocsolver6v33100L18trti2_kernel_smallILi47E19rocblas_complex_numIdEPKPS3_EEv13rocblas_fill_17rocblas_diagonal_T1_iil
    .private_segment_fixed_size: 768
    .sgpr_count:     18
    .sgpr_spill_count: 0
    .symbol:         _ZN9rocsolver6v33100L18trti2_kernel_smallILi47E19rocblas_complex_numIdEPKPS3_EEv13rocblas_fill_17rocblas_diagonal_T1_iil.kd
    .uniform_work_group_size: 1
    .uses_dynamic_stack: false
    .vgpr_count:     176
    .vgpr_spill_count: 0
    .wavefront_size: 64
  - .agpr_count:     0
    .args:
      - .offset:         0
        .size:           4
        .value_kind:     by_value
      - .offset:         4
        .size:           4
        .value_kind:     by_value
      - .address_space:  global
        .offset:         8
        .size:           8
        .value_kind:     global_buffer
      - .offset:         16
        .size:           4
        .value_kind:     by_value
      - .offset:         20
        .size:           4
        .value_kind:     by_value
      - .offset:         24
        .size:           8
        .value_kind:     by_value
    .group_segment_fixed_size: 1536
    .kernarg_segment_align: 8
    .kernarg_segment_size: 32
    .language:       OpenCL C
    .language_version:
      - 2
      - 0
    .max_flat_workgroup_size: 64
    .name:           _ZN9rocsolver6v33100L18trti2_kernel_smallILi48E19rocblas_complex_numIdEPKPS3_EEv13rocblas_fill_17rocblas_diagonal_T1_iil
    .private_segment_fixed_size: 784
    .sgpr_count:     18
    .sgpr_spill_count: 0
    .symbol:         _ZN9rocsolver6v33100L18trti2_kernel_smallILi48E19rocblas_complex_numIdEPKPS3_EEv13rocblas_fill_17rocblas_diagonal_T1_iil.kd
    .uniform_work_group_size: 1
    .uses_dynamic_stack: false
    .vgpr_count:     176
    .vgpr_spill_count: 0
    .wavefront_size: 64
  - .agpr_count:     2
    .args:
      - .offset:         0
        .size:           4
        .value_kind:     by_value
      - .offset:         4
        .size:           4
        .value_kind:     by_value
      - .address_space:  global
        .offset:         8
        .size:           8
        .value_kind:     global_buffer
      - .offset:         16
        .size:           4
        .value_kind:     by_value
      - .offset:         20
        .size:           4
        .value_kind:     by_value
      - .offset:         24
        .size:           8
        .value_kind:     by_value
    .group_segment_fixed_size: 1568
    .kernarg_segment_align: 8
    .kernarg_segment_size: 32
    .language:       OpenCL C
    .language_version:
      - 2
      - 0
    .max_flat_workgroup_size: 64
    .name:           _ZN9rocsolver6v33100L18trti2_kernel_smallILi49E19rocblas_complex_numIdEPKPS3_EEv13rocblas_fill_17rocblas_diagonal_T1_iil
    .private_segment_fixed_size: 800
    .sgpr_count:     18
    .sgpr_spill_count: 0
    .symbol:         _ZN9rocsolver6v33100L18trti2_kernel_smallILi49E19rocblas_complex_numIdEPKPS3_EEv13rocblas_fill_17rocblas_diagonal_T1_iil.kd
    .uniform_work_group_size: 1
    .uses_dynamic_stack: false
    .vgpr_count:     258
    .vgpr_spill_count: 0
    .wavefront_size: 64
  - .agpr_count:     4
    .args:
      - .offset:         0
        .size:           4
        .value_kind:     by_value
      - .offset:         4
        .size:           4
        .value_kind:     by_value
      - .address_space:  global
        .offset:         8
        .size:           8
        .value_kind:     global_buffer
      - .offset:         16
        .size:           4
        .value_kind:     by_value
      - .offset:         20
        .size:           4
        .value_kind:     by_value
      - .offset:         24
        .size:           8
        .value_kind:     by_value
    .group_segment_fixed_size: 1600
    .kernarg_segment_align: 8
    .kernarg_segment_size: 32
    .language:       OpenCL C
    .language_version:
      - 2
      - 0
    .max_flat_workgroup_size: 64
    .name:           _ZN9rocsolver6v33100L18trti2_kernel_smallILi50E19rocblas_complex_numIdEPKPS3_EEv13rocblas_fill_17rocblas_diagonal_T1_iil
    .private_segment_fixed_size: 816
    .sgpr_count:     18
    .sgpr_spill_count: 0
    .symbol:         _ZN9rocsolver6v33100L18trti2_kernel_smallILi50E19rocblas_complex_numIdEPKPS3_EEv13rocblas_fill_17rocblas_diagonal_T1_iil.kd
    .uniform_work_group_size: 1
    .uses_dynamic_stack: false
    .vgpr_count:     260
    .vgpr_spill_count: 0
    .wavefront_size: 64
  - .agpr_count:     2
    .args:
      - .offset:         0
        .size:           4
        .value_kind:     by_value
      - .offset:         4
        .size:           4
        .value_kind:     by_value
      - .address_space:  global
        .offset:         8
        .size:           8
        .value_kind:     global_buffer
      - .offset:         16
        .size:           4
        .value_kind:     by_value
      - .offset:         20
        .size:           4
        .value_kind:     by_value
      - .offset:         24
        .size:           8
        .value_kind:     by_value
    .group_segment_fixed_size: 1632
    .kernarg_segment_align: 8
    .kernarg_segment_size: 32
    .language:       OpenCL C
    .language_version:
      - 2
      - 0
    .max_flat_workgroup_size: 64
    .name:           _ZN9rocsolver6v33100L18trti2_kernel_smallILi51E19rocblas_complex_numIdEPKPS3_EEv13rocblas_fill_17rocblas_diagonal_T1_iil
    .private_segment_fixed_size: 832
    .sgpr_count:     18
    .sgpr_spill_count: 0
    .symbol:         _ZN9rocsolver6v33100L18trti2_kernel_smallILi51E19rocblas_complex_numIdEPKPS3_EEv13rocblas_fill_17rocblas_diagonal_T1_iil.kd
    .uniform_work_group_size: 1
    .uses_dynamic_stack: false
    .vgpr_count:     258
    .vgpr_spill_count: 0
    .wavefront_size: 64
  - .agpr_count:     2
    .args:
      - .offset:         0
        .size:           4
        .value_kind:     by_value
      - .offset:         4
        .size:           4
        .value_kind:     by_value
      - .address_space:  global
        .offset:         8
        .size:           8
        .value_kind:     global_buffer
      - .offset:         16
        .size:           4
        .value_kind:     by_value
      - .offset:         20
        .size:           4
        .value_kind:     by_value
      - .offset:         24
        .size:           8
        .value_kind:     by_value
    .group_segment_fixed_size: 1664
    .kernarg_segment_align: 8
    .kernarg_segment_size: 32
    .language:       OpenCL C
    .language_version:
      - 2
      - 0
    .max_flat_workgroup_size: 64
    .name:           _ZN9rocsolver6v33100L18trti2_kernel_smallILi52E19rocblas_complex_numIdEPKPS3_EEv13rocblas_fill_17rocblas_diagonal_T1_iil
    .private_segment_fixed_size: 848
    .sgpr_count:     18
    .sgpr_spill_count: 0
    .symbol:         _ZN9rocsolver6v33100L18trti2_kernel_smallILi52E19rocblas_complex_numIdEPKPS3_EEv13rocblas_fill_17rocblas_diagonal_T1_iil.kd
    .uniform_work_group_size: 1
    .uses_dynamic_stack: false
    .vgpr_count:     258
    .vgpr_spill_count: 0
    .wavefront_size: 64
  - .agpr_count:     0
    .args:
      - .offset:         0
        .size:           4
        .value_kind:     by_value
      - .offset:         4
        .size:           4
        .value_kind:     by_value
      - .address_space:  global
        .offset:         8
        .size:           8
        .value_kind:     global_buffer
      - .offset:         16
        .size:           4
        .value_kind:     by_value
      - .offset:         20
        .size:           4
        .value_kind:     by_value
      - .offset:         24
        .size:           8
        .value_kind:     by_value
    .group_segment_fixed_size: 1696
    .kernarg_segment_align: 8
    .kernarg_segment_size: 32
    .language:       OpenCL C
    .language_version:
      - 2
      - 0
    .max_flat_workgroup_size: 64
    .name:           _ZN9rocsolver6v33100L18trti2_kernel_smallILi53E19rocblas_complex_numIdEPKPS3_EEv13rocblas_fill_17rocblas_diagonal_T1_iil
    .private_segment_fixed_size: 864
    .sgpr_count:     18
    .sgpr_spill_count: 0
    .symbol:         _ZN9rocsolver6v33100L18trti2_kernel_smallILi53E19rocblas_complex_numIdEPKPS3_EEv13rocblas_fill_17rocblas_diagonal_T1_iil.kd
    .uniform_work_group_size: 1
    .uses_dynamic_stack: false
    .vgpr_count:     256
    .vgpr_spill_count: 0
    .wavefront_size: 64
  - .agpr_count:     10
    .args:
      - .offset:         0
        .size:           4
        .value_kind:     by_value
      - .offset:         4
        .size:           4
        .value_kind:     by_value
      - .address_space:  global
        .offset:         8
        .size:           8
        .value_kind:     global_buffer
      - .offset:         16
        .size:           4
        .value_kind:     by_value
      - .offset:         20
        .size:           4
        .value_kind:     by_value
      - .offset:         24
        .size:           8
        .value_kind:     by_value
    .group_segment_fixed_size: 1728
    .kernarg_segment_align: 8
    .kernarg_segment_size: 32
    .language:       OpenCL C
    .language_version:
      - 2
      - 0
    .max_flat_workgroup_size: 64
    .name:           _ZN9rocsolver6v33100L18trti2_kernel_smallILi54E19rocblas_complex_numIdEPKPS3_EEv13rocblas_fill_17rocblas_diagonal_T1_iil
    .private_segment_fixed_size: 880
    .sgpr_count:     18
    .sgpr_spill_count: 0
    .symbol:         _ZN9rocsolver6v33100L18trti2_kernel_smallILi54E19rocblas_complex_numIdEPKPS3_EEv13rocblas_fill_17rocblas_diagonal_T1_iil.kd
    .uniform_work_group_size: 1
    .uses_dynamic_stack: false
    .vgpr_count:     266
    .vgpr_spill_count: 0
    .wavefront_size: 64
  - .agpr_count:     2
    .args:
      - .offset:         0
        .size:           4
        .value_kind:     by_value
      - .offset:         4
        .size:           4
        .value_kind:     by_value
      - .address_space:  global
        .offset:         8
        .size:           8
        .value_kind:     global_buffer
      - .offset:         16
        .size:           4
        .value_kind:     by_value
      - .offset:         20
        .size:           4
        .value_kind:     by_value
      - .offset:         24
        .size:           8
        .value_kind:     by_value
    .group_segment_fixed_size: 1760
    .kernarg_segment_align: 8
    .kernarg_segment_size: 32
    .language:       OpenCL C
    .language_version:
      - 2
      - 0
    .max_flat_workgroup_size: 64
    .name:           _ZN9rocsolver6v33100L18trti2_kernel_smallILi55E19rocblas_complex_numIdEPKPS3_EEv13rocblas_fill_17rocblas_diagonal_T1_iil
    .private_segment_fixed_size: 896
    .sgpr_count:     18
    .sgpr_spill_count: 0
    .symbol:         _ZN9rocsolver6v33100L18trti2_kernel_smallILi55E19rocblas_complex_numIdEPKPS3_EEv13rocblas_fill_17rocblas_diagonal_T1_iil.kd
    .uniform_work_group_size: 1
    .uses_dynamic_stack: false
    .vgpr_count:     258
    .vgpr_spill_count: 0
    .wavefront_size: 64
  - .agpr_count:     10
    .args:
      - .offset:         0
        .size:           4
        .value_kind:     by_value
      - .offset:         4
        .size:           4
        .value_kind:     by_value
      - .address_space:  global
        .offset:         8
        .size:           8
        .value_kind:     global_buffer
      - .offset:         16
        .size:           4
        .value_kind:     by_value
      - .offset:         20
        .size:           4
        .value_kind:     by_value
      - .offset:         24
        .size:           8
        .value_kind:     by_value
    .group_segment_fixed_size: 1792
    .kernarg_segment_align: 8
    .kernarg_segment_size: 32
    .language:       OpenCL C
    .language_version:
      - 2
      - 0
    .max_flat_workgroup_size: 64
    .name:           _ZN9rocsolver6v33100L18trti2_kernel_smallILi56E19rocblas_complex_numIdEPKPS3_EEv13rocblas_fill_17rocblas_diagonal_T1_iil
    .private_segment_fixed_size: 912
    .sgpr_count:     18
    .sgpr_spill_count: 0
    .symbol:         _ZN9rocsolver6v33100L18trti2_kernel_smallILi56E19rocblas_complex_numIdEPKPS3_EEv13rocblas_fill_17rocblas_diagonal_T1_iil.kd
    .uniform_work_group_size: 1
    .uses_dynamic_stack: false
    .vgpr_count:     266
    .vgpr_spill_count: 0
    .wavefront_size: 64
  - .agpr_count:     2
    .args:
      - .offset:         0
        .size:           4
        .value_kind:     by_value
      - .offset:         4
        .size:           4
        .value_kind:     by_value
      - .address_space:  global
        .offset:         8
        .size:           8
        .value_kind:     global_buffer
      - .offset:         16
        .size:           4
        .value_kind:     by_value
      - .offset:         20
        .size:           4
        .value_kind:     by_value
      - .offset:         24
        .size:           8
        .value_kind:     by_value
    .group_segment_fixed_size: 1824
    .kernarg_segment_align: 8
    .kernarg_segment_size: 32
    .language:       OpenCL C
    .language_version:
      - 2
      - 0
    .max_flat_workgroup_size: 64
    .name:           _ZN9rocsolver6v33100L18trti2_kernel_smallILi57E19rocblas_complex_numIdEPKPS3_EEv13rocblas_fill_17rocblas_diagonal_T1_iil
    .private_segment_fixed_size: 928
    .sgpr_count:     18
    .sgpr_spill_count: 0
    .symbol:         _ZN9rocsolver6v33100L18trti2_kernel_smallILi57E19rocblas_complex_numIdEPKPS3_EEv13rocblas_fill_17rocblas_diagonal_T1_iil.kd
    .uniform_work_group_size: 1
    .uses_dynamic_stack: false
    .vgpr_count:     258
    .vgpr_spill_count: 0
    .wavefront_size: 64
  - .agpr_count:     10
    .args:
      - .offset:         0
        .size:           4
        .value_kind:     by_value
      - .offset:         4
        .size:           4
        .value_kind:     by_value
      - .address_space:  global
        .offset:         8
        .size:           8
        .value_kind:     global_buffer
      - .offset:         16
        .size:           4
        .value_kind:     by_value
      - .offset:         20
        .size:           4
        .value_kind:     by_value
      - .offset:         24
        .size:           8
        .value_kind:     by_value
    .group_segment_fixed_size: 1856
    .kernarg_segment_align: 8
    .kernarg_segment_size: 32
    .language:       OpenCL C
    .language_version:
      - 2
      - 0
    .max_flat_workgroup_size: 64
    .name:           _ZN9rocsolver6v33100L18trti2_kernel_smallILi58E19rocblas_complex_numIdEPKPS3_EEv13rocblas_fill_17rocblas_diagonal_T1_iil
    .private_segment_fixed_size: 944
    .sgpr_count:     18
    .sgpr_spill_count: 0
    .symbol:         _ZN9rocsolver6v33100L18trti2_kernel_smallILi58E19rocblas_complex_numIdEPKPS3_EEv13rocblas_fill_17rocblas_diagonal_T1_iil.kd
    .uniform_work_group_size: 1
    .uses_dynamic_stack: false
    .vgpr_count:     266
    .vgpr_spill_count: 0
    .wavefront_size: 64
  - .agpr_count:     2
    .args:
      - .offset:         0
        .size:           4
        .value_kind:     by_value
      - .offset:         4
        .size:           4
        .value_kind:     by_value
      - .address_space:  global
        .offset:         8
        .size:           8
        .value_kind:     global_buffer
      - .offset:         16
        .size:           4
        .value_kind:     by_value
      - .offset:         20
        .size:           4
        .value_kind:     by_value
      - .offset:         24
        .size:           8
        .value_kind:     by_value
    .group_segment_fixed_size: 1888
    .kernarg_segment_align: 8
    .kernarg_segment_size: 32
    .language:       OpenCL C
    .language_version:
      - 2
      - 0
    .max_flat_workgroup_size: 64
    .name:           _ZN9rocsolver6v33100L18trti2_kernel_smallILi59E19rocblas_complex_numIdEPKPS3_EEv13rocblas_fill_17rocblas_diagonal_T1_iil
    .private_segment_fixed_size: 960
    .sgpr_count:     18
    .sgpr_spill_count: 0
    .symbol:         _ZN9rocsolver6v33100L18trti2_kernel_smallILi59E19rocblas_complex_numIdEPKPS3_EEv13rocblas_fill_17rocblas_diagonal_T1_iil.kd
    .uniform_work_group_size: 1
    .uses_dynamic_stack: false
    .vgpr_count:     258
    .vgpr_spill_count: 0
    .wavefront_size: 64
  - .agpr_count:     6
    .args:
      - .offset:         0
        .size:           4
        .value_kind:     by_value
      - .offset:         4
        .size:           4
        .value_kind:     by_value
      - .address_space:  global
        .offset:         8
        .size:           8
        .value_kind:     global_buffer
      - .offset:         16
        .size:           4
        .value_kind:     by_value
      - .offset:         20
        .size:           4
        .value_kind:     by_value
      - .offset:         24
        .size:           8
        .value_kind:     by_value
    .group_segment_fixed_size: 1920
    .kernarg_segment_align: 8
    .kernarg_segment_size: 32
    .language:       OpenCL C
    .language_version:
      - 2
      - 0
    .max_flat_workgroup_size: 64
    .name:           _ZN9rocsolver6v33100L18trti2_kernel_smallILi60E19rocblas_complex_numIdEPKPS3_EEv13rocblas_fill_17rocblas_diagonal_T1_iil
    .private_segment_fixed_size: 976
    .sgpr_count:     18
    .sgpr_spill_count: 0
    .symbol:         _ZN9rocsolver6v33100L18trti2_kernel_smallILi60E19rocblas_complex_numIdEPKPS3_EEv13rocblas_fill_17rocblas_diagonal_T1_iil.kd
    .uniform_work_group_size: 1
    .uses_dynamic_stack: false
    .vgpr_count:     262
    .vgpr_spill_count: 0
    .wavefront_size: 64
  - .agpr_count:     2
    .args:
      - .offset:         0
        .size:           4
        .value_kind:     by_value
      - .offset:         4
        .size:           4
        .value_kind:     by_value
      - .address_space:  global
        .offset:         8
        .size:           8
        .value_kind:     global_buffer
      - .offset:         16
        .size:           4
        .value_kind:     by_value
      - .offset:         20
        .size:           4
        .value_kind:     by_value
      - .offset:         24
        .size:           8
        .value_kind:     by_value
    .group_segment_fixed_size: 1952
    .kernarg_segment_align: 8
    .kernarg_segment_size: 32
    .language:       OpenCL C
    .language_version:
      - 2
      - 0
    .max_flat_workgroup_size: 64
    .name:           _ZN9rocsolver6v33100L18trti2_kernel_smallILi61E19rocblas_complex_numIdEPKPS3_EEv13rocblas_fill_17rocblas_diagonal_T1_iil
    .private_segment_fixed_size: 992
    .sgpr_count:     30
    .sgpr_spill_count: 0
    .symbol:         _ZN9rocsolver6v33100L18trti2_kernel_smallILi61E19rocblas_complex_numIdEPKPS3_EEv13rocblas_fill_17rocblas_diagonal_T1_iil.kd
    .uniform_work_group_size: 1
    .uses_dynamic_stack: false
    .vgpr_count:     258
    .vgpr_spill_count: 0
    .wavefront_size: 64
  - .agpr_count:     7
    .args:
      - .offset:         0
        .size:           4
        .value_kind:     by_value
      - .offset:         4
        .size:           4
        .value_kind:     by_value
      - .address_space:  global
        .offset:         8
        .size:           8
        .value_kind:     global_buffer
      - .offset:         16
        .size:           4
        .value_kind:     by_value
      - .offset:         20
        .size:           4
        .value_kind:     by_value
      - .offset:         24
        .size:           8
        .value_kind:     by_value
    .group_segment_fixed_size: 1984
    .kernarg_segment_align: 8
    .kernarg_segment_size: 32
    .language:       OpenCL C
    .language_version:
      - 2
      - 0
    .max_flat_workgroup_size: 64
    .name:           _ZN9rocsolver6v33100L18trti2_kernel_smallILi62E19rocblas_complex_numIdEPKPS3_EEv13rocblas_fill_17rocblas_diagonal_T1_iil
    .private_segment_fixed_size: 1008
    .sgpr_count:     30
    .sgpr_spill_count: 0
    .symbol:         _ZN9rocsolver6v33100L18trti2_kernel_smallILi62E19rocblas_complex_numIdEPKPS3_EEv13rocblas_fill_17rocblas_diagonal_T1_iil.kd
    .uniform_work_group_size: 1
    .uses_dynamic_stack: false
    .vgpr_count:     263
    .vgpr_spill_count: 0
    .wavefront_size: 64
  - .agpr_count:     2
    .args:
      - .offset:         0
        .size:           4
        .value_kind:     by_value
      - .offset:         4
        .size:           4
        .value_kind:     by_value
      - .address_space:  global
        .offset:         8
        .size:           8
        .value_kind:     global_buffer
      - .offset:         16
        .size:           4
        .value_kind:     by_value
      - .offset:         20
        .size:           4
        .value_kind:     by_value
      - .offset:         24
        .size:           8
        .value_kind:     by_value
    .group_segment_fixed_size: 2016
    .kernarg_segment_align: 8
    .kernarg_segment_size: 32
    .language:       OpenCL C
    .language_version:
      - 2
      - 0
    .max_flat_workgroup_size: 64
    .name:           _ZN9rocsolver6v33100L18trti2_kernel_smallILi63E19rocblas_complex_numIdEPKPS3_EEv13rocblas_fill_17rocblas_diagonal_T1_iil
    .private_segment_fixed_size: 1024
    .sgpr_count:     30
    .sgpr_spill_count: 0
    .symbol:         _ZN9rocsolver6v33100L18trti2_kernel_smallILi63E19rocblas_complex_numIdEPKPS3_EEv13rocblas_fill_17rocblas_diagonal_T1_iil.kd
    .uniform_work_group_size: 1
    .uses_dynamic_stack: false
    .vgpr_count:     258
    .vgpr_spill_count: 0
    .wavefront_size: 64
  - .agpr_count:     9
    .args:
      - .offset:         0
        .size:           4
        .value_kind:     by_value
      - .offset:         4
        .size:           4
        .value_kind:     by_value
      - .address_space:  global
        .offset:         8
        .size:           8
        .value_kind:     global_buffer
      - .offset:         16
        .size:           4
        .value_kind:     by_value
      - .offset:         20
        .size:           4
        .value_kind:     by_value
      - .offset:         24
        .size:           8
        .value_kind:     by_value
    .group_segment_fixed_size: 2048
    .kernarg_segment_align: 8
    .kernarg_segment_size: 32
    .language:       OpenCL C
    .language_version:
      - 2
      - 0
    .max_flat_workgroup_size: 64
    .name:           _ZN9rocsolver6v33100L18trti2_kernel_smallILi64E19rocblas_complex_numIdEPKPS3_EEv13rocblas_fill_17rocblas_diagonal_T1_iil
    .private_segment_fixed_size: 1040
    .sgpr_count:     30
    .sgpr_spill_count: 0
    .symbol:         _ZN9rocsolver6v33100L18trti2_kernel_smallILi64E19rocblas_complex_numIdEPKPS3_EEv13rocblas_fill_17rocblas_diagonal_T1_iil.kd
    .uniform_work_group_size: 1
    .uses_dynamic_stack: false
    .vgpr_count:     265
    .vgpr_spill_count: 0
    .wavefront_size: 64
amdhsa.target:   amdgcn-amd-amdhsa--gfx942
amdhsa.version:
  - 1
  - 2
...

	.end_amdgpu_metadata
